;; amdgpu-corpus repo=ROCm/rocSPARSE kind=compiled arch=gfx90a opt=O3
	.text
	.amdgcn_target "amdgcn-amd-amdhsa--gfx90a"
	.amdhsa_code_object_version 6
	.section	.text._ZN9rocsparseL23bsric0_binsearch_kernelILj32ELj32ELb0EfEEv20rocsparse_direction_iiPKiS3_PT2_S3_PiS3_S6_21rocsparse_index_base_,"axG",@progbits,_ZN9rocsparseL23bsric0_binsearch_kernelILj32ELj32ELb0EfEEv20rocsparse_direction_iiPKiS3_PT2_S3_PiS3_S6_21rocsparse_index_base_,comdat
	.globl	_ZN9rocsparseL23bsric0_binsearch_kernelILj32ELj32ELb0EfEEv20rocsparse_direction_iiPKiS3_PT2_S3_PiS3_S6_21rocsparse_index_base_ ; -- Begin function _ZN9rocsparseL23bsric0_binsearch_kernelILj32ELj32ELb0EfEEv20rocsparse_direction_iiPKiS3_PT2_S3_PiS3_S6_21rocsparse_index_base_
	.p2align	8
	.type	_ZN9rocsparseL23bsric0_binsearch_kernelILj32ELj32ELb0EfEEv20rocsparse_direction_iiPKiS3_PT2_S3_PiS3_S6_21rocsparse_index_base_,@function
_ZN9rocsparseL23bsric0_binsearch_kernelILj32ELj32ELb0EfEEv20rocsparse_direction_iiPKiS3_PT2_S3_PiS3_S6_21rocsparse_index_base_: ; @_ZN9rocsparseL23bsric0_binsearch_kernelILj32ELj32ELb0EfEEv20rocsparse_direction_iiPKiS3_PT2_S3_PiS3_S6_21rocsparse_index_base_
; %bb.0:
	s_load_dwordx8 s[16:23], s[4:5], 0x28
	s_ashr_i32 s7, s6, 31
	s_lshl_b64 s[0:1], s[6:7], 2
	s_waitcnt lgkmcnt(0)
	s_add_u32 s0, s20, s0
	s_addc_u32 s1, s21, s1
	s_load_dword s14, s[0:1], 0x0
	s_waitcnt lgkmcnt(0)
	s_ashr_i32 s15, s14, 31
	s_lshl_b64 s[0:1], s[14:15], 2
	s_add_u32 s0, s16, s0
	s_addc_u32 s1, s17, s1
	s_load_dword s52, s[0:1], 0x0
	s_load_dword s33, s[4:5], 0x48
	v_pk_mov_b32 v[2:3], s[14:15], s[14:15] op_sel:[0,1]
	s_mov_b64 s[0:1], 0
	s_waitcnt lgkmcnt(0)
	s_cmp_lg_u32 s52, -1
	s_cselect_b64 s[2:3], -1, 0
	s_and_saveexec_b64 s[6:7], s[2:3]
	s_xor_b64 s[20:21], exec, s[6:7]
	s_cbranch_execnz .LBB0_4
; %bb.1:
	s_andn2_saveexec_b64 s[2:3], s[20:21]
	s_cbranch_execnz .LBB0_70
.LBB0_2:
	s_or_b64 exec, exec, s[2:3]
	s_and_saveexec_b64 s[2:3], s[0:1]
	s_cbranch_execnz .LBB0_77
.LBB0_3:
	s_endpgm
.LBB0_4:
	s_load_dword s53, s[4:5], 0x8
	s_waitcnt lgkmcnt(0)
	v_cmp_gt_i32_e32 vcc, s53, v0
	s_and_saveexec_b64 s[28:29], vcc
	s_cbranch_execz .LBB0_69
; %bb.5:
	s_load_dwordx4 s[24:27], s[4:5], 0x10
	s_load_dword s6, s[4:5], 0x0
	v_lshlrev_b64 v[4:5], 2, s[14:15]
	v_add_u32_e32 v16, s33, v2
	s_load_dwordx2 s[30:31], s[4:5], 0x20
	s_waitcnt lgkmcnt(0)
	v_mov_b32_e32 v1, s25
	v_add_co_u32_e32 v4, vcc, s24, v4
	v_addc_co_u32_e32 v5, vcc, v1, v5, vcc
	global_load_dwordx2 v[4:5], v[4:5], off
	v_mov_b32_e32 v3, s52
	s_mul_i32 s25, s53, s53
	v_mul_lo_u32 v19, v3, s25
	s_cmp_eq_u32 s6, 0
	v_mov_b32_e32 v20, s27
	s_cselect_b64 s[2:3], -1, 0
	s_cmp_lg_u32 s6, 0
	v_cmp_ne_u32_e64 s[0:1], 0, v0
	s_mov_b64 s[34:35], 0
	v_mov_b32_e32 v17, 0
	s_mov_b32 s54, 0xf800000
	v_mov_b32_e32 v18, 0x260
	s_cselect_b64 s[36:37], -1, 0
	s_waitcnt vmcnt(0)
	v_subrev_u32_e32 v21, s33, v4
	v_xad_u32 v22, s33, -1, v5
	v_add_u32_e32 v2, v22, v21
	v_ashrrev_i32_e32 v2, 1, v2
	v_ashrrev_i32_e32 v3, 31, v2
	v_lshlrev_b64 v[4:5], 2, v[2:3]
	v_mul_lo_u32 v23, s25, v21
	v_add_co_u32_e32 v4, vcc, s26, v4
	v_cmp_gt_i32_e64 s[4:5], s52, v21
	v_cmp_le_i32_e64 s[6:7], s52, v21
	v_cmp_lt_i32_e64 s[8:9], v21, v22
	v_add_u32_e32 v24, v23, v0
	v_addc_co_u32_e32 v5, vcc, v20, v5, vcc
	v_mov_b32_e32 v3, v0
	s_branch .LBB0_7
.LBB0_6:                                ;   in Loop: Header=BB0_7 Depth=1
	v_add_u32_e32 v3, 32, v3
	v_cmp_le_i32_e32 vcc, s53, v3
	s_or_b64 s[34:35], vcc, s[34:35]
	v_add_u32_e32 v24, 32, v24
	s_andn2_b64 exec, exec, s[34:35]
	s_cbranch_execz .LBB0_69
.LBB0_7:                                ; =>This Loop Header: Depth=1
                                        ;     Child Loop BB0_12 Depth 2
                                        ;       Child Loop BB0_15 Depth 3
                                        ;       Child Loop BB0_19 Depth 3
                                        ;         Child Loop BB0_21 Depth 4
                                        ;         Child Loop BB0_28 Depth 4
                                        ;           Child Loop BB0_30 Depth 5
                                        ;           Child Loop BB0_36 Depth 5
                                        ;     Child Loop BB0_43 Depth 2
                                        ;       Child Loop BB0_47 Depth 3
                                        ;       Child Loop BB0_55 Depth 3
                                        ;         Child Loop BB0_57 Depth 4
                                        ;       Child Loop BB0_65 Depth 3
	v_mul_lo_u32 v25, v3, s53
                                        ; implicit-def: $sgpr12
	s_and_saveexec_b64 s[10:11], s[6:7]
	s_xor_b64 s[10:11], exec, s[10:11]
; %bb.8:                                ;   in Loop: Header=BB0_7 Depth=1
	v_mul_lo_u32 v25, v3, s53
	s_mov_b32 s12, 0
; %bb.9:                                ;   in Loop: Header=BB0_7 Depth=1
	s_or_saveexec_b64 s[38:39], s[10:11]
	v_mov_b32_e32 v26, s12
	s_xor_b64 exec, exec, s[38:39]
	s_cbranch_execz .LBB0_40
; %bb.10:                               ;   in Loop: Header=BB0_7 Depth=1
	s_mov_b64 s[40:41], 0
	v_mov_b32_e32 v26, 0
	v_mov_b32_e32 v6, v21
	s_branch .LBB0_12
.LBB0_11:                               ;   in Loop: Header=BB0_12 Depth=2
	s_or_b64 exec, exec, s[42:43]
	v_add_u32_e32 v6, 1, v6
	v_cmp_le_i32_e32 vcc, s52, v6
	s_xor_b64 s[10:11], s[10:11], -1
	s_or_b64 s[10:11], s[10:11], vcc
	s_and_b64 s[10:11], exec, s[10:11]
	s_or_b64 s[40:41], s[10:11], s[40:41]
	s_andn2_b64 exec, exec, s[40:41]
	s_cbranch_execz .LBB0_39
.LBB0_12:                               ;   Parent Loop BB0_7 Depth=1
                                        ; =>  This Loop Header: Depth=2
                                        ;       Child Loop BB0_15 Depth 3
                                        ;       Child Loop BB0_19 Depth 3
                                        ;         Child Loop BB0_21 Depth 4
                                        ;         Child Loop BB0_28 Depth 4
                                        ;           Child Loop BB0_30 Depth 5
                                        ;           Child Loop BB0_36 Depth 5
	v_ashrrev_i32_e32 v7, 31, v6
	v_lshlrev_b64 v[8:9], 2, v[6:7]
	v_add_co_u32_e32 v8, vcc, s26, v8
	v_addc_co_u32_e32 v9, vcc, v20, v9, vcc
	global_load_dword v7, v[8:9], off
	v_mov_b32_e32 v13, s17
	s_waitcnt vmcnt(0)
	v_subrev_u32_e32 v8, s33, v7
	v_ashrrev_i32_e32 v9, 31, v8
	v_lshlrev_b64 v[10:11], 2, v[8:9]
	v_add_co_u32_e32 v12, vcc, s16, v10
	v_addc_co_u32_e32 v13, vcc, v13, v11, vcc
	global_load_dword v27, v[12:13], off
	s_waitcnt vmcnt(0)
	v_cmp_ne_u32_e64 s[10:11], -1, v27
	s_and_saveexec_b64 s[42:43], s[10:11]
	s_cbranch_execz .LBB0_11
; %bb.13:                               ;   in Loop: Header=BB0_12 Depth=2
	v_add_co_u32_e32 v12, vcc, s24, v10
	v_addc_co_u32_e32 v13, vcc, v1, v11, vcc
	global_load_dword v9, v[12:13], off
	v_mov_b32_e32 v12, s19
	v_add_co_u32_e32 v10, vcc, s18, v10
	v_addc_co_u32_e32 v11, vcc, v12, v11, vcc
	global_load_dword v12, v[10:11], off glc
	s_waitcnt vmcnt(0)
	v_cmp_eq_u32_e32 vcc, 0, v12
	s_and_saveexec_b64 s[12:13], vcc
	s_cbranch_execz .LBB0_16
; %bb.14:                               ;   in Loop: Header=BB0_12 Depth=2
	s_mov_b64 s[44:45], 0
.LBB0_15:                               ;   Parent Loop BB0_7 Depth=1
                                        ;     Parent Loop BB0_12 Depth=2
                                        ; =>    This Inner Loop Header: Depth=3
	global_load_dword v12, v[10:11], off glc
	s_waitcnt vmcnt(0)
	v_cmp_ne_u32_e32 vcc, 0, v12
	s_or_b64 s[44:45], vcc, s[44:45]
	s_andn2_b64 exec, exec, s[44:45]
	s_cbranch_execnz .LBB0_15
.LBB0_16:                               ;   in Loop: Header=BB0_12 Depth=2
	s_or_b64 exec, exec, s[12:13]
	v_subrev_u32_e32 v28, s33, v9
	v_mul_lo_u32 v29, v8, s53
	v_mul_lo_u32 v8, v6, s25
	;; [unrolled: 1-line block ×3, first 2 shown]
	v_add_u32_e32 v31, v8, v3
	v_add_u32_e32 v32, v8, v25
	v_cmp_le_i32_e64 s[12:13], v28, v27
	v_mul_lo_u32 v33, s25, v28
	s_mov_b32 s55, 0
	buffer_wbinvl1_vol
	s_branch .LBB0_19
.LBB0_17:                               ;   in Loop: Header=BB0_19 Depth=3
	s_or_b64 exec, exec, s[46:47]
.LBB0_18:                               ;   in Loop: Header=BB0_19 Depth=3
	s_or_b64 exec, exec, s[44:45]
	s_waitcnt vmcnt(0)
	v_sub_f32_e32 v10, v35, v36
	v_div_scale_f32 v11, s[44:45], v34, v34, v10
	v_rcp_f32_e32 v12, v11
	v_div_scale_f32 v13, vcc, v10, v34, v10
	s_add_i32 s55, s55, 1
	v_fma_f32 v14, -v11, v12, 1.0
	v_fmac_f32_e32 v12, v14, v12
	v_mul_f32_e32 v14, v13, v12
	v_fma_f32 v15, -v11, v14, v13
	v_fmac_f32_e32 v14, v15, v12
	v_fma_f32 v11, -v11, v14, v13
	v_div_fmas_f32 v11, v11, v12, v14
	v_div_fixup_f32 v10, v11, v34, v10
	v_fmac_f32_e32 v26, v10, v10
	s_cmp_eq_u32 s55, s53
	v_add_u32_e32 v33, 1, v33
	global_store_dword v[8:9], v10, off
	s_cbranch_scc1 .LBB0_11
.LBB0_19:                               ;   Parent Loop BB0_7 Depth=1
                                        ;     Parent Loop BB0_12 Depth=2
                                        ; =>    This Loop Header: Depth=3
                                        ;         Child Loop BB0_21 Depth 4
                                        ;         Child Loop BB0_28 Depth 4
                                        ;           Child Loop BB0_30 Depth 5
                                        ;           Child Loop BB0_36 Depth 5
	s_mul_i32 s56, s55, s53
	s_add_i32 s44, s56, s55
	v_add_u32_e32 v8, s44, v30
	v_ashrrev_i32_e32 v9, 31, v8
	v_lshlrev_b64 v[8:9], 2, v[8:9]
	v_mov_b32_e32 v10, s31
	v_add_co_u32_e32 v8, vcc, s30, v8
	v_addc_co_u32_e32 v9, vcc, v10, v9, vcc
	global_load_dword v8, v[8:9], off
	s_waitcnt vmcnt(0)
	v_cmp_neq_f32_e32 vcc, 0, v8
	s_or_b64 s[44:45], vcc, s[0:1]
	v_cndmask_b32_e32 v34, 1.0, v8, vcc
	s_xor_b64 s[46:47], s[44:45], -1
	s_and_saveexec_b64 s[44:45], s[46:47]
	s_cbranch_execz .LBB0_25
; %bb.20:                               ;   in Loop: Header=BB0_19 Depth=3
	s_mov_b64 s[46:47], exec
	s_brev_b32 s48, -2
.LBB0_21:                               ;   Parent Loop BB0_7 Depth=1
                                        ;     Parent Loop BB0_12 Depth=2
                                        ;       Parent Loop BB0_19 Depth=3
                                        ; =>      This Inner Loop Header: Depth=4
	s_ff1_i32_b64 s49, s[46:47]
	v_readlane_b32 s57, v7, s49
	s_lshl_b64 s[50:51], 1, s49
	s_min_i32 s48, s48, s57
	s_andn2_b64 s[46:47], s[46:47], s[50:51]
	s_cmp_lg_u64 s[46:47], 0
	s_cbranch_scc1 .LBB0_21
; %bb.22:                               ;   in Loop: Header=BB0_19 Depth=3
	v_mbcnt_lo_u32_b32 v8, exec_lo, 0
	v_mbcnt_hi_u32_b32 v8, exec_hi, v8
	v_cmp_eq_u32_e32 vcc, 0, v8
	s_and_saveexec_b64 s[46:47], vcc
	s_xor_b64 s[46:47], exec, s[46:47]
	s_cbranch_execz .LBB0_24
; %bb.23:                               ;   in Loop: Header=BB0_19 Depth=3
	v_mov_b32_e32 v8, s48
	global_atomic_smin v17, v8, s[22:23]
.LBB0_24:                               ;   in Loop: Header=BB0_19 Depth=3
	s_or_b64 exec, exec, s[46:47]
	v_mov_b32_e32 v34, 1.0
.LBB0_25:                               ;   in Loop: Header=BB0_19 Depth=3
	s_or_b64 exec, exec, s[44:45]
	v_add_u32_e32 v8, s56, v31
	v_add_u32_e32 v9, s55, v32
	v_cndmask_b32_e64 v8, v8, v9, s[2:3]
	v_ashrrev_i32_e32 v9, 31, v8
	v_lshlrev_b64 v[8:9], 2, v[8:9]
	v_mov_b32_e32 v10, s31
	v_add_co_u32_e32 v8, vcc, s30, v8
	v_addc_co_u32_e32 v9, vcc, v10, v9, vcc
	global_load_dword v35, v[8:9], off
	v_mov_b32_e32 v36, 0
	s_and_saveexec_b64 s[44:45], s[12:13]
	s_cbranch_execz .LBB0_18
; %bb.26:                               ;   in Loop: Header=BB0_19 Depth=3
	global_load_dword v37, v[4:5], off
	v_add_u32_e32 v38, s55, v29
	s_mov_b64 s[46:47], 0
	v_mov_b32_e32 v36, 0
	v_mov_b32_e32 v39, v33
	;; [unrolled: 1-line block ×3, first 2 shown]
	s_branch .LBB0_28
.LBB0_27:                               ;   in Loop: Header=BB0_28 Depth=4
	s_or_b64 exec, exec, s[48:49]
	v_add_u32_e32 v11, 1, v10
	v_cmp_ge_i32_e32 vcc, v10, v27
	v_add_u32_e32 v39, s25, v39
	s_or_b64 s[46:47], vcc, s[46:47]
	v_mov_b32_e32 v10, v11
	s_andn2_b64 exec, exec, s[46:47]
	s_cbranch_execz .LBB0_17
.LBB0_28:                               ;   Parent Loop BB0_7 Depth=1
                                        ;     Parent Loop BB0_12 Depth=2
                                        ;       Parent Loop BB0_19 Depth=3
                                        ; =>      This Loop Header: Depth=4
                                        ;           Child Loop BB0_30 Depth 5
                                        ;           Child Loop BB0_36 Depth 5
	v_ashrrev_i32_e32 v11, 31, v10
	v_lshlrev_b64 v[12:13], 2, v[10:11]
	v_mov_b32_e32 v11, s27
	v_add_co_u32_e32 v12, vcc, s26, v12
	v_addc_co_u32_e32 v13, vcc, v11, v13, vcc
	global_load_dword v11, v[12:13], off
	s_waitcnt vmcnt(1)
	v_mov_b32_e32 v13, v37
	v_mov_b32_e32 v12, v2
	s_and_saveexec_b64 s[48:49], s[8:9]
	s_cbranch_execz .LBB0_32
; %bb.29:                               ;   in Loop: Header=BB0_28 Depth=4
	s_mov_b64 s[50:51], 0
	v_mov_b32_e32 v13, v37
	v_mov_b32_e32 v12, v2
	v_mov_b32_e32 v14, v22
	v_mov_b32_e32 v15, v21
.LBB0_30:                               ;   Parent Loop BB0_7 Depth=1
                                        ;     Parent Loop BB0_12 Depth=2
                                        ;       Parent Loop BB0_19 Depth=3
                                        ;         Parent Loop BB0_28 Depth=4
                                        ; =>        This Inner Loop Header: Depth=5
	v_add_u32_e32 v40, 1, v12
	s_waitcnt vmcnt(0)
	v_cmp_lt_i32_e32 vcc, v13, v11
	v_cndmask_b32_e32 v15, v15, v40, vcc
	v_cndmask_b32_e32 v14, v12, v14, vcc
	v_add_u32_e32 v12, v14, v15
	v_ashrrev_i32_e32 v12, 1, v12
	v_ashrrev_i32_e32 v13, 31, v12
	v_lshlrev_b64 v[40:41], 2, v[12:13]
	v_mov_b32_e32 v13, s27
	v_add_co_u32_e32 v40, vcc, s26, v40
	v_addc_co_u32_e32 v41, vcc, v13, v41, vcc
	global_load_dword v13, v[40:41], off
	v_cmp_ge_i32_e32 vcc, v15, v14
	s_or_b64 s[50:51], vcc, s[50:51]
	s_andn2_b64 exec, exec, s[50:51]
	s_cbranch_execnz .LBB0_30
; %bb.31:                               ;   in Loop: Header=BB0_28 Depth=4
	s_or_b64 exec, exec, s[50:51]
.LBB0_32:                               ;   in Loop: Header=BB0_28 Depth=4
	s_or_b64 exec, exec, s[48:49]
	s_waitcnt vmcnt(0)
	v_cmp_eq_u32_e32 vcc, v13, v11
	s_and_saveexec_b64 s[48:49], vcc
	s_cbranch_execz .LBB0_27
; %bb.33:                               ;   in Loop: Header=BB0_28 Depth=4
	v_subrev_u32_e32 v11, s33, v11
	v_mul_lo_u32 v13, v10, s25
	v_mul_lo_u32 v12, v12, s25
	;; [unrolled: 1-line block ×3, first 2 shown]
	v_add_u32_e32 v40, s56, v13
	v_add_u32_e32 v41, v12, v25
	;; [unrolled: 1-line block ×3, first 2 shown]
	s_mov_b32 s57, 0
	v_mov_b32_e32 v43, v39
	s_branch .LBB0_36
.LBB0_34:                               ;   in Loop: Header=BB0_36 Depth=5
	v_ashrrev_i32_e32 v15, 31, v14
	v_lshlrev_b64 v[14:15], 2, v[14:15]
	v_mov_b32_e32 v44, s31
	v_add_co_u32_e32 v14, vcc, s30, v14
	v_ashrrev_i32_e32 v13, 31, v12
	v_addc_co_u32_e32 v15, vcc, v44, v15, vcc
	v_lshlrev_b64 v[12:13], 2, v[12:13]
	v_add_co_u32_e32 v12, vcc, s30, v12
	v_addc_co_u32_e32 v13, vcc, v44, v13, vcc
	global_load_dword v14, v[14:15], off
	s_nop 0
	global_load_dword v12, v[12:13], off
	s_waitcnt vmcnt(0)
	v_fmac_f32_e32 v36, v14, v12
.LBB0_35:                               ;   in Loop: Header=BB0_36 Depth=5
	s_or_b64 exec, exec, s[50:51]
	s_add_i32 s57, s57, 1
	v_add_u32_e32 v42, s53, v42
	s_cmp_lg_u32 s53, s57
	v_add_u32_e32 v43, s53, v43
	s_cbranch_scc0 .LBB0_27
.LBB0_36:                               ;   Parent Loop BB0_7 Depth=1
                                        ;     Parent Loop BB0_12 Depth=2
                                        ;       Parent Loop BB0_19 Depth=3
                                        ;         Parent Loop BB0_28 Depth=4
                                        ; =>        This Inner Loop Header: Depth=5
	v_add_u32_e32 v12, s57, v11
	v_cmp_lt_i32_e32 vcc, v12, v38
	s_and_saveexec_b64 s[50:51], vcc
	s_cbranch_execz .LBB0_35
; %bb.37:                               ;   in Loop: Header=BB0_36 Depth=5
	s_andn2_b64 vcc, exec, s[2:3]
	v_mov_b32_e32 v12, v42
	v_mov_b32_e32 v14, v43
	s_cbranch_vccnz .LBB0_34
; %bb.38:                               ;   in Loop: Header=BB0_36 Depth=5
	v_add_u32_e32 v14, s57, v40
	v_add_u32_e32 v12, s57, v41
	s_branch .LBB0_34
.LBB0_39:                               ;   in Loop: Header=BB0_7 Depth=1
	s_or_b64 exec, exec, s[40:41]
.LBB0_40:                               ;   in Loop: Header=BB0_7 Depth=1
	s_or_b64 exec, exec, s[38:39]
	v_add_u32_e32 v12, v25, v19
	s_mov_b32 s42, 0
	v_mov_b32_e32 v13, v23
	s_branch .LBB0_43
.LBB0_41:                               ;   in Loop: Header=BB0_43 Depth=2
	s_waitcnt vmcnt(0)
	v_sub_f32_e32 v8, v27, v28
	v_div_scale_f32 v9, s[12:13], v15, v15, v8
	v_rcp_f32_e32 v10, v9
	v_div_scale_f32 v11, vcc, v8, v15, v8
	v_fma_f32 v14, -v9, v10, 1.0
	v_fmac_f32_e32 v10, v14, v10
	v_mul_f32_e32 v14, v11, v10
	v_fma_f32 v27, -v9, v14, v11
	v_fmac_f32_e32 v14, v27, v10
	v_fma_f32 v9, -v9, v14, v11
	v_div_fmas_f32 v9, v9, v10, v14
	v_div_fixup_f32 v8, v9, v15, v8
	v_fmac_f32_e32 v26, v8, v8
	global_store_dword v[6:7], v8, off
.LBB0_42:                               ;   in Loop: Header=BB0_43 Depth=2
	s_or_b64 exec, exec, s[10:11]
	s_add_i32 s42, s42, 1
	s_cmp_eq_u32 s42, s53
	v_add_u32_e32 v13, 1, v13
	s_waitcnt vmcnt(0)
	buffer_wbinvl1_vol
	s_cbranch_scc1 .LBB0_6
.LBB0_43:                               ;   Parent Loop BB0_7 Depth=1
                                        ; =>  This Loop Header: Depth=2
                                        ;       Child Loop BB0_47 Depth 3
                                        ;       Child Loop BB0_55 Depth 3
                                        ;         Child Loop BB0_57 Depth 4
                                        ;       Child Loop BB0_65 Depth 3
	s_mul_i32 s43, s42, s53
	v_add_u32_e32 v14, s43, v19
	v_add_u32_e32 v6, s42, v14
	v_ashrrev_i32_e32 v7, 31, v6
	v_cmp_eq_u32_e32 vcc, s42, v3
	v_lshlrev_b64 v[6:7], 2, v[6:7]
	s_and_saveexec_b64 s[12:13], vcc
	s_cbranch_execz .LBB0_45
; %bb.44:                               ;   in Loop: Header=BB0_43 Depth=2
	v_mov_b32_e32 v9, s31
	v_add_co_u32_e32 v8, vcc, s30, v6
	v_addc_co_u32_e32 v9, vcc, v9, v7, vcc
	global_load_dword v10, v[8:9], off
	s_waitcnt vmcnt(0)
	v_sub_f32_e32 v10, v10, v26
	v_cmp_gt_f32_e32 vcc, 0, v10
	v_cndmask_b32_e64 v10, v10, -v10, vcc
	v_mul_f32_e32 v11, 0x4f800000, v10
	v_cmp_gt_f32_e32 vcc, s54, v10
	v_cndmask_b32_e32 v10, v10, v11, vcc
	v_sqrt_f32_e32 v11, v10
	v_add_u32_e32 v15, -1, v11
	v_add_u32_e32 v27, 1, v11
	v_fma_f32 v28, -v15, v11, v10
	v_fma_f32 v29, -v27, v11, v10
	v_cmp_ge_f32_e64 s[10:11], 0, v28
	v_cndmask_b32_e64 v11, v11, v15, s[10:11]
	v_cmp_lt_f32_e64 s[10:11], 0, v29
	v_cndmask_b32_e64 v11, v11, v27, s[10:11]
	v_mul_f32_e32 v15, 0x37800000, v11
	v_cndmask_b32_e32 v11, v11, v15, vcc
	v_cmp_class_f32_e32 vcc, v10, v18
	v_cndmask_b32_e32 v10, v11, v10, vcc
	global_store_dword v[8:9], v10, off
.LBB0_45:                               ;   in Loop: Header=BB0_43 Depth=2
	s_or_b64 exec, exec, s[12:13]
	v_mov_b32_e32 v8, s31
	v_add_co_u32_e32 v6, vcc, s30, v6
	v_addc_co_u32_e32 v7, vcc, v8, v7, vcc
	s_waitcnt vmcnt(0)
	buffer_wbinvl1_vol
	global_load_dword v6, v[6:7], off
	s_waitcnt vmcnt(0)
	v_cmp_neq_f32_e32 vcc, 0, v6
	s_or_b64 s[10:11], vcc, s[0:1]
	v_cndmask_b32_e32 v15, 1.0, v6, vcc
	s_xor_b64 s[12:13], s[10:11], -1
	s_and_saveexec_b64 s[10:11], s[12:13]
	s_cbranch_execz .LBB0_51
; %bb.46:                               ;   in Loop: Header=BB0_43 Depth=2
	s_mov_b64 s[12:13], exec
	s_brev_b32 s38, -2
.LBB0_47:                               ;   Parent Loop BB0_7 Depth=1
                                        ;     Parent Loop BB0_43 Depth=2
                                        ; =>    This Inner Loop Header: Depth=3
	s_ff1_i32_b64 s39, s[12:13]
	v_readlane_b32 s44, v16, s39
	s_lshl_b64 s[40:41], 1, s39
	s_min_i32 s38, s38, s44
	s_andn2_b64 s[12:13], s[12:13], s[40:41]
	s_cmp_lg_u64 s[12:13], 0
	s_cbranch_scc1 .LBB0_47
; %bb.48:                               ;   in Loop: Header=BB0_43 Depth=2
	v_mbcnt_lo_u32_b32 v6, exec_lo, 0
	v_mbcnt_hi_u32_b32 v6, exec_hi, v6
	v_cmp_eq_u32_e32 vcc, 0, v6
	s_and_saveexec_b64 s[12:13], vcc
	s_xor_b64 s[12:13], exec, s[12:13]
	s_cbranch_execz .LBB0_50
; %bb.49:                               ;   in Loop: Header=BB0_43 Depth=2
	v_mov_b32_e32 v6, s38
	global_atomic_smin v17, v6, s[22:23]
.LBB0_50:                               ;   in Loop: Header=BB0_43 Depth=2
	s_or_b64 exec, exec, s[12:13]
	v_mov_b32_e32 v15, 1.0
.LBB0_51:                               ;   in Loop: Header=BB0_43 Depth=2
	s_or_b64 exec, exec, s[10:11]
	v_cmp_lt_i32_e32 vcc, s42, v3
	s_and_saveexec_b64 s[10:11], vcc
	s_cbranch_execz .LBB0_42
; %bb.52:                               ;   in Loop: Header=BB0_43 Depth=2
	v_add_u32_e32 v6, v14, v3
	v_add_u32_e32 v7, s42, v12
	v_cndmask_b32_e64 v6, v6, v7, s[2:3]
	v_ashrrev_i32_e32 v7, 31, v6
	v_lshlrev_b64 v[6:7], 2, v[6:7]
	v_mov_b32_e32 v8, s31
	v_add_co_u32_e32 v6, vcc, s30, v6
	v_addc_co_u32_e32 v7, vcc, v8, v7, vcc
	global_load_dword v27, v[6:7], off
	v_mov_b32_e32 v28, 0
	s_and_saveexec_b64 s[12:13], s[4:5]
	s_cbranch_execz .LBB0_62
; %bb.53:                               ;   in Loop: Header=BB0_43 Depth=2
	s_mov_b64 s[38:39], 0
	v_mov_b32_e32 v28, 0
	v_mov_b32_e32 v29, v13
	;; [unrolled: 1-line block ×4, first 2 shown]
	s_branch .LBB0_55
.LBB0_54:                               ;   in Loop: Header=BB0_55 Depth=3
	v_add_u32_e32 v31, 1, v31
	v_cmp_le_i32_e32 vcc, s52, v31
	v_add_u32_e32 v30, s25, v30
	s_or_b64 s[38:39], vcc, s[38:39]
	v_add_u32_e32 v29, s25, v29
	s_andn2_b64 exec, exec, s[38:39]
	s_cbranch_execz .LBB0_61
.LBB0_55:                               ;   Parent Loop BB0_7 Depth=1
                                        ;     Parent Loop BB0_43 Depth=2
                                        ; =>    This Loop Header: Depth=3
                                        ;         Child Loop BB0_57 Depth 4
	v_mul_lo_u32 v8, v31, s25
	v_add_u32_e32 v32, s43, v8
	v_add_u32_e32 v33, v8, v25
	s_mov_b32 s44, 0
	s_mov_b32 s45, s53
	;; [unrolled: 1-line block ×3, first 2 shown]
	s_branch .LBB0_57
.LBB0_56:                               ;   in Loop: Header=BB0_57 Depth=4
	v_ashrrev_i32_e32 v11, 31, v10
	v_lshlrev_b64 v[10:11], 2, v[10:11]
	v_mov_b32_e32 v34, s31
	v_add_co_u32_e32 v10, vcc, s30, v10
	v_ashrrev_i32_e32 v9, 31, v8
	v_addc_co_u32_e32 v11, vcc, v34, v11, vcc
	v_lshlrev_b64 v[8:9], 2, v[8:9]
	v_add_co_u32_e32 v8, vcc, s30, v8
	v_addc_co_u32_e32 v9, vcc, v34, v9, vcc
	global_load_dword v34, v[10:11], off
	global_load_dword v35, v[8:9], off
	s_add_i32 s46, s46, 1
	s_add_i32 s44, s44, s53
	s_add_i32 s45, s45, -1
	s_cmp_eq_u32 s45, 0
	s_waitcnt vmcnt(0)
	v_fmac_f32_e32 v28, v34, v35
	s_cbranch_scc1 .LBB0_54
.LBB0_57:                               ;   Parent Loop BB0_7 Depth=1
                                        ;     Parent Loop BB0_43 Depth=2
                                        ;       Parent Loop BB0_55 Depth=3
                                        ; =>      This Inner Loop Header: Depth=4
	s_and_b64 vcc, exec, s[36:37]
	s_cbranch_vccz .LBB0_59
; %bb.58:                               ;   in Loop: Header=BB0_57 Depth=4
	v_add_u32_e32 v10, s44, v29
	v_add_u32_e32 v8, s44, v30
	s_cbranch_execnz .LBB0_56
	s_branch .LBB0_60
.LBB0_59:                               ;   in Loop: Header=BB0_57 Depth=4
                                        ; implicit-def: $vgpr10
                                        ; implicit-def: $vgpr8
.LBB0_60:                               ;   in Loop: Header=BB0_57 Depth=4
	v_add_u32_e32 v10, s46, v32
	v_add_u32_e32 v8, s46, v33
	s_branch .LBB0_56
.LBB0_61:                               ;   in Loop: Header=BB0_43 Depth=2
	s_or_b64 exec, exec, s[38:39]
.LBB0_62:                               ;   in Loop: Header=BB0_43 Depth=2
	s_or_b64 exec, exec, s[12:13]
	s_cmp_eq_u32 s42, 0
	s_cbranch_scc1 .LBB0_41
; %bb.63:                               ;   in Loop: Header=BB0_43 Depth=2
	s_mov_b32 s38, 0
	v_mov_b32_e32 v29, v19
	s_branch .LBB0_65
.LBB0_64:                               ;   in Loop: Header=BB0_65 Depth=3
	v_ashrrev_i32_e32 v11, 31, v10
	v_lshlrev_b64 v[10:11], 2, v[10:11]
	v_mov_b32_e32 v30, s31
	v_add_co_u32_e32 v10, vcc, s30, v10
	v_ashrrev_i32_e32 v9, 31, v8
	v_addc_co_u32_e32 v11, vcc, v30, v11, vcc
	v_lshlrev_b64 v[8:9], 2, v[8:9]
	v_add_co_u32_e32 v8, vcc, s30, v8
	v_addc_co_u32_e32 v9, vcc, v30, v9, vcc
	global_load_dword v30, v[10:11], off
	global_load_dword v31, v[8:9], off
	s_add_i32 s38, s38, 1
	s_cmp_ge_u32 s38, s42
	v_add_u32_e32 v29, s53, v29
	s_waitcnt vmcnt(0)
	v_fmac_f32_e32 v28, v30, v31
	s_cbranch_scc1 .LBB0_41
.LBB0_65:                               ;   Parent Loop BB0_7 Depth=1
                                        ;     Parent Loop BB0_43 Depth=2
                                        ; =>    This Inner Loop Header: Depth=3
	s_and_b64 vcc, exec, s[36:37]
	s_cbranch_vccz .LBB0_67
; %bb.66:                               ;   in Loop: Header=BB0_65 Depth=3
	v_add_u32_e32 v10, s42, v29
	v_add_u32_e32 v8, v3, v29
	s_cbranch_execnz .LBB0_64
	s_branch .LBB0_68
.LBB0_67:                               ;   in Loop: Header=BB0_65 Depth=3
                                        ; implicit-def: $vgpr10
                                        ; implicit-def: $vgpr8
.LBB0_68:                               ;   in Loop: Header=BB0_65 Depth=3
	v_add_u32_e32 v10, s38, v14
	v_add_u32_e32 v8, s38, v12
	s_branch .LBB0_64
.LBB0_69:
	s_or_b64 exec, exec, s[28:29]
	v_cmp_eq_u32_e32 vcc, 31, v0
	s_and_b64 s[0:1], vcc, exec
                                        ; implicit-def: $vgpr0
                                        ; implicit-def: $vgpr2_vgpr3
	s_andn2_saveexec_b64 s[2:3], s[20:21]
	s_cbranch_execz .LBB0_2
.LBB0_70:
	v_cmp_eq_u32_e32 vcc, 31, v0
	s_mov_b64 s[6:7], s[0:1]
	s_and_saveexec_b64 s[4:5], vcc
	s_cbranch_execz .LBB0_76
; %bb.71:
	s_mov_b64 s[6:7], exec
	v_add_u32_e32 v0, s33, v2
	s_brev_b32 s8, -2
.LBB0_72:                               ; =>This Inner Loop Header: Depth=1
	s_ff1_i32_b64 s9, s[6:7]
	v_readlane_b32 s12, v0, s9
	s_lshl_b64 s[10:11], 1, s9
	s_min_i32 s8, s8, s12
	s_andn2_b64 s[6:7], s[6:7], s[10:11]
	s_cmp_lg_u64 s[6:7], 0
	s_cbranch_scc1 .LBB0_72
; %bb.73:
	v_mbcnt_lo_u32_b32 v0, exec_lo, 0
	v_mbcnt_hi_u32_b32 v0, exec_hi, v0
	v_cmp_eq_u32_e32 vcc, 0, v0
	s_and_saveexec_b64 s[6:7], vcc
	s_xor_b64 s[6:7], exec, s[6:7]
	s_cbranch_execz .LBB0_75
; %bb.74:
	v_mov_b32_e32 v0, 0
	v_mov_b32_e32 v1, s8
	global_atomic_smin v0, v1, s[22:23]
.LBB0_75:
	s_or_b64 exec, exec, s[6:7]
	s_or_b64 s[6:7], s[0:1], exec
.LBB0_76:
	s_or_b64 exec, exec, s[4:5]
	s_andn2_b64 s[0:1], s[0:1], exec
	s_and_b64 s[4:5], s[6:7], exec
	s_or_b64 s[0:1], s[0:1], s[4:5]
	s_or_b64 exec, exec, s[2:3]
	s_and_saveexec_b64 s[2:3], s[0:1]
	s_cbranch_execz .LBB0_3
.LBB0_77:
	v_lshlrev_b64 v[0:1], 2, s[14:15]
	v_mov_b32_e32 v2, s19
	v_add_co_u32_e32 v0, vcc, s18, v0
	v_addc_co_u32_e32 v1, vcc, v2, v1, vcc
	v_mov_b32_e32 v2, 1
	s_waitcnt vmcnt(0)
	global_store_dword v[0:1], v2, off
	s_endpgm
	.section	.rodata,"a",@progbits
	.p2align	6, 0x0
	.amdhsa_kernel _ZN9rocsparseL23bsric0_binsearch_kernelILj32ELj32ELb0EfEEv20rocsparse_direction_iiPKiS3_PT2_S3_PiS3_S6_21rocsparse_index_base_
		.amdhsa_group_segment_fixed_size 0
		.amdhsa_private_segment_fixed_size 0
		.amdhsa_kernarg_size 76
		.amdhsa_user_sgpr_count 6
		.amdhsa_user_sgpr_private_segment_buffer 1
		.amdhsa_user_sgpr_dispatch_ptr 0
		.amdhsa_user_sgpr_queue_ptr 0
		.amdhsa_user_sgpr_kernarg_segment_ptr 1
		.amdhsa_user_sgpr_dispatch_id 0
		.amdhsa_user_sgpr_flat_scratch_init 0
		.amdhsa_user_sgpr_kernarg_preload_length 0
		.amdhsa_user_sgpr_kernarg_preload_offset 0
		.amdhsa_user_sgpr_private_segment_size 0
		.amdhsa_uses_dynamic_stack 0
		.amdhsa_system_sgpr_private_segment_wavefront_offset 0
		.amdhsa_system_sgpr_workgroup_id_x 1
		.amdhsa_system_sgpr_workgroup_id_y 0
		.amdhsa_system_sgpr_workgroup_id_z 0
		.amdhsa_system_sgpr_workgroup_info 0
		.amdhsa_system_vgpr_workitem_id 0
		.amdhsa_next_free_vgpr 45
		.amdhsa_next_free_sgpr 58
		.amdhsa_accum_offset 48
		.amdhsa_reserve_vcc 1
		.amdhsa_reserve_flat_scratch 0
		.amdhsa_float_round_mode_32 0
		.amdhsa_float_round_mode_16_64 0
		.amdhsa_float_denorm_mode_32 3
		.amdhsa_float_denorm_mode_16_64 3
		.amdhsa_dx10_clamp 1
		.amdhsa_ieee_mode 1
		.amdhsa_fp16_overflow 0
		.amdhsa_tg_split 0
		.amdhsa_exception_fp_ieee_invalid_op 0
		.amdhsa_exception_fp_denorm_src 0
		.amdhsa_exception_fp_ieee_div_zero 0
		.amdhsa_exception_fp_ieee_overflow 0
		.amdhsa_exception_fp_ieee_underflow 0
		.amdhsa_exception_fp_ieee_inexact 0
		.amdhsa_exception_int_div_zero 0
	.end_amdhsa_kernel
	.section	.text._ZN9rocsparseL23bsric0_binsearch_kernelILj32ELj32ELb0EfEEv20rocsparse_direction_iiPKiS3_PT2_S3_PiS3_S6_21rocsparse_index_base_,"axG",@progbits,_ZN9rocsparseL23bsric0_binsearch_kernelILj32ELj32ELb0EfEEv20rocsparse_direction_iiPKiS3_PT2_S3_PiS3_S6_21rocsparse_index_base_,comdat
.Lfunc_end0:
	.size	_ZN9rocsparseL23bsric0_binsearch_kernelILj32ELj32ELb0EfEEv20rocsparse_direction_iiPKiS3_PT2_S3_PiS3_S6_21rocsparse_index_base_, .Lfunc_end0-_ZN9rocsparseL23bsric0_binsearch_kernelILj32ELj32ELb0EfEEv20rocsparse_direction_iiPKiS3_PT2_S3_PiS3_S6_21rocsparse_index_base_
                                        ; -- End function
	.section	.AMDGPU.csdata,"",@progbits
; Kernel info:
; codeLenInByte = 2628
; NumSgprs: 62
; NumVgprs: 45
; NumAgprs: 0
; TotalNumVgprs: 45
; ScratchSize: 0
; MemoryBound: 0
; FloatMode: 240
; IeeeMode: 1
; LDSByteSize: 0 bytes/workgroup (compile time only)
; SGPRBlocks: 7
; VGPRBlocks: 5
; NumSGPRsForWavesPerEU: 62
; NumVGPRsForWavesPerEU: 45
; AccumOffset: 48
; Occupancy: 8
; WaveLimiterHint : 1
; COMPUTE_PGM_RSRC2:SCRATCH_EN: 0
; COMPUTE_PGM_RSRC2:USER_SGPR: 6
; COMPUTE_PGM_RSRC2:TRAP_HANDLER: 0
; COMPUTE_PGM_RSRC2:TGID_X_EN: 1
; COMPUTE_PGM_RSRC2:TGID_Y_EN: 0
; COMPUTE_PGM_RSRC2:TGID_Z_EN: 0
; COMPUTE_PGM_RSRC2:TIDIG_COMP_CNT: 0
; COMPUTE_PGM_RSRC3_GFX90A:ACCUM_OFFSET: 11
; COMPUTE_PGM_RSRC3_GFX90A:TG_SPLIT: 0
	.section	.text._ZN9rocsparseL23bsric0_binsearch_kernelILj64ELj64ELb1EfEEv20rocsparse_direction_iiPKiS3_PT2_S3_PiS3_S6_21rocsparse_index_base_,"axG",@progbits,_ZN9rocsparseL23bsric0_binsearch_kernelILj64ELj64ELb1EfEEv20rocsparse_direction_iiPKiS3_PT2_S3_PiS3_S6_21rocsparse_index_base_,comdat
	.globl	_ZN9rocsparseL23bsric0_binsearch_kernelILj64ELj64ELb1EfEEv20rocsparse_direction_iiPKiS3_PT2_S3_PiS3_S6_21rocsparse_index_base_ ; -- Begin function _ZN9rocsparseL23bsric0_binsearch_kernelILj64ELj64ELb1EfEEv20rocsparse_direction_iiPKiS3_PT2_S3_PiS3_S6_21rocsparse_index_base_
	.p2align	8
	.type	_ZN9rocsparseL23bsric0_binsearch_kernelILj64ELj64ELb1EfEEv20rocsparse_direction_iiPKiS3_PT2_S3_PiS3_S6_21rocsparse_index_base_,@function
_ZN9rocsparseL23bsric0_binsearch_kernelILj64ELj64ELb1EfEEv20rocsparse_direction_iiPKiS3_PT2_S3_PiS3_S6_21rocsparse_index_base_: ; @_ZN9rocsparseL23bsric0_binsearch_kernelILj64ELj64ELb1EfEEv20rocsparse_direction_iiPKiS3_PT2_S3_PiS3_S6_21rocsparse_index_base_
; %bb.0:
	s_load_dwordx8 s[16:23], s[4:5], 0x28
	s_ashr_i32 s7, s6, 31
	s_lshl_b64 s[0:1], s[6:7], 2
	s_waitcnt lgkmcnt(0)
	s_add_u32 s0, s20, s0
	s_addc_u32 s1, s21, s1
	s_load_dword s14, s[0:1], 0x0
	s_waitcnt lgkmcnt(0)
	s_ashr_i32 s15, s14, 31
	s_lshl_b64 s[0:1], s[14:15], 2
	s_add_u32 s0, s16, s0
	s_addc_u32 s1, s17, s1
	s_load_dword s52, s[0:1], 0x0
	s_load_dword s33, s[4:5], 0x48
	v_pk_mov_b32 v[2:3], s[14:15], s[14:15] op_sel:[0,1]
	s_mov_b64 s[0:1], 0
	s_waitcnt lgkmcnt(0)
	s_cmp_lg_u32 s52, -1
	s_cselect_b64 s[2:3], -1, 0
	s_and_saveexec_b64 s[6:7], s[2:3]
	s_xor_b64 s[20:21], exec, s[6:7]
	s_cbranch_execnz .LBB1_4
; %bb.1:
	s_andn2_saveexec_b64 s[2:3], s[20:21]
	s_cbranch_execnz .LBB1_72
.LBB1_2:
	s_or_b64 exec, exec, s[2:3]
	s_and_saveexec_b64 s[2:3], s[0:1]
	s_cbranch_execnz .LBB1_79
.LBB1_3:
	s_endpgm
.LBB1_4:
	s_load_dword s53, s[4:5], 0x8
	s_waitcnt lgkmcnt(0)
	v_cmp_gt_i32_e32 vcc, s53, v0
	s_and_saveexec_b64 s[28:29], vcc
	s_cbranch_execz .LBB1_71
; %bb.5:
	s_load_dwordx4 s[24:27], s[4:5], 0x10
	s_load_dword s6, s[4:5], 0x0
	v_lshlrev_b64 v[4:5], 2, s[14:15]
	v_add_u32_e32 v16, s33, v2
	s_load_dwordx2 s[30:31], s[4:5], 0x20
	s_waitcnt lgkmcnt(0)
	v_mov_b32_e32 v1, s25
	v_add_co_u32_e32 v4, vcc, s24, v4
	v_addc_co_u32_e32 v5, vcc, v1, v5, vcc
	global_load_dwordx2 v[4:5], v[4:5], off
	v_mov_b32_e32 v3, s52
	s_mul_i32 s25, s53, s53
	v_mul_lo_u32 v19, v3, s25
	s_cmp_eq_u32 s6, 0
	v_mov_b32_e32 v20, s27
	s_cselect_b64 s[2:3], -1, 0
	s_cmp_lg_u32 s6, 0
	v_cmp_ne_u32_e64 s[0:1], 0, v0
	s_mov_b64 s[34:35], 0
	v_mov_b32_e32 v17, 0
	s_mov_b32 s54, 0xf800000
	v_mov_b32_e32 v18, 0x260
	s_cselect_b64 s[36:37], -1, 0
	s_waitcnt vmcnt(0)
	v_subrev_u32_e32 v21, s33, v4
	v_xad_u32 v22, s33, -1, v5
	v_add_u32_e32 v2, v22, v21
	v_ashrrev_i32_e32 v2, 1, v2
	v_ashrrev_i32_e32 v3, 31, v2
	v_lshlrev_b64 v[4:5], 2, v[2:3]
	v_mul_lo_u32 v23, s25, v21
	v_add_co_u32_e32 v4, vcc, s26, v4
	v_cmp_gt_i32_e64 s[4:5], s52, v21
	v_cmp_le_i32_e64 s[6:7], s52, v21
	v_cmp_lt_i32_e64 s[8:9], v21, v22
	v_add_u32_e32 v24, v23, v0
	v_addc_co_u32_e32 v5, vcc, v20, v5, vcc
	v_mov_b32_e32 v3, v0
	s_branch .LBB1_7
.LBB1_6:                                ;   in Loop: Header=BB1_7 Depth=1
	v_add_u32_e32 v3, 64, v3
	v_cmp_le_i32_e32 vcc, s53, v3
	s_or_b64 s[34:35], vcc, s[34:35]
	v_add_u32_e32 v24, 64, v24
	s_andn2_b64 exec, exec, s[34:35]
	s_cbranch_execz .LBB1_71
.LBB1_7:                                ; =>This Loop Header: Depth=1
                                        ;     Child Loop BB1_12 Depth 2
                                        ;       Child Loop BB1_16 Depth 3
                                        ;         Child Loop BB1_17 Depth 4
                                        ;       Child Loop BB1_21 Depth 3
                                        ;         Child Loop BB1_23 Depth 4
                                        ;         Child Loop BB1_30 Depth 4
                                        ;           Child Loop BB1_32 Depth 5
                                        ;           Child Loop BB1_38 Depth 5
                                        ;     Child Loop BB1_45 Depth 2
                                        ;       Child Loop BB1_49 Depth 3
                                        ;       Child Loop BB1_57 Depth 3
                                        ;         Child Loop BB1_59 Depth 4
                                        ;       Child Loop BB1_67 Depth 3
	v_mul_lo_u32 v25, v3, s53
                                        ; implicit-def: $sgpr12
	s_and_saveexec_b64 s[10:11], s[6:7]
	s_xor_b64 s[10:11], exec, s[10:11]
; %bb.8:                                ;   in Loop: Header=BB1_7 Depth=1
	v_mul_lo_u32 v25, v3, s53
	s_mov_b32 s12, 0
; %bb.9:                                ;   in Loop: Header=BB1_7 Depth=1
	s_or_saveexec_b64 s[38:39], s[10:11]
	v_mov_b32_e32 v26, s12
	s_xor_b64 exec, exec, s[38:39]
	s_cbranch_execz .LBB1_42
; %bb.10:                               ;   in Loop: Header=BB1_7 Depth=1
	s_mov_b64 s[40:41], 0
	v_mov_b32_e32 v26, 0
	v_mov_b32_e32 v6, v21
	s_branch .LBB1_12
.LBB1_11:                               ;   in Loop: Header=BB1_12 Depth=2
	s_or_b64 exec, exec, s[42:43]
	v_add_u32_e32 v6, 1, v6
	v_cmp_le_i32_e32 vcc, s52, v6
	s_xor_b64 s[10:11], s[10:11], -1
	s_or_b64 s[10:11], s[10:11], vcc
	s_and_b64 s[10:11], exec, s[10:11]
	s_or_b64 s[40:41], s[10:11], s[40:41]
	s_andn2_b64 exec, exec, s[40:41]
	s_cbranch_execz .LBB1_41
.LBB1_12:                               ;   Parent Loop BB1_7 Depth=1
                                        ; =>  This Loop Header: Depth=2
                                        ;       Child Loop BB1_16 Depth 3
                                        ;         Child Loop BB1_17 Depth 4
                                        ;       Child Loop BB1_21 Depth 3
                                        ;         Child Loop BB1_23 Depth 4
                                        ;         Child Loop BB1_30 Depth 4
                                        ;           Child Loop BB1_32 Depth 5
                                        ;           Child Loop BB1_38 Depth 5
	v_ashrrev_i32_e32 v7, 31, v6
	v_lshlrev_b64 v[8:9], 2, v[6:7]
	v_add_co_u32_e32 v8, vcc, s26, v8
	v_addc_co_u32_e32 v9, vcc, v20, v9, vcc
	global_load_dword v7, v[8:9], off
	v_mov_b32_e32 v13, s17
	s_waitcnt vmcnt(0)
	v_subrev_u32_e32 v8, s33, v7
	v_ashrrev_i32_e32 v9, 31, v8
	v_lshlrev_b64 v[10:11], 2, v[8:9]
	v_add_co_u32_e32 v12, vcc, s16, v10
	v_addc_co_u32_e32 v13, vcc, v13, v11, vcc
	global_load_dword v27, v[12:13], off
	s_waitcnt vmcnt(0)
	v_cmp_ne_u32_e64 s[10:11], -1, v27
	s_and_saveexec_b64 s[42:43], s[10:11]
	s_cbranch_execz .LBB1_11
; %bb.13:                               ;   in Loop: Header=BB1_12 Depth=2
	v_add_co_u32_e32 v12, vcc, s24, v10
	v_addc_co_u32_e32 v13, vcc, v1, v11, vcc
	global_load_dword v9, v[12:13], off
	v_mov_b32_e32 v12, s19
	v_add_co_u32_e32 v10, vcc, s18, v10
	v_addc_co_u32_e32 v11, vcc, v12, v11, vcc
	global_load_dword v12, v[10:11], off glc
	s_waitcnt vmcnt(0)
	v_cmp_eq_u32_e32 vcc, 0, v12
	s_and_saveexec_b64 s[12:13], vcc
	s_cbranch_execz .LBB1_18
; %bb.14:                               ;   in Loop: Header=BB1_12 Depth=2
	s_mov_b32 s46, 0
	s_mov_b64 s[44:45], 0
	s_branch .LBB1_16
.LBB1_15:                               ;   in Loop: Header=BB1_16 Depth=3
	global_load_dword v12, v[10:11], off glc
	s_cmpk_lt_u32 s46, 0xf43
	s_cselect_b64 s[48:49], -1, 0
	s_cmp_lg_u64 s[48:49], 0
	s_addc_u32 s46, s46, 0
	s_waitcnt vmcnt(0)
	v_cmp_ne_u32_e32 vcc, 0, v12
	s_or_b64 s[44:45], vcc, s[44:45]
	s_andn2_b64 exec, exec, s[44:45]
	s_cbranch_execz .LBB1_18
.LBB1_16:                               ;   Parent Loop BB1_7 Depth=1
                                        ;     Parent Loop BB1_12 Depth=2
                                        ; =>    This Loop Header: Depth=3
                                        ;         Child Loop BB1_17 Depth 4
	s_cmp_eq_u32 s46, 0
	s_mov_b32 s47, s46
	s_cbranch_scc1 .LBB1_15
.LBB1_17:                               ;   Parent Loop BB1_7 Depth=1
                                        ;     Parent Loop BB1_12 Depth=2
                                        ;       Parent Loop BB1_16 Depth=3
                                        ; =>      This Inner Loop Header: Depth=4
	s_add_i32 s47, s47, -1
	s_cmp_eq_u32 s47, 0
	s_sleep 1
	s_cbranch_scc0 .LBB1_17
	s_branch .LBB1_15
.LBB1_18:                               ;   in Loop: Header=BB1_12 Depth=2
	s_or_b64 exec, exec, s[12:13]
	v_subrev_u32_e32 v28, s33, v9
	v_mul_lo_u32 v29, v8, s53
	v_mul_lo_u32 v8, v6, s25
	;; [unrolled: 1-line block ×3, first 2 shown]
	v_add_u32_e32 v31, v8, v3
	v_add_u32_e32 v32, v8, v25
	v_cmp_le_i32_e64 s[12:13], v28, v27
	v_mul_lo_u32 v33, s25, v28
	s_mov_b32 s55, 0
	buffer_wbinvl1_vol
	s_branch .LBB1_21
.LBB1_19:                               ;   in Loop: Header=BB1_21 Depth=3
	s_or_b64 exec, exec, s[46:47]
.LBB1_20:                               ;   in Loop: Header=BB1_21 Depth=3
	s_or_b64 exec, exec, s[44:45]
	s_waitcnt vmcnt(0)
	v_sub_f32_e32 v10, v35, v36
	v_div_scale_f32 v11, s[44:45], v34, v34, v10
	v_rcp_f32_e32 v12, v11
	v_div_scale_f32 v13, vcc, v10, v34, v10
	s_add_i32 s55, s55, 1
	v_fma_f32 v14, -v11, v12, 1.0
	v_fmac_f32_e32 v12, v14, v12
	v_mul_f32_e32 v14, v13, v12
	v_fma_f32 v15, -v11, v14, v13
	v_fmac_f32_e32 v14, v15, v12
	v_fma_f32 v11, -v11, v14, v13
	v_div_fmas_f32 v11, v11, v12, v14
	v_div_fixup_f32 v10, v11, v34, v10
	v_fmac_f32_e32 v26, v10, v10
	s_cmp_eq_u32 s55, s53
	v_add_u32_e32 v33, 1, v33
	global_store_dword v[8:9], v10, off
	s_cbranch_scc1 .LBB1_11
.LBB1_21:                               ;   Parent Loop BB1_7 Depth=1
                                        ;     Parent Loop BB1_12 Depth=2
                                        ; =>    This Loop Header: Depth=3
                                        ;         Child Loop BB1_23 Depth 4
                                        ;         Child Loop BB1_30 Depth 4
                                        ;           Child Loop BB1_32 Depth 5
                                        ;           Child Loop BB1_38 Depth 5
	s_mul_i32 s56, s55, s53
	s_add_i32 s44, s56, s55
	v_add_u32_e32 v8, s44, v30
	v_ashrrev_i32_e32 v9, 31, v8
	v_lshlrev_b64 v[8:9], 2, v[8:9]
	v_mov_b32_e32 v10, s31
	v_add_co_u32_e32 v8, vcc, s30, v8
	v_addc_co_u32_e32 v9, vcc, v10, v9, vcc
	global_load_dword v8, v[8:9], off
	s_waitcnt vmcnt(0)
	v_cmp_neq_f32_e32 vcc, 0, v8
	s_or_b64 s[44:45], vcc, s[0:1]
	v_cndmask_b32_e32 v34, 1.0, v8, vcc
	s_xor_b64 s[46:47], s[44:45], -1
	s_and_saveexec_b64 s[44:45], s[46:47]
	s_cbranch_execz .LBB1_27
; %bb.22:                               ;   in Loop: Header=BB1_21 Depth=3
	s_mov_b64 s[46:47], exec
	s_brev_b32 s48, -2
.LBB1_23:                               ;   Parent Loop BB1_7 Depth=1
                                        ;     Parent Loop BB1_12 Depth=2
                                        ;       Parent Loop BB1_21 Depth=3
                                        ; =>      This Inner Loop Header: Depth=4
	s_ff1_i32_b64 s49, s[46:47]
	v_readlane_b32 s57, v7, s49
	s_lshl_b64 s[50:51], 1, s49
	s_min_i32 s48, s48, s57
	s_andn2_b64 s[46:47], s[46:47], s[50:51]
	s_cmp_lg_u64 s[46:47], 0
	s_cbranch_scc1 .LBB1_23
; %bb.24:                               ;   in Loop: Header=BB1_21 Depth=3
	v_mbcnt_lo_u32_b32 v8, exec_lo, 0
	v_mbcnt_hi_u32_b32 v8, exec_hi, v8
	v_cmp_eq_u32_e32 vcc, 0, v8
	s_and_saveexec_b64 s[46:47], vcc
	s_xor_b64 s[46:47], exec, s[46:47]
	s_cbranch_execz .LBB1_26
; %bb.25:                               ;   in Loop: Header=BB1_21 Depth=3
	v_mov_b32_e32 v8, s48
	global_atomic_smin v17, v8, s[22:23]
.LBB1_26:                               ;   in Loop: Header=BB1_21 Depth=3
	s_or_b64 exec, exec, s[46:47]
	v_mov_b32_e32 v34, 1.0
.LBB1_27:                               ;   in Loop: Header=BB1_21 Depth=3
	s_or_b64 exec, exec, s[44:45]
	v_add_u32_e32 v8, s56, v31
	v_add_u32_e32 v9, s55, v32
	v_cndmask_b32_e64 v8, v8, v9, s[2:3]
	v_ashrrev_i32_e32 v9, 31, v8
	v_lshlrev_b64 v[8:9], 2, v[8:9]
	v_mov_b32_e32 v10, s31
	v_add_co_u32_e32 v8, vcc, s30, v8
	v_addc_co_u32_e32 v9, vcc, v10, v9, vcc
	global_load_dword v35, v[8:9], off
	v_mov_b32_e32 v36, 0
	s_and_saveexec_b64 s[44:45], s[12:13]
	s_cbranch_execz .LBB1_20
; %bb.28:                               ;   in Loop: Header=BB1_21 Depth=3
	global_load_dword v37, v[4:5], off
	v_add_u32_e32 v38, s55, v29
	s_mov_b64 s[46:47], 0
	v_mov_b32_e32 v36, 0
	v_mov_b32_e32 v39, v33
	;; [unrolled: 1-line block ×3, first 2 shown]
	s_branch .LBB1_30
.LBB1_29:                               ;   in Loop: Header=BB1_30 Depth=4
	s_or_b64 exec, exec, s[48:49]
	v_add_u32_e32 v11, 1, v10
	v_cmp_ge_i32_e32 vcc, v10, v27
	v_add_u32_e32 v39, s25, v39
	s_or_b64 s[46:47], vcc, s[46:47]
	v_mov_b32_e32 v10, v11
	s_andn2_b64 exec, exec, s[46:47]
	s_cbranch_execz .LBB1_19
.LBB1_30:                               ;   Parent Loop BB1_7 Depth=1
                                        ;     Parent Loop BB1_12 Depth=2
                                        ;       Parent Loop BB1_21 Depth=3
                                        ; =>      This Loop Header: Depth=4
                                        ;           Child Loop BB1_32 Depth 5
                                        ;           Child Loop BB1_38 Depth 5
	v_ashrrev_i32_e32 v11, 31, v10
	v_lshlrev_b64 v[12:13], 2, v[10:11]
	v_mov_b32_e32 v11, s27
	v_add_co_u32_e32 v12, vcc, s26, v12
	v_addc_co_u32_e32 v13, vcc, v11, v13, vcc
	global_load_dword v11, v[12:13], off
	s_waitcnt vmcnt(1)
	v_mov_b32_e32 v13, v37
	v_mov_b32_e32 v12, v2
	s_and_saveexec_b64 s[48:49], s[8:9]
	s_cbranch_execz .LBB1_34
; %bb.31:                               ;   in Loop: Header=BB1_30 Depth=4
	s_mov_b64 s[50:51], 0
	v_mov_b32_e32 v13, v37
	v_mov_b32_e32 v12, v2
	;; [unrolled: 1-line block ×4, first 2 shown]
.LBB1_32:                               ;   Parent Loop BB1_7 Depth=1
                                        ;     Parent Loop BB1_12 Depth=2
                                        ;       Parent Loop BB1_21 Depth=3
                                        ;         Parent Loop BB1_30 Depth=4
                                        ; =>        This Inner Loop Header: Depth=5
	v_add_u32_e32 v40, 1, v12
	s_waitcnt vmcnt(0)
	v_cmp_lt_i32_e32 vcc, v13, v11
	v_cndmask_b32_e32 v15, v15, v40, vcc
	v_cndmask_b32_e32 v14, v12, v14, vcc
	v_add_u32_e32 v12, v14, v15
	v_ashrrev_i32_e32 v12, 1, v12
	v_ashrrev_i32_e32 v13, 31, v12
	v_lshlrev_b64 v[40:41], 2, v[12:13]
	v_mov_b32_e32 v13, s27
	v_add_co_u32_e32 v40, vcc, s26, v40
	v_addc_co_u32_e32 v41, vcc, v13, v41, vcc
	global_load_dword v13, v[40:41], off
	v_cmp_ge_i32_e32 vcc, v15, v14
	s_or_b64 s[50:51], vcc, s[50:51]
	s_andn2_b64 exec, exec, s[50:51]
	s_cbranch_execnz .LBB1_32
; %bb.33:                               ;   in Loop: Header=BB1_30 Depth=4
	s_or_b64 exec, exec, s[50:51]
.LBB1_34:                               ;   in Loop: Header=BB1_30 Depth=4
	s_or_b64 exec, exec, s[48:49]
	s_waitcnt vmcnt(0)
	v_cmp_eq_u32_e32 vcc, v13, v11
	s_and_saveexec_b64 s[48:49], vcc
	s_cbranch_execz .LBB1_29
; %bb.35:                               ;   in Loop: Header=BB1_30 Depth=4
	v_subrev_u32_e32 v11, s33, v11
	v_mul_lo_u32 v13, v10, s25
	v_mul_lo_u32 v12, v12, s25
	;; [unrolled: 1-line block ×3, first 2 shown]
	v_add_u32_e32 v40, s56, v13
	v_add_u32_e32 v41, v12, v25
	;; [unrolled: 1-line block ×3, first 2 shown]
	s_mov_b32 s57, 0
	v_mov_b32_e32 v43, v39
	s_branch .LBB1_38
.LBB1_36:                               ;   in Loop: Header=BB1_38 Depth=5
	v_ashrrev_i32_e32 v15, 31, v14
	v_lshlrev_b64 v[14:15], 2, v[14:15]
	v_mov_b32_e32 v44, s31
	v_add_co_u32_e32 v14, vcc, s30, v14
	v_ashrrev_i32_e32 v13, 31, v12
	v_addc_co_u32_e32 v15, vcc, v44, v15, vcc
	v_lshlrev_b64 v[12:13], 2, v[12:13]
	v_add_co_u32_e32 v12, vcc, s30, v12
	v_addc_co_u32_e32 v13, vcc, v44, v13, vcc
	global_load_dword v14, v[14:15], off
	s_nop 0
	global_load_dword v12, v[12:13], off
	s_waitcnt vmcnt(0)
	v_fmac_f32_e32 v36, v14, v12
.LBB1_37:                               ;   in Loop: Header=BB1_38 Depth=5
	s_or_b64 exec, exec, s[50:51]
	s_add_i32 s57, s57, 1
	v_add_u32_e32 v42, s53, v42
	s_cmp_lg_u32 s53, s57
	v_add_u32_e32 v43, s53, v43
	s_cbranch_scc0 .LBB1_29
.LBB1_38:                               ;   Parent Loop BB1_7 Depth=1
                                        ;     Parent Loop BB1_12 Depth=2
                                        ;       Parent Loop BB1_21 Depth=3
                                        ;         Parent Loop BB1_30 Depth=4
                                        ; =>        This Inner Loop Header: Depth=5
	v_add_u32_e32 v12, s57, v11
	v_cmp_lt_i32_e32 vcc, v12, v38
	s_and_saveexec_b64 s[50:51], vcc
	s_cbranch_execz .LBB1_37
; %bb.39:                               ;   in Loop: Header=BB1_38 Depth=5
	s_andn2_b64 vcc, exec, s[2:3]
	v_mov_b32_e32 v12, v42
	v_mov_b32_e32 v14, v43
	s_cbranch_vccnz .LBB1_36
; %bb.40:                               ;   in Loop: Header=BB1_38 Depth=5
	v_add_u32_e32 v14, s57, v40
	v_add_u32_e32 v12, s57, v41
	s_branch .LBB1_36
.LBB1_41:                               ;   in Loop: Header=BB1_7 Depth=1
	s_or_b64 exec, exec, s[40:41]
.LBB1_42:                               ;   in Loop: Header=BB1_7 Depth=1
	s_or_b64 exec, exec, s[38:39]
	v_add_u32_e32 v12, v25, v19
	s_mov_b32 s42, 0
	v_mov_b32_e32 v13, v23
	s_branch .LBB1_45
.LBB1_43:                               ;   in Loop: Header=BB1_45 Depth=2
	s_waitcnt vmcnt(0)
	v_sub_f32_e32 v8, v27, v28
	v_div_scale_f32 v9, s[12:13], v15, v15, v8
	v_rcp_f32_e32 v10, v9
	v_div_scale_f32 v11, vcc, v8, v15, v8
	v_fma_f32 v14, -v9, v10, 1.0
	v_fmac_f32_e32 v10, v14, v10
	v_mul_f32_e32 v14, v11, v10
	v_fma_f32 v27, -v9, v14, v11
	v_fmac_f32_e32 v14, v27, v10
	v_fma_f32 v9, -v9, v14, v11
	v_div_fmas_f32 v9, v9, v10, v14
	v_div_fixup_f32 v8, v9, v15, v8
	v_fmac_f32_e32 v26, v8, v8
	global_store_dword v[6:7], v8, off
.LBB1_44:                               ;   in Loop: Header=BB1_45 Depth=2
	s_or_b64 exec, exec, s[10:11]
	s_add_i32 s42, s42, 1
	s_cmp_eq_u32 s42, s53
	v_add_u32_e32 v13, 1, v13
	s_waitcnt vmcnt(0)
	buffer_wbinvl1_vol
	s_cbranch_scc1 .LBB1_6
.LBB1_45:                               ;   Parent Loop BB1_7 Depth=1
                                        ; =>  This Loop Header: Depth=2
                                        ;       Child Loop BB1_49 Depth 3
                                        ;       Child Loop BB1_57 Depth 3
                                        ;         Child Loop BB1_59 Depth 4
                                        ;       Child Loop BB1_67 Depth 3
	s_mul_i32 s43, s42, s53
	v_add_u32_e32 v14, s43, v19
	v_add_u32_e32 v6, s42, v14
	v_ashrrev_i32_e32 v7, 31, v6
	v_cmp_eq_u32_e32 vcc, s42, v3
	v_lshlrev_b64 v[6:7], 2, v[6:7]
	s_and_saveexec_b64 s[12:13], vcc
	s_cbranch_execz .LBB1_47
; %bb.46:                               ;   in Loop: Header=BB1_45 Depth=2
	v_mov_b32_e32 v9, s31
	v_add_co_u32_e32 v8, vcc, s30, v6
	v_addc_co_u32_e32 v9, vcc, v9, v7, vcc
	global_load_dword v10, v[8:9], off
	s_waitcnt vmcnt(0)
	v_sub_f32_e32 v10, v10, v26
	v_cmp_gt_f32_e32 vcc, 0, v10
	v_cndmask_b32_e64 v10, v10, -v10, vcc
	v_mul_f32_e32 v11, 0x4f800000, v10
	v_cmp_gt_f32_e32 vcc, s54, v10
	v_cndmask_b32_e32 v10, v10, v11, vcc
	v_sqrt_f32_e32 v11, v10
	v_add_u32_e32 v15, -1, v11
	v_add_u32_e32 v27, 1, v11
	v_fma_f32 v28, -v15, v11, v10
	v_fma_f32 v29, -v27, v11, v10
	v_cmp_ge_f32_e64 s[10:11], 0, v28
	v_cndmask_b32_e64 v11, v11, v15, s[10:11]
	v_cmp_lt_f32_e64 s[10:11], 0, v29
	v_cndmask_b32_e64 v11, v11, v27, s[10:11]
	v_mul_f32_e32 v15, 0x37800000, v11
	v_cndmask_b32_e32 v11, v11, v15, vcc
	v_cmp_class_f32_e32 vcc, v10, v18
	v_cndmask_b32_e32 v10, v11, v10, vcc
	global_store_dword v[8:9], v10, off
.LBB1_47:                               ;   in Loop: Header=BB1_45 Depth=2
	s_or_b64 exec, exec, s[12:13]
	v_mov_b32_e32 v8, s31
	v_add_co_u32_e32 v6, vcc, s30, v6
	v_addc_co_u32_e32 v7, vcc, v8, v7, vcc
	s_waitcnt vmcnt(0)
	buffer_wbinvl1_vol
	global_load_dword v6, v[6:7], off
	s_waitcnt vmcnt(0)
	v_cmp_neq_f32_e32 vcc, 0, v6
	s_or_b64 s[10:11], vcc, s[0:1]
	v_cndmask_b32_e32 v15, 1.0, v6, vcc
	s_xor_b64 s[12:13], s[10:11], -1
	s_and_saveexec_b64 s[10:11], s[12:13]
	s_cbranch_execz .LBB1_53
; %bb.48:                               ;   in Loop: Header=BB1_45 Depth=2
	s_mov_b64 s[12:13], exec
	s_brev_b32 s38, -2
.LBB1_49:                               ;   Parent Loop BB1_7 Depth=1
                                        ;     Parent Loop BB1_45 Depth=2
                                        ; =>    This Inner Loop Header: Depth=3
	s_ff1_i32_b64 s39, s[12:13]
	v_readlane_b32 s44, v16, s39
	s_lshl_b64 s[40:41], 1, s39
	s_min_i32 s38, s38, s44
	s_andn2_b64 s[12:13], s[12:13], s[40:41]
	s_cmp_lg_u64 s[12:13], 0
	s_cbranch_scc1 .LBB1_49
; %bb.50:                               ;   in Loop: Header=BB1_45 Depth=2
	v_mbcnt_lo_u32_b32 v6, exec_lo, 0
	v_mbcnt_hi_u32_b32 v6, exec_hi, v6
	v_cmp_eq_u32_e32 vcc, 0, v6
	s_and_saveexec_b64 s[12:13], vcc
	s_xor_b64 s[12:13], exec, s[12:13]
	s_cbranch_execz .LBB1_52
; %bb.51:                               ;   in Loop: Header=BB1_45 Depth=2
	v_mov_b32_e32 v6, s38
	global_atomic_smin v17, v6, s[22:23]
.LBB1_52:                               ;   in Loop: Header=BB1_45 Depth=2
	s_or_b64 exec, exec, s[12:13]
	v_mov_b32_e32 v15, 1.0
.LBB1_53:                               ;   in Loop: Header=BB1_45 Depth=2
	s_or_b64 exec, exec, s[10:11]
	v_cmp_lt_i32_e32 vcc, s42, v3
	s_and_saveexec_b64 s[10:11], vcc
	s_cbranch_execz .LBB1_44
; %bb.54:                               ;   in Loop: Header=BB1_45 Depth=2
	v_add_u32_e32 v6, v14, v3
	v_add_u32_e32 v7, s42, v12
	v_cndmask_b32_e64 v6, v6, v7, s[2:3]
	v_ashrrev_i32_e32 v7, 31, v6
	v_lshlrev_b64 v[6:7], 2, v[6:7]
	v_mov_b32_e32 v8, s31
	v_add_co_u32_e32 v6, vcc, s30, v6
	v_addc_co_u32_e32 v7, vcc, v8, v7, vcc
	global_load_dword v27, v[6:7], off
	v_mov_b32_e32 v28, 0
	s_and_saveexec_b64 s[12:13], s[4:5]
	s_cbranch_execz .LBB1_64
; %bb.55:                               ;   in Loop: Header=BB1_45 Depth=2
	s_mov_b64 s[38:39], 0
	v_mov_b32_e32 v28, 0
	v_mov_b32_e32 v29, v13
	;; [unrolled: 1-line block ×4, first 2 shown]
	s_branch .LBB1_57
.LBB1_56:                               ;   in Loop: Header=BB1_57 Depth=3
	v_add_u32_e32 v31, 1, v31
	v_cmp_le_i32_e32 vcc, s52, v31
	v_add_u32_e32 v30, s25, v30
	s_or_b64 s[38:39], vcc, s[38:39]
	v_add_u32_e32 v29, s25, v29
	s_andn2_b64 exec, exec, s[38:39]
	s_cbranch_execz .LBB1_63
.LBB1_57:                               ;   Parent Loop BB1_7 Depth=1
                                        ;     Parent Loop BB1_45 Depth=2
                                        ; =>    This Loop Header: Depth=3
                                        ;         Child Loop BB1_59 Depth 4
	v_mul_lo_u32 v8, v31, s25
	v_add_u32_e32 v32, s43, v8
	v_add_u32_e32 v33, v8, v25
	s_mov_b32 s44, 0
	s_mov_b32 s45, s53
	;; [unrolled: 1-line block ×3, first 2 shown]
	s_branch .LBB1_59
.LBB1_58:                               ;   in Loop: Header=BB1_59 Depth=4
	v_ashrrev_i32_e32 v11, 31, v10
	v_lshlrev_b64 v[10:11], 2, v[10:11]
	v_mov_b32_e32 v34, s31
	v_add_co_u32_e32 v10, vcc, s30, v10
	v_ashrrev_i32_e32 v9, 31, v8
	v_addc_co_u32_e32 v11, vcc, v34, v11, vcc
	v_lshlrev_b64 v[8:9], 2, v[8:9]
	v_add_co_u32_e32 v8, vcc, s30, v8
	v_addc_co_u32_e32 v9, vcc, v34, v9, vcc
	global_load_dword v34, v[10:11], off
	global_load_dword v35, v[8:9], off
	s_add_i32 s46, s46, 1
	s_add_i32 s44, s44, s53
	s_add_i32 s45, s45, -1
	s_cmp_eq_u32 s45, 0
	s_waitcnt vmcnt(0)
	v_fmac_f32_e32 v28, v34, v35
	s_cbranch_scc1 .LBB1_56
.LBB1_59:                               ;   Parent Loop BB1_7 Depth=1
                                        ;     Parent Loop BB1_45 Depth=2
                                        ;       Parent Loop BB1_57 Depth=3
                                        ; =>      This Inner Loop Header: Depth=4
	s_and_b64 vcc, exec, s[36:37]
	s_cbranch_vccz .LBB1_61
; %bb.60:                               ;   in Loop: Header=BB1_59 Depth=4
	v_add_u32_e32 v10, s44, v29
	v_add_u32_e32 v8, s44, v30
	s_cbranch_execnz .LBB1_58
	s_branch .LBB1_62
.LBB1_61:                               ;   in Loop: Header=BB1_59 Depth=4
                                        ; implicit-def: $vgpr10
                                        ; implicit-def: $vgpr8
.LBB1_62:                               ;   in Loop: Header=BB1_59 Depth=4
	v_add_u32_e32 v10, s46, v32
	v_add_u32_e32 v8, s46, v33
	s_branch .LBB1_58
.LBB1_63:                               ;   in Loop: Header=BB1_45 Depth=2
	s_or_b64 exec, exec, s[38:39]
.LBB1_64:                               ;   in Loop: Header=BB1_45 Depth=2
	s_or_b64 exec, exec, s[12:13]
	s_cmp_eq_u32 s42, 0
	s_cbranch_scc1 .LBB1_43
; %bb.65:                               ;   in Loop: Header=BB1_45 Depth=2
	s_mov_b32 s38, 0
	v_mov_b32_e32 v29, v19
	s_branch .LBB1_67
.LBB1_66:                               ;   in Loop: Header=BB1_67 Depth=3
	v_ashrrev_i32_e32 v11, 31, v10
	v_lshlrev_b64 v[10:11], 2, v[10:11]
	v_mov_b32_e32 v30, s31
	v_add_co_u32_e32 v10, vcc, s30, v10
	v_ashrrev_i32_e32 v9, 31, v8
	v_addc_co_u32_e32 v11, vcc, v30, v11, vcc
	v_lshlrev_b64 v[8:9], 2, v[8:9]
	v_add_co_u32_e32 v8, vcc, s30, v8
	v_addc_co_u32_e32 v9, vcc, v30, v9, vcc
	global_load_dword v30, v[10:11], off
	global_load_dword v31, v[8:9], off
	s_add_i32 s38, s38, 1
	s_cmp_ge_u32 s38, s42
	v_add_u32_e32 v29, s53, v29
	s_waitcnt vmcnt(0)
	v_fmac_f32_e32 v28, v30, v31
	s_cbranch_scc1 .LBB1_43
.LBB1_67:                               ;   Parent Loop BB1_7 Depth=1
                                        ;     Parent Loop BB1_45 Depth=2
                                        ; =>    This Inner Loop Header: Depth=3
	s_and_b64 vcc, exec, s[36:37]
	s_cbranch_vccz .LBB1_69
; %bb.68:                               ;   in Loop: Header=BB1_67 Depth=3
	v_add_u32_e32 v10, s42, v29
	v_add_u32_e32 v8, v3, v29
	s_cbranch_execnz .LBB1_66
	s_branch .LBB1_70
.LBB1_69:                               ;   in Loop: Header=BB1_67 Depth=3
                                        ; implicit-def: $vgpr10
                                        ; implicit-def: $vgpr8
.LBB1_70:                               ;   in Loop: Header=BB1_67 Depth=3
	v_add_u32_e32 v10, s38, v14
	v_add_u32_e32 v8, s38, v12
	s_branch .LBB1_66
.LBB1_71:
	s_or_b64 exec, exec, s[28:29]
	v_cmp_eq_u32_e32 vcc, 63, v0
	s_and_b64 s[0:1], vcc, exec
                                        ; implicit-def: $vgpr0
                                        ; implicit-def: $vgpr2_vgpr3
	s_andn2_saveexec_b64 s[2:3], s[20:21]
	s_cbranch_execz .LBB1_2
.LBB1_72:
	v_cmp_eq_u32_e32 vcc, 63, v0
	s_mov_b64 s[6:7], s[0:1]
	s_and_saveexec_b64 s[4:5], vcc
	s_cbranch_execz .LBB1_78
; %bb.73:
	s_mov_b64 s[6:7], exec
	v_add_u32_e32 v0, s33, v2
	s_brev_b32 s8, -2
.LBB1_74:                               ; =>This Inner Loop Header: Depth=1
	s_ff1_i32_b64 s9, s[6:7]
	v_readlane_b32 s12, v0, s9
	s_lshl_b64 s[10:11], 1, s9
	s_min_i32 s8, s8, s12
	s_andn2_b64 s[6:7], s[6:7], s[10:11]
	s_cmp_lg_u64 s[6:7], 0
	s_cbranch_scc1 .LBB1_74
; %bb.75:
	v_mbcnt_lo_u32_b32 v0, exec_lo, 0
	v_mbcnt_hi_u32_b32 v0, exec_hi, v0
	v_cmp_eq_u32_e32 vcc, 0, v0
	s_and_saveexec_b64 s[6:7], vcc
	s_xor_b64 s[6:7], exec, s[6:7]
	s_cbranch_execz .LBB1_77
; %bb.76:
	v_mov_b32_e32 v0, 0
	v_mov_b32_e32 v1, s8
	global_atomic_smin v0, v1, s[22:23]
.LBB1_77:
	s_or_b64 exec, exec, s[6:7]
	s_or_b64 s[6:7], s[0:1], exec
.LBB1_78:
	s_or_b64 exec, exec, s[4:5]
	s_andn2_b64 s[0:1], s[0:1], exec
	s_and_b64 s[4:5], s[6:7], exec
	s_or_b64 s[0:1], s[0:1], s[4:5]
	s_or_b64 exec, exec, s[2:3]
	s_and_saveexec_b64 s[2:3], s[0:1]
	s_cbranch_execz .LBB1_3
.LBB1_79:
	v_lshlrev_b64 v[0:1], 2, s[14:15]
	v_mov_b32_e32 v2, s19
	v_add_co_u32_e32 v0, vcc, s18, v0
	v_addc_co_u32_e32 v1, vcc, v2, v1, vcc
	v_mov_b32_e32 v2, 1
	s_waitcnt vmcnt(0)
	global_store_dword v[0:1], v2, off
	s_endpgm
	.section	.rodata,"a",@progbits
	.p2align	6, 0x0
	.amdhsa_kernel _ZN9rocsparseL23bsric0_binsearch_kernelILj64ELj64ELb1EfEEv20rocsparse_direction_iiPKiS3_PT2_S3_PiS3_S6_21rocsparse_index_base_
		.amdhsa_group_segment_fixed_size 0
		.amdhsa_private_segment_fixed_size 0
		.amdhsa_kernarg_size 76
		.amdhsa_user_sgpr_count 6
		.amdhsa_user_sgpr_private_segment_buffer 1
		.amdhsa_user_sgpr_dispatch_ptr 0
		.amdhsa_user_sgpr_queue_ptr 0
		.amdhsa_user_sgpr_kernarg_segment_ptr 1
		.amdhsa_user_sgpr_dispatch_id 0
		.amdhsa_user_sgpr_flat_scratch_init 0
		.amdhsa_user_sgpr_kernarg_preload_length 0
		.amdhsa_user_sgpr_kernarg_preload_offset 0
		.amdhsa_user_sgpr_private_segment_size 0
		.amdhsa_uses_dynamic_stack 0
		.amdhsa_system_sgpr_private_segment_wavefront_offset 0
		.amdhsa_system_sgpr_workgroup_id_x 1
		.amdhsa_system_sgpr_workgroup_id_y 0
		.amdhsa_system_sgpr_workgroup_id_z 0
		.amdhsa_system_sgpr_workgroup_info 0
		.amdhsa_system_vgpr_workitem_id 0
		.amdhsa_next_free_vgpr 45
		.amdhsa_next_free_sgpr 58
		.amdhsa_accum_offset 48
		.amdhsa_reserve_vcc 1
		.amdhsa_reserve_flat_scratch 0
		.amdhsa_float_round_mode_32 0
		.amdhsa_float_round_mode_16_64 0
		.amdhsa_float_denorm_mode_32 3
		.amdhsa_float_denorm_mode_16_64 3
		.amdhsa_dx10_clamp 1
		.amdhsa_ieee_mode 1
		.amdhsa_fp16_overflow 0
		.amdhsa_tg_split 0
		.amdhsa_exception_fp_ieee_invalid_op 0
		.amdhsa_exception_fp_denorm_src 0
		.amdhsa_exception_fp_ieee_div_zero 0
		.amdhsa_exception_fp_ieee_overflow 0
		.amdhsa_exception_fp_ieee_underflow 0
		.amdhsa_exception_fp_ieee_inexact 0
		.amdhsa_exception_int_div_zero 0
	.end_amdhsa_kernel
	.section	.text._ZN9rocsparseL23bsric0_binsearch_kernelILj64ELj64ELb1EfEEv20rocsparse_direction_iiPKiS3_PT2_S3_PiS3_S6_21rocsparse_index_base_,"axG",@progbits,_ZN9rocsparseL23bsric0_binsearch_kernelILj64ELj64ELb1EfEEv20rocsparse_direction_iiPKiS3_PT2_S3_PiS3_S6_21rocsparse_index_base_,comdat
.Lfunc_end1:
	.size	_ZN9rocsparseL23bsric0_binsearch_kernelILj64ELj64ELb1EfEEv20rocsparse_direction_iiPKiS3_PT2_S3_PiS3_S6_21rocsparse_index_base_, .Lfunc_end1-_ZN9rocsparseL23bsric0_binsearch_kernelILj64ELj64ELb1EfEEv20rocsparse_direction_iiPKiS3_PT2_S3_PiS3_S6_21rocsparse_index_base_
                                        ; -- End function
	.section	.AMDGPU.csdata,"",@progbits
; Kernel info:
; codeLenInByte = 2684
; NumSgprs: 62
; NumVgprs: 45
; NumAgprs: 0
; TotalNumVgprs: 45
; ScratchSize: 0
; MemoryBound: 0
; FloatMode: 240
; IeeeMode: 1
; LDSByteSize: 0 bytes/workgroup (compile time only)
; SGPRBlocks: 7
; VGPRBlocks: 5
; NumSGPRsForWavesPerEU: 62
; NumVGPRsForWavesPerEU: 45
; AccumOffset: 48
; Occupancy: 8
; WaveLimiterHint : 1
; COMPUTE_PGM_RSRC2:SCRATCH_EN: 0
; COMPUTE_PGM_RSRC2:USER_SGPR: 6
; COMPUTE_PGM_RSRC2:TRAP_HANDLER: 0
; COMPUTE_PGM_RSRC2:TGID_X_EN: 1
; COMPUTE_PGM_RSRC2:TGID_Y_EN: 0
; COMPUTE_PGM_RSRC2:TGID_Z_EN: 0
; COMPUTE_PGM_RSRC2:TIDIG_COMP_CNT: 0
; COMPUTE_PGM_RSRC3_GFX90A:ACCUM_OFFSET: 11
; COMPUTE_PGM_RSRC3_GFX90A:TG_SPLIT: 0
	.section	.text._ZN9rocsparseL26bsric0_2_8_unrolled_kernelILi1ELi32ELi1EfEEv20rocsparse_direction_iiPKiS3_PT2_S3_PiS3_S6_21rocsparse_index_base_,"axG",@progbits,_ZN9rocsparseL26bsric0_2_8_unrolled_kernelILi1ELi32ELi1EfEEv20rocsparse_direction_iiPKiS3_PT2_S3_PiS3_S6_21rocsparse_index_base_,comdat
	.globl	_ZN9rocsparseL26bsric0_2_8_unrolled_kernelILi1ELi32ELi1EfEEv20rocsparse_direction_iiPKiS3_PT2_S3_PiS3_S6_21rocsparse_index_base_ ; -- Begin function _ZN9rocsparseL26bsric0_2_8_unrolled_kernelILi1ELi32ELi1EfEEv20rocsparse_direction_iiPKiS3_PT2_S3_PiS3_S6_21rocsparse_index_base_
	.p2align	8
	.type	_ZN9rocsparseL26bsric0_2_8_unrolled_kernelILi1ELi32ELi1EfEEv20rocsparse_direction_iiPKiS3_PT2_S3_PiS3_S6_21rocsparse_index_base_,@function
_ZN9rocsparseL26bsric0_2_8_unrolled_kernelILi1ELi32ELi1EfEEv20rocsparse_direction_iiPKiS3_PT2_S3_PiS3_S6_21rocsparse_index_base_: ; @_ZN9rocsparseL26bsric0_2_8_unrolled_kernelILi1ELi32ELi1EfEEv20rocsparse_direction_iiPKiS3_PT2_S3_PiS3_S6_21rocsparse_index_base_
; %bb.0:
	s_load_dwordx8 s[8:15], s[4:5], 0x28
	s_mov_b32 s7, 0
	s_lshl_b64 s[0:1], s[6:7], 2
	s_waitcnt lgkmcnt(0)
	s_add_u32 s0, s12, s0
	s_addc_u32 s1, s13, s1
	s_load_dword s6, s[0:1], 0x0
	s_waitcnt lgkmcnt(0)
	s_ashr_i32 s7, s6, 31
	s_lshl_b64 s[2:3], s[6:7], 2
	s_add_u32 s0, s8, s2
	s_addc_u32 s1, s9, s3
	s_load_dword s12, s[0:1], 0x0
	s_load_dword s7, s[4:5], 0x48
	s_waitcnt lgkmcnt(0)
	s_cmp_lg_u32 s12, -1
	s_cbranch_scc0 .LBB2_65
; %bb.1:
	s_load_dwordx4 s[16:19], s[4:5], 0x10
	s_load_dwordx2 s[20:21], s[4:5], 0x20
	s_waitcnt lgkmcnt(0)
	s_add_u32 s0, s16, s2
	s_addc_u32 s1, s17, s3
	s_load_dword s24, s[0:1], 0x0
	s_waitcnt lgkmcnt(0)
	s_sub_i32 s13, s24, s7
	s_cmp_gt_i32 s13, s12
	s_cbranch_scc1 .LBB2_13
; %bb.2:
	s_add_i32 s0, s12, s7
	s_sub_i32 s25, s0, s24
	s_add_i32 s25, s25, 1
	s_mov_b64 s[22:23], -1
	s_cmp_gt_u32 s25, 1
	s_mov_b32 s0, s13
	s_cbranch_scc0 .LBB2_10
; %bb.3:
	s_add_i32 s0, s25, -2
	s_lshr_b32 s23, s0, 1
	s_add_i32 s23, s23, 1
	s_cmp_lt_u32 s0, 14
	s_mov_b32 s22, 0
	s_cbranch_scc1 .LBB2_6
; %bb.4:
	s_and_b32 s26, s23, -8
	s_movk_i32 s27, 0x100
.LBB2_5:                                ; =>This Inner Loop Header: Depth=1
	s_add_i32 s0, s13, s22
	s_ashr_i32 s1, s0, 31
	s_lshl_b64 s[28:29], s[0:1], 2
	s_add_u32 s28, s18, s28
	s_addc_u32 s29, s19, s29
	s_load_dwordx2 s[28:29], s[28:29], 0x0
	s_add_i32 s30, s0, 2
	s_ashr_i32 s31, s30, 31
	s_lshl_b64 s[30:31], s[30:31], 2
	v_mov_b32_e32 v0, s27
	s_waitcnt lgkmcnt(0)
	s_sub_i32 s1, s29, s7
	s_sub_i32 s28, s28, s7
	v_mov_b32_e32 v1, s28
	s_add_u32 s28, s18, s30
	s_addc_u32 s29, s19, s31
	s_load_dwordx2 s[28:29], s[28:29], 0x0
	s_add_i32 s30, s0, 4
	s_ashr_i32 s31, s30, 31
	v_mov_b32_e32 v2, s1
	s_lshl_b64 s[30:31], s[30:31], 2
	s_waitcnt lgkmcnt(0)
	s_sub_i32 s1, s29, s7
	s_sub_i32 s28, s28, s7
	ds_write2_b32 v0, v1, v2 offset1:1
	v_mov_b32_e32 v1, s28
	s_add_u32 s28, s18, s30
	s_addc_u32 s29, s19, s31
	s_load_dwordx2 s[28:29], s[28:29], 0x0
	s_add_i32 s30, s0, 6
	s_ashr_i32 s31, s30, 31
	v_mov_b32_e32 v2, s1
	s_lshl_b64 s[30:31], s[30:31], 2
	s_waitcnt lgkmcnt(0)
	s_sub_i32 s1, s29, s7
	s_sub_i32 s28, s28, s7
	ds_write2_b32 v0, v1, v2 offset0:2 offset1:3
	v_mov_b32_e32 v1, s28
	s_add_u32 s28, s18, s30
	s_addc_u32 s29, s19, s31
	s_load_dwordx2 s[28:29], s[28:29], 0x0
	s_add_i32 s30, s0, 8
	s_ashr_i32 s31, s30, 31
	v_mov_b32_e32 v2, s1
	s_lshl_b64 s[30:31], s[30:31], 2
	s_waitcnt lgkmcnt(0)
	s_sub_i32 s1, s29, s7
	s_sub_i32 s28, s28, s7
	ds_write2_b32 v0, v1, v2 offset0:4 offset1:5
	;; [unrolled: 12-line block ×4, first 2 shown]
	v_mov_b32_e32 v1, s28
	s_add_u32 s28, s18, s30
	s_addc_u32 s29, s19, s31
	s_load_dwordx2 s[28:29], s[28:29], 0x0
	s_add_i32 s0, s0, 14
	v_mov_b32_e32 v2, s1
	s_ashr_i32 s1, s0, 31
	s_lshl_b64 s[0:1], s[0:1], 2
	s_waitcnt lgkmcnt(0)
	s_sub_i32 s29, s29, s7
	s_sub_i32 s28, s28, s7
	s_add_u32 s0, s18, s0
	s_addc_u32 s1, s19, s1
	s_load_dwordx2 s[0:1], s[0:1], 0x0
	ds_write2_b32 v0, v1, v2 offset0:10 offset1:11
	v_mov_b32_e32 v1, s28
	v_mov_b32_e32 v2, s29
	s_add_i32 s22, s22, 16
	s_add_i32 s27, s27, 64
	s_add_i32 s26, s26, -8
	s_waitcnt lgkmcnt(0)
	s_sub_i32 s1, s1, s7
	s_sub_i32 s0, s0, s7
	ds_write2_b32 v0, v1, v2 offset0:12 offset1:13
	v_mov_b32_e32 v1, s0
	v_mov_b32_e32 v2, s1
	s_cmp_lg_u32 s26, 0
	ds_write2_b32 v0, v1, v2 offset0:14 offset1:15
	s_cbranch_scc1 .LBB2_5
.LBB2_6:
	s_and_b32 s23, s23, 7
	s_cmp_eq_u32 s23, 0
	s_cbranch_scc1 .LBB2_9
; %bb.7:
	s_lshl_b32 s0, s22, 2
	s_add_i32 s26, s0, 0x100
	s_add_i32 s0, s22, s24
	s_sub_i32 s0, s0, s7
.LBB2_8:                                ; =>This Inner Loop Header: Depth=1
	s_ashr_i32 s1, s0, 31
	s_lshl_b64 s[28:29], s[0:1], 2
	s_add_u32 s28, s18, s28
	s_addc_u32 s29, s19, s29
	s_load_dwordx2 s[28:29], s[28:29], 0x0
	v_mov_b32_e32 v0, s26
	s_add_i32 s26, s26, 8
	s_add_i32 s0, s0, 2
	s_add_i32 s23, s23, -1
	s_waitcnt lgkmcnt(0)
	s_sub_i32 s1, s29, s7
	s_sub_i32 s22, s28, s7
	v_mov_b32_e32 v1, s22
	v_mov_b32_e32 v2, s1
	s_cmp_lg_u32 s23, 0
	ds_write2_b32 v0, v1, v2 offset1:1
	s_cbranch_scc1 .LBB2_8
.LBB2_9:
	s_and_b32 s1, s25, -2
	s_add_i32 s0, s13, s1
	s_cmp_lg_u32 s25, s1
	s_cselect_b64 s[22:23], -1, 0
.LBB2_10:
	s_and_b64 vcc, exec, s[22:23]
	s_cbranch_vccz .LBB2_13
; %bb.11:
	s_add_i32 s1, s0, s7
	s_sub_i32 s1, s1, s24
	s_lshl_b32 s1, s1, 2
	s_add_i32 s23, s1, 0x100
	s_ashr_i32 s1, s0, 31
	s_add_i32 s22, s0, -1
	s_lshl_b64 s[0:1], s[0:1], 2
	s_add_u32 s0, s18, s0
	s_addc_u32 s1, s19, s1
.LBB2_12:                               ; =>This Inner Loop Header: Depth=1
	s_load_dword s24, s[0:1], 0x0
	v_mov_b32_e32 v0, s23
	s_add_i32 s22, s22, 1
	s_add_i32 s23, s23, 4
	s_waitcnt lgkmcnt(0)
	s_sub_i32 s24, s24, s7
	s_add_u32 s0, s0, 4
	s_addc_u32 s1, s1, 0
	v_mov_b32_e32 v1, s24
	s_cmp_ge_i32 s22, s12
	ds_write_b32 v0, v1
	s_cbranch_scc0 .LBB2_12
.LBB2_13:
	v_mov_b32_e32 v0, 0
	s_cmp_ge_i32 s13, s12
	ds_write_b32 v0, v0 offset:408
	s_waitcnt lgkmcnt(0)
	s_cbranch_scc1 .LBB2_55
; %bb.14:
	s_load_dword s0, s[4:5], 0x0
	v_mov_b32_e32 v1, 0x190
	v_mov_b32_e32 v2, s21
	;; [unrolled: 1-line block ×4, first 2 shown]
	s_waitcnt lgkmcnt(0)
	s_cmp_lg_u32 s0, 0
	s_cselect_b64 s[0:1], -1, 0
	v_cndmask_b32_e64 v5, 0, 1, s[0:1]
	v_cmp_ne_u32_e64 s[0:1], 1, v5
	v_mov_b32_e32 v5, 0x198
	s_mov_b32 s4, s13
	s_branch .LBB2_16
.LBB2_15:                               ;   in Loop: Header=BB2_16 Depth=1
                                        ; implicit-def: $sgpr4
	s_cbranch_execnz .LBB2_55
.LBB2_16:                               ; =>This Loop Header: Depth=1
                                        ;     Child Loop BB2_19 Depth 2
                                        ;     Child Loop BB2_30 Depth 2
	;; [unrolled: 1-line block ×6, first 2 shown]
	s_ashr_i32 s5, s4, 31
	s_lshl_b64 s[22:23], s[4:5], 2
	s_add_u32 s24, s18, s22
	s_addc_u32 s25, s19, s23
	s_load_dword s5, s[24:25], 0x0
	s_waitcnt lgkmcnt(0)
	s_sub_i32 s28, s5, s7
	s_ashr_i32 s29, s28, 31
	s_lshl_b64 s[26:27], s[28:29], 2
	s_add_u32 s24, s8, s26
	s_addc_u32 s25, s9, s27
	s_load_dword s24, s[24:25], 0x0
	s_waitcnt lgkmcnt(0)
	s_cmp_eq_u32 s24, -1
	s_cbranch_scc1 .LBB2_15
; %bb.17:                               ;   in Loop: Header=BB2_16 Depth=1
	s_add_u32 s30, s16, s26
	s_addc_u32 s31, s17, s27
	s_load_dword s25, s[30:31], 0x0
	s_mov_b32 s29, 0
	ds_read_b32 v7, v0 offset:256
	s_waitcnt lgkmcnt(0)
	s_sub_i32 s30, s25, s7
	s_add_u32 s22, s20, s22
	s_addc_u32 s23, s21, s23
	global_load_dword v6, v0, s[22:23]
	s_cmp_le_i32 s30, s24
	s_cselect_b64 s[34:35], -1, 0
	v_cmp_ge_i32_e32 vcc, s28, v7
	s_and_b64 s[34:35], s[34:35], vcc
	s_andn2_b64 vcc, exec, s[34:35]
	s_waitcnt vmcnt(0)
	ds_write_b32 v1, v6
	s_cbranch_vccnz .LBB2_29
; %bb.18:                               ;   in Loop: Header=BB2_16 Depth=1
	s_mov_b32 s25, 0
	s_mov_b32 s33, 0
.LBB2_19:                               ;   Parent Loop BB2_16 Depth=1
                                        ; =>  This Inner Loop Header: Depth=2
	s_ashr_i32 s31, s30, 31
	s_lshl_b64 s[34:35], s[30:31], 2
	s_add_u32 s34, s18, s34
	s_addc_u32 s35, s19, s35
	s_lshl_b32 s31, s33, 2
	s_load_dword s29, s[34:35], 0x0
	v_mov_b32_e32 v6, s31
	ds_read_b32 v6, v6 offset:256
	s_mov_b64 s[34:35], -1
                                        ; implicit-def: $sgpr37
                                        ; implicit-def: $sgpr36
	s_waitcnt lgkmcnt(0)
	s_sub_i32 s38, s29, s7
                                        ; implicit-def: $sgpr29
	v_cmp_ge_i32_e32 vcc, s38, v6
	v_readfirstlane_b32 s31, v6
	s_cbranch_vccz .LBB2_25
; %bb.20:                               ;   in Loop: Header=BB2_19 Depth=2
	s_cmp_le_i32 s38, s31
                                        ; implicit-def: $sgpr29
                                        ; implicit-def: $sgpr37
                                        ; implicit-def: $sgpr36
	s_cbranch_scc0 .LBB2_22
; %bb.21:                               ;   in Loop: Header=BB2_19 Depth=2
	s_add_i32 s29, s33, s13
	s_lshl_b32 s34, s25, 2
	v_mov_b32_e32 v6, s34
	v_mov_b32_e32 v7, s29
	;; [unrolled: 1-line block ×3, first 2 shown]
	ds_write2_b32 v6, v8, v7 offset1:32
	s_add_i32 s36, s33, 1
	s_add_i32 s37, s30, 1
	;; [unrolled: 1-line block ×3, first 2 shown]
	s_mov_b64 s[34:35], 0
.LBB2_22:                               ;   in Loop: Header=BB2_19 Depth=2
	s_andn2_b64 vcc, exec, s[34:35]
	s_cbranch_vccnz .LBB2_24
; %bb.23:                               ;   in Loop: Header=BB2_19 Depth=2
	s_add_i32 s36, s33, 1
	s_mov_b32 s29, s25
	s_mov_b32 s37, s30
.LBB2_24:                               ;   in Loop: Header=BB2_19 Depth=2
	s_mov_b64 s[34:35], 0
.LBB2_25:                               ;   in Loop: Header=BB2_19 Depth=2
	s_andn2_b64 vcc, exec, s[34:35]
	s_cbranch_vccnz .LBB2_27
; %bb.26:                               ;   in Loop: Header=BB2_19 Depth=2
	s_add_i32 s37, s30, 1
	s_mov_b32 s36, s33
	s_mov_b32 s29, s25
.LBB2_27:                               ;   in Loop: Header=BB2_19 Depth=2
	s_cmp_le_i32 s37, s24
	s_cselect_b64 s[34:35], -1, 0
	s_cmp_le_i32 s31, s28
	s_cselect_b64 s[30:31], -1, 0
	s_and_b64 s[30:31], s[34:35], s[30:31]
	s_and_b64 vcc, exec, s[30:31]
	s_cbranch_vccz .LBB2_29
; %bb.28:                               ;   in Loop: Header=BB2_19 Depth=2
	s_mov_b32 s25, s29
	s_mov_b32 s30, s37
	;; [unrolled: 1-line block ×3, first 2 shown]
	s_branch .LBB2_19
.LBB2_29:                               ;   in Loop: Header=BB2_16 Depth=1
	s_add_u32 s26, s10, s26
	s_addc_u32 s27, s11, s27
	s_waitcnt lgkmcnt(0)
.LBB2_30:                               ;   Parent Loop BB2_16 Depth=1
                                        ; =>  This Inner Loop Header: Depth=2
	global_load_dword v6, v0, s[26:27] glc
	s_waitcnt vmcnt(0)
	v_cmp_eq_u32_e32 vcc, 0, v6
	s_cbranch_vccnz .LBB2_30
; %bb.31:                               ;   in Loop: Header=BB2_16 Depth=1
	s_ashr_i32 s25, s24, 31
	s_lshl_b64 s[24:25], s[24:25], 2
	s_add_u32 s24, s20, s24
	s_addc_u32 s25, s21, s25
	buffer_wbinvl1_vol
	global_load_dword v6, v0, s[24:25]
	s_cmp_lt_i32 s29, 2
	s_waitcnt vmcnt(0)
	ds_write_b32 v4, v6
	v_mov_b32_e32 v6, 0
	s_waitcnt lgkmcnt(0)
	s_cbranch_scc1 .LBB2_49
; %bb.32:                               ;   in Loop: Header=BB2_16 Depth=1
	s_and_b64 vcc, exec, s[0:1]
	s_add_i32 s26, s29, -1
	s_cbranch_vccnz .LBB2_37
; %bb.33:                               ;   in Loop: Header=BB2_16 Depth=1
	s_add_i32 s24, s29, -2
	s_cmp_lt_u32 s24, 7
	s_cbranch_scc1 .LBB2_38
; %bb.34:                               ;   in Loop: Header=BB2_16 Depth=1
	s_and_b32 s24, s26, -8
	s_mov_b32 s25, 0
	s_mov_b32 s27, 0
	v_mov_b32_e32 v6, 0
.LBB2_35:                               ;   Parent Loop BB2_16 Depth=1
                                        ; =>  This Inner Loop Header: Depth=2
	v_mov_b32_e32 v7, s25
	ds_read_b128 v[8:11], v7
	ds_read_b128 v[12:15], v7 offset:128
	ds_read_b128 v[16:19], v7 offset:16
	;; [unrolled: 1-line block ×3, first 2 shown]
	s_add_i32 s27, s27, 8
	s_waitcnt lgkmcnt(3)
	v_ashrrev_i32_e32 v25, 31, v8
	v_mov_b32_e32 v24, v8
	s_waitcnt lgkmcnt(2)
	v_ashrrev_i32_e32 v27, 31, v12
	v_mov_b32_e32 v26, v12
	v_ashrrev_i32_e32 v29, 31, v9
	v_mov_b32_e32 v28, v9
	v_ashrrev_i32_e32 v9, 31, v13
	v_mov_b32_e32 v8, v13
	v_ashrrev_i32_e32 v13, 31, v10
	v_mov_b32_e32 v12, v10
	v_ashrrev_i32_e32 v31, 31, v14
	v_mov_b32_e32 v30, v14
	v_ashrrev_i32_e32 v33, 31, v11
	v_mov_b32_e32 v32, v11
	v_ashrrev_i32_e32 v11, 31, v15
	v_mov_b32_e32 v10, v15
	s_waitcnt lgkmcnt(1)
	v_ashrrev_i32_e32 v15, 31, v16
	v_mov_b32_e32 v14, v16
	s_waitcnt lgkmcnt(0)
	v_ashrrev_i32_e32 v35, 31, v20
	v_mov_b32_e32 v34, v20
	v_ashrrev_i32_e32 v37, 31, v17
	v_mov_b32_e32 v36, v17
	v_ashrrev_i32_e32 v17, 31, v21
	v_mov_b32_e32 v16, v21
	v_ashrrev_i32_e32 v21, 31, v18
	v_mov_b32_e32 v20, v18
	v_ashrrev_i32_e32 v39, 31, v22
	v_mov_b32_e32 v38, v22
	v_ashrrev_i32_e32 v41, 31, v19
	v_mov_b32_e32 v40, v19
	v_ashrrev_i32_e32 v19, 31, v23
	v_mov_b32_e32 v18, v23
	v_lshlrev_b64 v[22:23], 2, v[24:25]
	v_add_co_u32_e32 v22, vcc, s20, v22
	v_lshlrev_b64 v[24:25], 2, v[26:27]
	v_addc_co_u32_e32 v23, vcc, v2, v23, vcc
	v_add_co_u32_e32 v24, vcc, s20, v24
	v_lshlrev_b64 v[26:27], 2, v[28:29]
	v_addc_co_u32_e32 v25, vcc, v2, v25, vcc
	;; [unrolled: 3-line block ×15, first 2 shown]
	v_add_co_u32_e32 v18, vcc, s20, v18
	v_addc_co_u32_e32 v19, vcc, v2, v19, vcc
	global_load_dword v7, v[22:23], off
	global_load_dword v40, v[26:27], off
	;; [unrolled: 1-line block ×15, first 2 shown]
                                        ; kill: killed $vgpr32 killed $vgpr33
                                        ; kill: killed $vgpr22 killed $vgpr23
                                        ; kill: killed $vgpr10 killed $vgpr11
                                        ; kill: killed $vgpr36 killed $vgpr37
                                        ; kill: killed $vgpr12 killed $vgpr13
                                        ; kill: killed $vgpr34 killed $vgpr35
                                        ; kill: killed $vgpr24 killed $vgpr25
                                        ; kill: killed $vgpr38 killed $vgpr39
                                        ; kill: killed $vgpr28 killed $vgpr29
                                        ; kill: killed $vgpr16 killed $vgpr17
                                        ; kill: killed $vgpr26 killed $vgpr27
                                        ; kill: killed $vgpr14 killed $vgpr15
                                        ; kill: killed $vgpr30 killed $vgpr31
                                        ; kill: killed $vgpr20 killed $vgpr21
                                        ; kill: killed $vgpr8 killed $vgpr9
	global_load_dword v8, v[18:19], off
	s_add_i32 s25, s25, 32
	s_cmp_eq_u32 s24, s27
	s_waitcnt vmcnt(11)
	v_fmac_f32_e32 v6, v7, v43
	s_waitcnt vmcnt(10)
	v_fmac_f32_e32 v6, v40, v44
	;; [unrolled: 2-line block ×8, first 2 shown]
	s_cbranch_scc0 .LBB2_35
; %bb.36:                               ;   in Loop: Header=BB2_16 Depth=1
	s_and_b32 s25, s26, 7
	s_cmp_eq_u32 s25, 0
	s_cbranch_scc0 .LBB2_39
	s_branch .LBB2_41
.LBB2_37:                               ;   in Loop: Header=BB2_16 Depth=1
                                        ; implicit-def: $vgpr6
	s_cbranch_execnz .LBB2_42
	s_branch .LBB2_49
.LBB2_38:                               ;   in Loop: Header=BB2_16 Depth=1
	s_mov_b32 s24, 0
	v_mov_b32_e32 v6, 0
	s_and_b32 s25, s26, 7
	s_cmp_eq_u32 s25, 0
	s_cbranch_scc1 .LBB2_41
.LBB2_39:                               ;   in Loop: Header=BB2_16 Depth=1
	s_lshl_b32 s24, s24, 2
.LBB2_40:                               ;   Parent Loop BB2_16 Depth=1
                                        ; =>  This Inner Loop Header: Depth=2
	v_mov_b32_e32 v7, s24
	ds_read2_b32 v[8:9], v7 offset1:32
	v_mov_b32_e32 v14, s21
	s_add_i32 s24, s24, 4
	s_add_i32 s25, s25, -1
	s_cmp_lg_u32 s25, 0
	s_waitcnt lgkmcnt(0)
	v_ashrrev_i32_e32 v11, 31, v8
	v_mov_b32_e32 v10, v8
	v_ashrrev_i32_e32 v13, 31, v9
	v_mov_b32_e32 v12, v9
	v_lshlrev_b64 v[8:9], 2, v[10:11]
	v_add_co_u32_e32 v8, vcc, s20, v8
	v_lshlrev_b64 v[10:11], 2, v[12:13]
	v_addc_co_u32_e32 v9, vcc, v14, v9, vcc
	v_add_co_u32_e32 v10, vcc, s20, v10
	v_addc_co_u32_e32 v11, vcc, v14, v11, vcc
	global_load_dword v7, v[8:9], off
	global_load_dword v12, v[10:11], off
	s_waitcnt vmcnt(0)
	v_fmac_f32_e32 v6, v7, v12
	s_cbranch_scc1 .LBB2_40
.LBB2_41:                               ;   in Loop: Header=BB2_16 Depth=1
	s_branch .LBB2_49
.LBB2_42:                               ;   in Loop: Header=BB2_16 Depth=1
	s_add_i32 s24, s29, -2
	s_cmp_lt_u32 s24, 7
	s_cbranch_scc1 .LBB2_46
; %bb.43:                               ;   in Loop: Header=BB2_16 Depth=1
	s_and_b32 s24, s26, -8
	s_mov_b32 s25, 0
	s_mov_b32 s27, 0
	v_mov_b32_e32 v6, 0
.LBB2_44:                               ;   Parent Loop BB2_16 Depth=1
                                        ; =>  This Inner Loop Header: Depth=2
	v_mov_b32_e32 v7, s25
	ds_read_b128 v[8:11], v7
	ds_read_b128 v[12:15], v7 offset:128
	ds_read_b128 v[16:19], v7 offset:16
	;; [unrolled: 1-line block ×3, first 2 shown]
	v_mov_b32_e32 v42, s21
	s_waitcnt lgkmcnt(3)
	v_ashrrev_i32_e32 v25, 31, v8
	v_mov_b32_e32 v24, v8
	s_waitcnt lgkmcnt(2)
	v_ashrrev_i32_e32 v27, 31, v12
	v_mov_b32_e32 v26, v12
	v_ashrrev_i32_e32 v29, 31, v9
	v_mov_b32_e32 v28, v9
	;; [unrolled: 2-line block ×7, first 2 shown]
	s_waitcnt lgkmcnt(1)
	v_ashrrev_i32_e32 v15, 31, v16
	v_mov_b32_e32 v14, v16
	s_waitcnt lgkmcnt(0)
	v_ashrrev_i32_e32 v35, 31, v20
	v_mov_b32_e32 v34, v20
	v_ashrrev_i32_e32 v37, 31, v17
	v_mov_b32_e32 v36, v17
	;; [unrolled: 2-line block ×7, first 2 shown]
	v_lshlrev_b64 v[22:23], 2, v[24:25]
	v_add_co_u32_e32 v22, vcc, s20, v22
	v_lshlrev_b64 v[24:25], 2, v[26:27]
	v_addc_co_u32_e32 v23, vcc, v42, v23, vcc
	v_add_co_u32_e32 v24, vcc, s20, v24
	v_lshlrev_b64 v[26:27], 2, v[28:29]
	v_addc_co_u32_e32 v25, vcc, v42, v25, vcc
	;; [unrolled: 3-line block ×15, first 2 shown]
	v_add_co_u32_e32 v18, vcc, s20, v18
	v_addc_co_u32_e32 v19, vcc, v42, v19, vcc
	global_load_dword v7, v[22:23], off
	global_load_dword v40, v[26:27], off
	;; [unrolled: 1-line block ×15, first 2 shown]
                                        ; kill: killed $vgpr24 killed $vgpr25
                                        ; kill: killed $vgpr38 killed $vgpr39
                                        ; kill: killed $vgpr28 killed $vgpr29
                                        ; kill: killed $vgpr16 killed $vgpr17
                                        ; kill: killed $vgpr26 killed $vgpr27
                                        ; kill: killed $vgpr14 killed $vgpr15
                                        ; kill: killed $vgpr30 killed $vgpr31
                                        ; kill: killed $vgpr20 killed $vgpr21
                                        ; kill: killed $vgpr8 killed $vgpr9
                                        ; kill: killed $vgpr32 killed $vgpr33
                                        ; kill: killed $vgpr22 killed $vgpr23
                                        ; kill: killed $vgpr10 killed $vgpr11
                                        ; kill: killed $vgpr36 killed $vgpr37
                                        ; kill: killed $vgpr12 killed $vgpr13
                                        ; kill: killed $vgpr34 killed $vgpr35
	global_load_dword v8, v[18:19], off
	s_add_i32 s27, s27, 8
	s_add_i32 s25, s25, 32
	s_cmp_lg_u32 s24, s27
	s_waitcnt vmcnt(11)
	v_fmac_f32_e32 v6, v7, v43
	s_waitcnt vmcnt(10)
	v_fmac_f32_e32 v6, v40, v44
	;; [unrolled: 2-line block ×8, first 2 shown]
	s_cbranch_scc1 .LBB2_44
; %bb.45:                               ;   in Loop: Header=BB2_16 Depth=1
	s_and_b32 s25, s26, 7
	s_cmp_eq_u32 s25, 0
	s_cbranch_scc0 .LBB2_47
	s_branch .LBB2_49
.LBB2_46:                               ;   in Loop: Header=BB2_16 Depth=1
	s_mov_b32 s24, 0
	v_mov_b32_e32 v6, 0
	s_and_b32 s25, s26, 7
	s_cmp_eq_u32 s25, 0
	s_cbranch_scc1 .LBB2_49
.LBB2_47:                               ;   in Loop: Header=BB2_16 Depth=1
	s_lshl_b32 s24, s24, 2
.LBB2_48:                               ;   Parent Loop BB2_16 Depth=1
                                        ; =>  This Inner Loop Header: Depth=2
	v_mov_b32_e32 v7, s24
	ds_read2_b32 v[8:9], v7 offset1:32
	v_mov_b32_e32 v14, s21
	s_add_i32 s24, s24, 4
	s_add_i32 s25, s25, -1
	s_cmp_eq_u32 s25, 0
	s_waitcnt lgkmcnt(0)
	v_ashrrev_i32_e32 v11, 31, v8
	v_mov_b32_e32 v10, v8
	v_ashrrev_i32_e32 v13, 31, v9
	v_mov_b32_e32 v12, v9
	v_lshlrev_b64 v[8:9], 2, v[10:11]
	v_add_co_u32_e32 v8, vcc, s20, v8
	v_lshlrev_b64 v[10:11], 2, v[12:13]
	v_addc_co_u32_e32 v9, vcc, v14, v9, vcc
	v_add_co_u32_e32 v10, vcc, s20, v10
	v_addc_co_u32_e32 v11, vcc, v14, v11, vcc
	global_load_dword v7, v[8:9], off
	global_load_dword v12, v[10:11], off
	s_waitcnt vmcnt(0)
	v_fmac_f32_e32 v6, v7, v12
	s_cbranch_scc0 .LBB2_48
.LBB2_49:                               ;   in Loop: Header=BB2_16 Depth=1
	ds_write_b32 v3, v6
	s_waitcnt lgkmcnt(0)
	ds_read_b32 v7, v0 offset:384
	ds_read_b32 v6, v1
	s_waitcnt lgkmcnt(1)
	v_cmp_eq_f32_e32 vcc, 0, v7
	s_cbranch_vccz .LBB2_53
; %bb.50:                               ;   in Loop: Header=BB2_16 Depth=1
	v_mbcnt_lo_u32_b32 v7, exec_lo, 0
	v_mbcnt_hi_u32_b32 v7, exec_hi, v7
	v_cmp_ne_u32_e32 vcc, 0, v7
	s_and_b64 s[24:25], vcc, exec
	s_cbranch_scc1 .LBB2_52
; %bb.51:                               ;   in Loop: Header=BB2_16 Depth=1
	v_mov_b32_e32 v7, s5
	global_atomic_smin v0, v7, s[14:15]
.LBB2_52:                               ;   in Loop: Header=BB2_16 Depth=1
	v_mov_b32_e32 v7, 1.0
	s_branch .LBB2_54
.LBB2_53:                               ;   in Loop: Header=BB2_16 Depth=1
	v_cmp_neq_f32_e32 vcc, 0, v7
	v_cndmask_b32_e32 v7, 1.0, v7, vcc
.LBB2_54:                               ;   in Loop: Header=BB2_16 Depth=1
	ds_read_b32 v8, v3
	s_add_i32 s4, s4, 1
	s_cmp_ge_i32 s4, s12
	s_waitcnt lgkmcnt(0)
	v_sub_f32_e32 v6, v6, v8
	v_div_scale_f32 v8, s[24:25], v7, v7, v6
	v_rcp_f32_e32 v9, v8
	v_div_scale_f32 v10, vcc, v6, v7, v6
	v_fma_f32 v11, -v8, v9, 1.0
	v_fmac_f32_e32 v9, v11, v9
	v_mul_f32_e32 v11, v10, v9
	v_fma_f32 v12, -v8, v11, v10
	v_fmac_f32_e32 v11, v12, v9
	v_fma_f32 v8, -v8, v11, v10
	v_div_fmas_f32 v8, v8, v9, v11
	v_div_fixup_f32 v6, v8, v7, v6
	ds_write_b32 v1, v6
	s_waitcnt lgkmcnt(0)
	ds_read_b32 v7, v1
	ds_read_b32 v8, v5
	s_waitcnt lgkmcnt(0)
	v_fmac_f32_e32 v8, v6, v7
	ds_write_b32 v5, v8
	s_waitcnt lgkmcnt(0)
	ds_read_b32 v6, v1
	s_waitcnt lgkmcnt(0)
	global_store_dword v0, v6, s[22:23]
	s_cselect_b64 s[22:23], -1, 0
	s_waitcnt vmcnt(0)
	buffer_wbinvl1_vol
	s_and_b64 vcc, exec, s[22:23]
	s_cbranch_vccz .LBB2_16
.LBB2_55:
	s_ashr_i32 s13, s12, 31
	s_lshl_b64 s[0:1], s[12:13], 2
	s_add_u32 s4, s20, s0
	s_addc_u32 s5, s21, s1
	global_load_dword v1, v0, s[4:5]
	s_waitcnt vmcnt(0)
	ds_write_b32 v0, v1 offset:400
	s_waitcnt lgkmcnt(0)
; %bb.56:
	v_mov_b32_e32 v2, 0
	ds_read2_b32 v[0:1], v2 offset0:100 offset1:102
	s_mov_b32 s0, 0xf800000
	s_waitcnt lgkmcnt(0)
	v_sub_f32_e32 v0, v0, v1
	v_cmp_gt_f32_e32 vcc, 0, v0
	v_cndmask_b32_e64 v0, v0, -v0, vcc
	v_mul_f32_e32 v1, 0x4f800000, v0
	v_cmp_gt_f32_e32 vcc, s0, v0
	v_cndmask_b32_e32 v0, v0, v1, vcc
	v_sqrt_f32_e32 v1, v0
	v_add_u32_e32 v3, -1, v1
	v_add_u32_e32 v4, 1, v1
	v_fma_f32 v5, -v3, v1, v0
	v_fma_f32 v6, -v4, v1, v0
	v_cmp_ge_f32_e64 s[0:1], 0, v5
	v_cndmask_b32_e64 v1, v1, v3, s[0:1]
	v_cmp_lt_f32_e64 s[0:1], 0, v6
	v_cndmask_b32_e64 v1, v1, v4, s[0:1]
	v_mul_f32_e32 v3, 0x37800000, v1
	v_cndmask_b32_e32 v1, v1, v3, vcc
	v_mov_b32_e32 v3, 0x260
	v_cmp_class_f32_e32 vcc, v0, v3
	v_cndmask_b32_e32 v0, v1, v0, vcc
	ds_write_b32 v2, v0 offset:400
; %bb.57:
	v_mov_b32_e32 v0, 0
	s_waitcnt lgkmcnt(0)
	ds_read_b32 v0, v0 offset:400
	s_waitcnt lgkmcnt(0)
	v_cmp_neq_f32_e32 vcc, 0, v0
	s_cbranch_vccnz .LBB2_62
; %bb.58:
; %bb.59:
	v_mbcnt_lo_u32_b32 v0, exec_lo, 0
	v_mbcnt_hi_u32_b32 v0, exec_hi, v0
	v_cmp_ne_u32_e32 vcc, 0, v0
	s_and_b64 s[0:1], vcc, exec
	s_cbranch_scc1 .LBB2_61
; %bb.60:
	s_add_i32 s0, s6, s7
	v_mov_b32_e32 v0, 0
	v_mov_b32_e32 v1, s0
	global_atomic_smin v0, v1, s[14:15]
.LBB2_61:
	v_mov_b32_e32 v0, 1.0
.LBB2_62:
	s_mov_b64 s[0:1], -1
	s_cbranch_execnz .LBB2_64
; %bb.63:
	v_mov_b32_e32 v1, 0
	ds_read2_b32 v[2:3], v1 offset0:100 offset1:102
	v_mov_b32_e32 v5, 0x198
	s_waitcnt lgkmcnt(0)
	v_sub_f32_e32 v2, v2, v3
	v_div_scale_f32 v3, s[8:9], v0, v0, v2
	v_rcp_f32_e32 v4, v3
	v_div_scale_f32 v6, vcc, v2, v0, v2
	v_fma_f32 v7, -v3, v4, 1.0
	v_fmac_f32_e32 v4, v7, v4
	v_mul_f32_e32 v7, v6, v4
	v_fma_f32 v8, -v3, v7, v6
	v_fmac_f32_e32 v7, v8, v4
	v_fma_f32 v3, -v3, v7, v6
	v_div_fmas_f32 v3, v3, v4, v7
	v_div_fixup_f32 v0, v3, v0, v2
	ds_write_b32 v1, v0 offset:400
	s_waitcnt lgkmcnt(0)
	ds_read_b32 v1, v1 offset:400
	ds_read_b32 v2, v5
	s_waitcnt lgkmcnt(0)
	v_fmac_f32_e32 v2, v0, v1
	ds_write_b32 v5, v2
.LBB2_64:
	v_mov_b32_e32 v0, 0x190
	s_waitcnt lgkmcnt(0)
	ds_read_b32 v0, v0
	v_mov_b32_e32 v1, 0
	s_waitcnt lgkmcnt(0)
	global_store_dword v1, v0, s[4:5]
	s_branch .LBB2_67
.LBB2_65:
	s_mov_b64 s[0:1], 0
	s_cbranch_execz .LBB2_67
; %bb.66:
	s_cbranch_execnz .LBB2_70
.LBB2_67:
	s_and_b64 vcc, exec, s[0:1]
	s_cbranch_vccz .LBB2_69
.LBB2_68:
	s_add_u32 s0, s10, s2
	s_addc_u32 s1, s11, s3
	v_mov_b32_e32 v0, 0
	v_mov_b32_e32 v1, 1
	s_waitcnt vmcnt(0)
	global_store_dword v0, v1, s[0:1]
.LBB2_69:
	s_endpgm
.LBB2_70:
	v_mbcnt_lo_u32_b32 v0, exec_lo, 0
	v_mbcnt_hi_u32_b32 v0, exec_hi, v0
	v_cmp_ne_u32_e32 vcc, 0, v0
	s_and_b64 s[0:1], vcc, exec
	s_cbranch_scc0 .LBB2_72
; %bb.71:
	s_cbranch_execnz .LBB2_68
	s_branch .LBB2_69
.LBB2_72:
	s_add_i32 s0, s6, s7
	v_mov_b32_e32 v0, 0
	v_mov_b32_e32 v1, s0
	global_atomic_smin v0, v1, s[14:15]
	s_cbranch_execnz .LBB2_68
	s_branch .LBB2_69
	.section	.rodata,"a",@progbits
	.p2align	6, 0x0
	.amdhsa_kernel _ZN9rocsparseL26bsric0_2_8_unrolled_kernelILi1ELi32ELi1EfEEv20rocsparse_direction_iiPKiS3_PT2_S3_PiS3_S6_21rocsparse_index_base_
		.amdhsa_group_segment_fixed_size 416
		.amdhsa_private_segment_fixed_size 0
		.amdhsa_kernarg_size 76
		.amdhsa_user_sgpr_count 6
		.amdhsa_user_sgpr_private_segment_buffer 1
		.amdhsa_user_sgpr_dispatch_ptr 0
		.amdhsa_user_sgpr_queue_ptr 0
		.amdhsa_user_sgpr_kernarg_segment_ptr 1
		.amdhsa_user_sgpr_dispatch_id 0
		.amdhsa_user_sgpr_flat_scratch_init 0
		.amdhsa_user_sgpr_kernarg_preload_length 0
		.amdhsa_user_sgpr_kernarg_preload_offset 0
		.amdhsa_user_sgpr_private_segment_size 0
		.amdhsa_uses_dynamic_stack 0
		.amdhsa_system_sgpr_private_segment_wavefront_offset 0
		.amdhsa_system_sgpr_workgroup_id_x 1
		.amdhsa_system_sgpr_workgroup_id_y 0
		.amdhsa_system_sgpr_workgroup_id_z 0
		.amdhsa_system_sgpr_workgroup_info 0
		.amdhsa_system_vgpr_workitem_id 0
		.amdhsa_next_free_vgpr 54
		.amdhsa_next_free_sgpr 39
		.amdhsa_accum_offset 56
		.amdhsa_reserve_vcc 1
		.amdhsa_reserve_flat_scratch 0
		.amdhsa_float_round_mode_32 0
		.amdhsa_float_round_mode_16_64 0
		.amdhsa_float_denorm_mode_32 3
		.amdhsa_float_denorm_mode_16_64 3
		.amdhsa_dx10_clamp 1
		.amdhsa_ieee_mode 1
		.amdhsa_fp16_overflow 0
		.amdhsa_tg_split 0
		.amdhsa_exception_fp_ieee_invalid_op 0
		.amdhsa_exception_fp_denorm_src 0
		.amdhsa_exception_fp_ieee_div_zero 0
		.amdhsa_exception_fp_ieee_overflow 0
		.amdhsa_exception_fp_ieee_underflow 0
		.amdhsa_exception_fp_ieee_inexact 0
		.amdhsa_exception_int_div_zero 0
	.end_amdhsa_kernel
	.section	.text._ZN9rocsparseL26bsric0_2_8_unrolled_kernelILi1ELi32ELi1EfEEv20rocsparse_direction_iiPKiS3_PT2_S3_PiS3_S6_21rocsparse_index_base_,"axG",@progbits,_ZN9rocsparseL26bsric0_2_8_unrolled_kernelILi1ELi32ELi1EfEEv20rocsparse_direction_iiPKiS3_PT2_S3_PiS3_S6_21rocsparse_index_base_,comdat
.Lfunc_end2:
	.size	_ZN9rocsparseL26bsric0_2_8_unrolled_kernelILi1ELi32ELi1EfEEv20rocsparse_direction_iiPKiS3_PT2_S3_PiS3_S6_21rocsparse_index_base_, .Lfunc_end2-_ZN9rocsparseL26bsric0_2_8_unrolled_kernelILi1ELi32ELi1EfEEv20rocsparse_direction_iiPKiS3_PT2_S3_PiS3_S6_21rocsparse_index_base_
                                        ; -- End function
	.section	.AMDGPU.csdata,"",@progbits
; Kernel info:
; codeLenInByte = 3996
; NumSgprs: 43
; NumVgprs: 54
; NumAgprs: 0
; TotalNumVgprs: 54
; ScratchSize: 0
; MemoryBound: 0
; FloatMode: 240
; IeeeMode: 1
; LDSByteSize: 416 bytes/workgroup (compile time only)
; SGPRBlocks: 5
; VGPRBlocks: 6
; NumSGPRsForWavesPerEU: 43
; NumVGPRsForWavesPerEU: 54
; AccumOffset: 56
; Occupancy: 8
; WaveLimiterHint : 1
; COMPUTE_PGM_RSRC2:SCRATCH_EN: 0
; COMPUTE_PGM_RSRC2:USER_SGPR: 6
; COMPUTE_PGM_RSRC2:TRAP_HANDLER: 0
; COMPUTE_PGM_RSRC2:TGID_X_EN: 1
; COMPUTE_PGM_RSRC2:TGID_Y_EN: 0
; COMPUTE_PGM_RSRC2:TGID_Z_EN: 0
; COMPUTE_PGM_RSRC2:TIDIG_COMP_CNT: 0
; COMPUTE_PGM_RSRC3_GFX90A:ACCUM_OFFSET: 13
; COMPUTE_PGM_RSRC3_GFX90A:TG_SPLIT: 0
	.section	.text._ZN9rocsparseL26bsric0_2_8_unrolled_kernelILi4ELi32ELi2EfEEv20rocsparse_direction_iiPKiS3_PT2_S3_PiS3_S6_21rocsparse_index_base_,"axG",@progbits,_ZN9rocsparseL26bsric0_2_8_unrolled_kernelILi4ELi32ELi2EfEEv20rocsparse_direction_iiPKiS3_PT2_S3_PiS3_S6_21rocsparse_index_base_,comdat
	.globl	_ZN9rocsparseL26bsric0_2_8_unrolled_kernelILi4ELi32ELi2EfEEv20rocsparse_direction_iiPKiS3_PT2_S3_PiS3_S6_21rocsparse_index_base_ ; -- Begin function _ZN9rocsparseL26bsric0_2_8_unrolled_kernelILi4ELi32ELi2EfEEv20rocsparse_direction_iiPKiS3_PT2_S3_PiS3_S6_21rocsparse_index_base_
	.p2align	8
	.type	_ZN9rocsparseL26bsric0_2_8_unrolled_kernelILi4ELi32ELi2EfEEv20rocsparse_direction_iiPKiS3_PT2_S3_PiS3_S6_21rocsparse_index_base_,@function
_ZN9rocsparseL26bsric0_2_8_unrolled_kernelILi4ELi32ELi2EfEEv20rocsparse_direction_iiPKiS3_PT2_S3_PiS3_S6_21rocsparse_index_base_: ; @_ZN9rocsparseL26bsric0_2_8_unrolled_kernelILi4ELi32ELi2EfEEv20rocsparse_direction_iiPKiS3_PT2_S3_PiS3_S6_21rocsparse_index_base_
; %bb.0:
	s_load_dwordx8 s[8:15], s[4:5], 0x28
	s_mov_b32 s7, 0
	s_lshl_b64 s[0:1], s[6:7], 2
	v_and_b32_e32 v12, 0x3ff, v0
	v_bfe_u32 v13, v0, 10, 10
	s_waitcnt lgkmcnt(0)
	s_add_u32 s0, s12, s0
	s_addc_u32 s1, s13, s1
	s_load_dword s12, s[0:1], 0x0
	s_waitcnt lgkmcnt(0)
	s_ashr_i32 s13, s12, 31
	s_lshl_b64 s[6:7], s[12:13], 2
	s_add_u32 s0, s8, s6
	s_addc_u32 s1, s9, s7
	s_load_dword s30, s[0:1], 0x0
	s_load_dword s13, s[4:5], 0x48
	s_waitcnt lgkmcnt(0)
	s_cmp_lg_u32 s30, -1
	s_cbranch_scc0 .LBB3_16
; %bb.1:
	s_load_dwordx4 s[16:19], s[4:5], 0x10
	v_lshlrev_b32_e32 v15, 1, v13
	v_add_u32_e32 v14, v15, v12
	s_waitcnt lgkmcnt(0)
	s_add_u32 s0, s16, s6
	s_addc_u32 s1, s17, s7
	s_load_dword s24, s[0:1], 0x0
	s_waitcnt lgkmcnt(0)
	s_sub_i32 s31, s24, s13
	v_add_u32_e32 v0, s31, v14
	v_cmp_ge_i32_e32 vcc, s30, v0
	s_and_saveexec_b64 s[0:1], vcc
	s_cbranch_execz .LBB3_14
; %bb.2:
	v_add_u32_e32 v1, s24, v14
	v_subrev_u32_e32 v1, s13, v1
	v_add_u32_e32 v1, 4, v1
	s_add_i32 s2, s30, 1
	v_max_i32_e32 v1, s2, v1
	v_not_b32_e32 v2, v12
	v_add3_u32 v1, v1, s13, v2
	v_add_u32_e32 v2, s24, v15
	v_sub_u32_e32 v1, v1, v2
	v_cmp_lt_u32_e32 vcc, 3, v1
	s_mov_b64 s[20:21], -1
	s_and_saveexec_b64 s[2:3], vcc
	s_cbranch_execz .LBB3_11
; %bb.3:
	v_lshrrev_b32_e32 v16, 2, v1
	v_add_u32_e32 v2, -1, v16
	v_add_u32_e32 v1, 4, v0
	v_lshrrev_b32_e32 v3, 1, v2
	v_add_u32_e32 v17, 1, v3
	v_cmp_lt_u32_e32 vcc, 13, v2
	v_pk_mov_b32 v[2:3], v[0:1], v[0:1] op_sel:[0,1]
	s_and_saveexec_b64 s[20:21], vcc
	s_cbranch_execz .LBB3_7
; %bb.4:
	v_and_b32_e32 v18, -8, v17
	s_mov_b64 s[22:23], 0
	v_mov_b32_e32 v19, s19
	v_pk_mov_b32 v[2:3], v[0:1], v[0:1] op_sel:[0,1]
.LBB3_5:                                ; =>This Inner Loop Header: Depth=1
	v_ashrrev_i32_e32 v23, 31, v2
	v_mov_b32_e32 v22, v2
	v_lshlrev_b64 v[22:23], 2, v[22:23]
	v_ashrrev_i32_e32 v21, 31, v3
	v_mov_b32_e32 v20, v3
	v_add_co_u32_e32 v22, vcc, s18, v22
	v_add_u32_e32 v4, 8, v2
	v_lshlrev_b64 v[20:21], 2, v[20:21]
	v_addc_co_u32_e32 v23, vcc, v19, v23, vcc
	v_ashrrev_i32_e32 v5, 31, v4
	v_add_co_u32_e32 v20, vcc, s18, v20
	v_add_u32_e32 v6, 8, v3
	v_addc_co_u32_e32 v21, vcc, v19, v21, vcc
	v_lshlrev_b64 v[42:43], 2, v[4:5]
	v_ashrrev_i32_e32 v7, 31, v6
	v_add_co_u32_e32 v42, vcc, s18, v42
	v_add_u32_e32 v8, 16, v2
	v_lshlrev_b64 v[44:45], 2, v[6:7]
	v_addc_co_u32_e32 v43, vcc, v19, v43, vcc
	v_ashrrev_i32_e32 v9, 31, v8
	v_add_co_u32_e32 v44, vcc, s18, v44
	v_add_u32_e32 v10, 16, v3
	v_lshlrev_b64 v[46:47], 2, v[8:9]
	v_addc_co_u32_e32 v45, vcc, v19, v45, vcc
	;; [unrolled: 5-line block ×11, first 2 shown]
	v_ashrrev_i32_e32 v41, 31, v40
	v_add_co_u32_e32 v64, vcc, s18, v64
	v_addc_co_u32_e32 v65, vcc, v19, v65, vcc
	v_lshlrev_b64 v[66:67], 2, v[40:41]
	v_add_u32_e32 v68, 56, v3
	v_add_co_u32_e32 v66, vcc, s18, v66
	v_ashrrev_i32_e32 v69, 31, v68
	v_addc_co_u32_e32 v67, vcc, v19, v67, vcc
	v_lshlrev_b64 v[70:71], 2, v[68:69]
	v_add_co_u32_e32 v70, vcc, s18, v70
	v_addc_co_u32_e32 v71, vcc, v19, v71, vcc
	global_load_dword v1, v[20:21], off
	global_load_dword v5, v[22:23], off
	;; [unrolled: 1-line block ×15, first 2 shown]
                                        ; kill: killed $vgpr70 killed $vgpr71
                                        ; kill: killed $vgpr42 killed $vgpr43
                                        ; kill: killed $vgpr64 killed $vgpr65
                                        ; kill: killed $vgpr62 killed $vgpr63
                                        ; kill: killed $vgpr60 killed $vgpr61
                                        ; kill: killed $vgpr20 killed $vgpr21
                                        ; kill: killed $vgpr56 killed $vgpr57
                                        ; kill: killed $vgpr58 killed $vgpr59
                                        ; kill: killed $vgpr22 killed $vgpr23
                                        ; kill: killed $vgpr52 killed $vgpr53
                                        ; kill: killed $vgpr54 killed $vgpr55
                                        ; kill: killed $vgpr48 killed $vgpr49
                                        ; kill: killed $vgpr50 killed $vgpr51
                                        ; kill: killed $vgpr44 killed $vgpr45
                                        ; kill: killed $vgpr46 killed $vgpr47
	global_load_dword v20, v[66:67], off
	v_subrev_u32_e32 v22, s31, v2
	v_add_u32_e32 v18, -8, v18
	v_subrev_u32_e32 v21, s31, v3
	v_lshlrev_b32_e32 v22, 2, v22
	v_subrev_u32_e32 v4, s31, v4
	v_cmp_eq_u32_e32 vcc, 0, v18
	v_add_u32_e32 v3, 64, v3
	v_add_u32_e32 v2, 64, v2
	v_lshlrev_b32_e32 v21, 2, v21
	v_subrev_u32_e32 v6, s31, v6
	v_subrev_u32_e32 v10, s31, v10
	;; [unrolled: 1-line block ×13, first 2 shown]
	v_lshlrev_b32_e32 v4, 2, v4
	s_or_b64 s[22:23], vcc, s[22:23]
	v_lshlrev_b32_e32 v6, 2, v6
	v_lshlrev_b32_e32 v8, 2, v8
	;; [unrolled: 1-line block ×13, first 2 shown]
	s_waitcnt vmcnt(15)
	v_subrev_u32_e32 v1, s13, v1
	s_waitcnt vmcnt(14)
	v_subrev_u32_e32 v5, s13, v5
	ds_write_b32 v22, v5 offset:256
	ds_write_b32 v21, v1 offset:256
	s_waitcnt vmcnt(12)
	v_subrev_u32_e32 v5, s13, v9
	v_subrev_u32_e32 v1, s13, v7
	s_waitcnt vmcnt(11)
	v_subrev_u32_e32 v7, s13, v11
	s_waitcnt vmcnt(10)
	;; [unrolled: 2-line block ×12, first 2 shown]
	v_subrev_u32_e32 v20, s13, v20
	ds_write_b32 v4, v5 offset:256
	ds_write_b32 v6, v1 offset:256
	;; [unrolled: 1-line block ×14, first 2 shown]
	s_andn2_b64 exec, exec, s[22:23]
	s_cbranch_execnz .LBB3_5
; %bb.6:
	s_or_b64 exec, exec, s[22:23]
.LBB3_7:
	s_or_b64 exec, exec, s[20:21]
	v_and_b32_e32 v1, 7, v17
	v_cmp_ne_u32_e32 vcc, 0, v1
	s_and_saveexec_b64 s[20:21], vcc
	s_cbranch_execz .LBB3_10
; %bb.8:
	s_mov_b64 s[22:23], 0
	v_mov_b32_e32 v4, s19
.LBB3_9:                                ; =>This Inner Loop Header: Depth=1
	v_ashrrev_i32_e32 v9, 31, v2
	v_mov_b32_e32 v8, v2
	v_lshlrev_b64 v[8:9], 2, v[8:9]
	v_ashrrev_i32_e32 v7, 31, v3
	v_mov_b32_e32 v6, v3
	v_add_co_u32_e32 v8, vcc, s18, v8
	v_lshlrev_b64 v[6:7], 2, v[6:7]
	v_addc_co_u32_e32 v9, vcc, v4, v9, vcc
	v_add_co_u32_e32 v6, vcc, s18, v6
	v_addc_co_u32_e32 v7, vcc, v4, v7, vcc
	global_load_dword v5, v[6:7], off
	global_load_dword v10, v[8:9], off
	v_add_u32_e32 v1, -1, v1
	v_subrev_u32_e32 v7, s31, v2
	v_cmp_eq_u32_e32 vcc, 0, v1
	v_subrev_u32_e32 v6, s31, v3
	v_add_u32_e32 v3, 8, v3
	v_add_u32_e32 v2, 8, v2
	v_lshlrev_b32_e32 v7, 2, v7
	s_or_b64 s[22:23], vcc, s[22:23]
	v_lshlrev_b32_e32 v6, 2, v6
	s_waitcnt vmcnt(1)
	v_subrev_u32_e32 v5, s13, v5
	s_waitcnt vmcnt(0)
	v_subrev_u32_e32 v8, s13, v10
	ds_write_b32 v7, v8 offset:256
	ds_write_b32 v6, v5 offset:256
	s_andn2_b64 exec, exec, s[22:23]
	s_cbranch_execnz .LBB3_9
.LBB3_10:
	s_or_b64 exec, exec, s[20:21]
	v_add_u32_e32 v1, 1, v16
	v_and_b32_e32 v2, 0x7ffffffe, v1
	v_cmp_ne_u32_e32 vcc, v1, v2
	v_lshl_add_u32 v0, v2, 2, v0
	s_orn2_b64 s[20:21], vcc, exec
.LBB3_11:
	s_or_b64 exec, exec, s[2:3]
	s_and_b64 exec, exec, s[20:21]
	s_cbranch_execz .LBB3_14
; %bb.12:
	v_add_u32_e32 v1, s13, v0
	v_subrev_u32_e32 v1, s24, v1
	v_mov_b32_e32 v2, 0x100
	v_lshl_add_u32 v4, v1, 2, v2
	v_ashrrev_i32_e32 v1, 31, v0
	v_lshlrev_b64 v[2:3], 2, v[0:1]
	v_mov_b32_e32 v1, s19
	v_add_co_u32_e32 v2, vcc, s18, v2
	v_addc_co_u32_e32 v3, vcc, v1, v3, vcc
	s_mov_b64 s[2:3], 0
.LBB3_13:                               ; =>This Inner Loop Header: Depth=1
	global_load_dword v1, v[2:3], off
	v_add_co_u32_e32 v2, vcc, 16, v2
	v_add_u32_e32 v0, 4, v0
	v_addc_co_u32_e32 v3, vcc, 0, v3, vcc
	v_cmp_lt_i32_e32 vcc, s30, v0
	s_or_b64 s[2:3], vcc, s[2:3]
	s_waitcnt vmcnt(0)
	v_subrev_u32_e32 v1, s13, v1
	ds_write_b32 v4, v1
	v_add_u32_e32 v4, 16, v4
	s_andn2_b64 exec, exec, s[2:3]
	s_cbranch_execnz .LBB3_13
.LBB3_14:
	s_or_b64 exec, exec, s[0:1]
	s_load_dwordx2 s[2:3], s[4:5], 0x20
	v_lshlrev_b32_e32 v0, 2, v12
	v_mad_u32_u24 v6, v13, 12, v0
	v_mov_b32_e32 v1, 0
	s_cmp_lt_i32 s31, s30
	ds_write_b32 v6, v1 offset:480
	s_waitcnt lgkmcnt(0)
	s_cbranch_scc1 .LBB3_17
; %bb.15:
	v_lshl_add_u32 v7, v12, 1, v13
	v_or_b32_e32 v4, v12, v13
	s_load_dword s33, s[4:5], 0x0
	v_add_u32_e32 v5, 0x1e0, v6
	s_cbranch_execz .LBB3_18
	s_branch .LBB3_63
.LBB3_16:
	s_mov_b64 s[0:1], 0
	s_cbranch_execnz .LBB3_80
	s_branch .LBB3_85
.LBB3_17:
                                        ; implicit-def: $vgpr7
                                        ; implicit-def: $vgpr4
	s_load_dword s33, s[4:5], 0x0
	v_add_u32_e32 v5, 0x1e0, v6
.LBB3_18:
	v_mul_u32_u24_e32 v2, 12, v13
	s_movk_i32 s0, 0x180
	s_waitcnt lgkmcnt(0)
	s_cmp_eq_u32 s33, 0
	v_lshlrev_b32_e32 v8, 1, v12
	v_mov_b32_e32 v1, 0x1c0
	v_add3_u32 v11, v2, v0, s0
	v_mov_b32_e32 v2, 0x1a0
	v_add_u32_e32 v7, v8, v13
	s_cselect_b64 vcc, -1, 0
	s_cmp_lg_u32 s33, 0
	v_mad_u32_u24 v9, v13, 12, v1
	v_mad_u32_u24 v18, v13, 12, v2
	v_or_b32_e32 v4, v12, v13
	s_cselect_b64 s[4:5], -1, 0
	v_add_u32_e32 v10, v9, v0
	v_add_u32_e32 v16, 2, v12
	;; [unrolled: 1-line block ×4, first 2 shown]
	v_cmp_ne_u32_e64 s[0:1], 0, v4
	v_mad_u32_u24 v20, v12, 12, v1
	v_cndmask_b32_e32 v21, v7, v14, vcc
	v_mov_b32_e32 v22, 0
	s_mov_b32 s20, s31
	s_branch .LBB3_22
.LBB3_19:                               ;   in Loop: Header=BB3_22 Depth=1
	s_or_b64 exec, exec, s[24:25]
	v_mov_b32_e32 v3, 1.0
.LBB3_20:                               ;   in Loop: Header=BB3_22 Depth=1
	s_or_b64 exec, exec, s[22:23]
	ds_read_b32 v23, v9
	ds_read_b32 v24, v22 offset:396
	ds_read_b32 v25, v18 offset:4
	s_add_i32 s20, s20, 1
	s_cmp_ge_i32 s20, s30
	s_cselect_b64 s[26:27], -1, 0
	s_waitcnt lgkmcnt(0)
	v_fmac_f32_e32 v25, v24, v23
	v_sub_f32_e32 v2, v2, v25
	v_div_scale_f32 v23, s[22:23], v3, v3, v2
	v_rcp_f32_e32 v24, v23
	v_div_scale_f32 v25, vcc, v2, v3, v2
	v_fma_f32 v26, -v23, v24, 1.0
	v_fmac_f32_e32 v24, v26, v24
	v_mul_f32_e32 v26, v25, v24
	v_fma_f32 v27, -v23, v26, v25
	v_fmac_f32_e32 v26, v27, v24
	v_fma_f32 v23, -v23, v26, v25
	v_div_fmas_f32 v23, v23, v24, v26
	v_div_fixup_f32 v2, v23, v3, v2
	ds_write_b32 v9, v2 offset:4
	s_waitcnt lgkmcnt(0)
	ds_read_b32 v3, v20 offset:4
	ds_read_b32 v23, v5
	s_waitcnt lgkmcnt(0)
	v_fmac_f32_e32 v23, v2, v3
	ds_write_b32 v5, v23
	s_waitcnt lgkmcnt(0)
	ds_read_b32 v2, v10
	s_waitcnt lgkmcnt(0)
	global_store_dword v[0:1], v2, off
	s_waitcnt vmcnt(0)
	buffer_wbinvl1_vol
.LBB3_21:                               ;   in Loop: Header=BB3_22 Depth=1
	s_and_b64 vcc, exec, s[26:27]
	s_cbranch_vccnz .LBB3_63
.LBB3_22:                               ; =>This Loop Header: Depth=1
                                        ;     Child Loop BB3_25 Depth 2
                                        ;     Child Loop BB3_36 Depth 2
	;; [unrolled: 1-line block ×3, first 2 shown]
	s_ashr_i32 s21, s20, 31
	s_lshl_b64 s[22:23], s[20:21], 2
	s_add_u32 s22, s18, s22
	s_addc_u32 s23, s19, s23
	s_load_dword s21, s[22:23], 0x0
	s_waitcnt lgkmcnt(0)
	s_sub_i32 s24, s21, s13
	s_ashr_i32 s25, s24, 31
	s_lshl_b64 s[22:23], s[24:25], 2
	s_add_u32 s26, s8, s22
	s_addc_u32 s27, s9, s23
	s_load_dword s25, s[26:27], 0x0
	s_mov_b64 s[26:27], -1
	s_waitcnt lgkmcnt(0)
	s_cmp_eq_u32 s25, -1
	s_cbranch_scc1 .LBB3_21
; %bb.23:                               ;   in Loop: Header=BB3_22 Depth=1
	v_lshl_add_u32 v0, s20, 2, v21
	v_ashrrev_i32_e32 v1, 31, v0
	v_lshlrev_b64 v[0:1], 2, v[0:1]
	v_mov_b32_e32 v2, s3
	v_add_co_u32_e32 v0, vcc, s2, v0
	v_addc_co_u32_e32 v1, vcc, v2, v1, vcc
	global_load_dword v2, v[0:1], off
	s_add_u32 s26, s16, s22
	s_addc_u32 s27, s17, s23
	s_load_dword s26, s[26:27], 0x0
	ds_read_b32 v3, v22 offset:256
	s_mov_b32 s27, 0
	s_waitcnt lgkmcnt(0)
	s_sub_i32 s26, s26, s13
	s_cmp_le_i32 s26, s25
	v_cmp_ge_i32_e32 vcc, s24, v3
	s_cselect_b64 s[28:29], -1, 0
	s_and_b64 s[28:29], s[28:29], vcc
	s_andn2_b64 vcc, exec, s[28:29]
	s_waitcnt vmcnt(0)
	ds_write_b32 v10, v2
	s_cbranch_vccnz .LBB3_35
; %bb.24:                               ;   in Loop: Header=BB3_22 Depth=1
	s_mov_b32 s34, 0
	s_mov_b32 s35, 0
.LBB3_25:                               ;   Parent Loop BB3_22 Depth=1
                                        ; =>  This Inner Loop Header: Depth=2
	s_ashr_i32 s27, s26, 31
	s_lshl_b64 s[28:29], s[26:27], 2
	s_add_u32 s28, s18, s28
	s_addc_u32 s29, s19, s29
	s_load_dword s27, s[28:29], 0x0
	s_lshl_b32 s28, s35, 2
	v_mov_b32_e32 v2, s28
	ds_read_b32 v2, v2 offset:256
	s_mov_b64 s[28:29], -1
	s_waitcnt lgkmcnt(0)
	s_sub_i32 s39, s27, s13
                                        ; implicit-def: $sgpr27
                                        ; implicit-def: $sgpr38
                                        ; implicit-def: $sgpr37
	v_cmp_ge_i32_e32 vcc, s39, v2
	v_readfirstlane_b32 s36, v2
	s_cbranch_vccz .LBB3_31
; %bb.26:                               ;   in Loop: Header=BB3_25 Depth=2
	s_cmp_le_i32 s39, s36
                                        ; implicit-def: $sgpr27
                                        ; implicit-def: $sgpr38
                                        ; implicit-def: $sgpr37
	s_cbranch_scc0 .LBB3_28
; %bb.27:                               ;   in Loop: Header=BB3_25 Depth=2
	s_add_i32 s27, s35, s31
	s_lshl_b32 s27, s27, 2
	s_lshl_b32 s28, s34, 2
	v_mov_b32_e32 v3, s27
	s_lshl_b32 s27, s26, 2
	v_mov_b32_e32 v2, s28
	v_mov_b32_e32 v23, s27
	ds_write2_b32 v2, v23, v3 offset1:32
	s_add_i32 s37, s35, 1
	s_add_i32 s38, s26, 1
	;; [unrolled: 1-line block ×3, first 2 shown]
	s_mov_b64 s[28:29], 0
.LBB3_28:                               ;   in Loop: Header=BB3_25 Depth=2
	s_andn2_b64 vcc, exec, s[28:29]
	s_cbranch_vccnz .LBB3_30
; %bb.29:                               ;   in Loop: Header=BB3_25 Depth=2
	s_add_i32 s37, s35, 1
	s_mov_b32 s27, s34
	s_mov_b32 s38, s26
.LBB3_30:                               ;   in Loop: Header=BB3_25 Depth=2
	s_mov_b64 s[28:29], 0
.LBB3_31:                               ;   in Loop: Header=BB3_25 Depth=2
	s_andn2_b64 vcc, exec, s[28:29]
	s_cbranch_vccnz .LBB3_33
; %bb.32:                               ;   in Loop: Header=BB3_25 Depth=2
	s_add_i32 s38, s26, 1
	s_mov_b32 s37, s35
	s_mov_b32 s27, s34
.LBB3_33:                               ;   in Loop: Header=BB3_25 Depth=2
	s_cmp_le_i32 s38, s25
	s_cselect_b64 s[28:29], -1, 0
	s_cmp_le_i32 s36, s24
	s_cselect_b64 s[34:35], -1, 0
	s_and_b64 s[28:29], s[28:29], s[34:35]
	s_and_b64 vcc, exec, s[28:29]
	s_cbranch_vccz .LBB3_35
; %bb.34:                               ;   in Loop: Header=BB3_25 Depth=2
	s_mov_b32 s34, s27
	s_mov_b32 s26, s38
	s_mov_b32 s35, s37
	s_branch .LBB3_25
.LBB3_35:                               ;   in Loop: Header=BB3_22 Depth=1
	s_add_u32 s22, s10, s22
	s_addc_u32 s23, s11, s23
	s_waitcnt lgkmcnt(0)
.LBB3_36:                               ;   Parent Loop BB3_22 Depth=1
                                        ; =>  This Inner Loop Header: Depth=2
	global_load_dword v2, v22, s[22:23] glc
	s_waitcnt vmcnt(0)
	v_cmp_eq_u32_e32 vcc, 0, v2
	s_cbranch_vccnz .LBB3_36
; %bb.37:                               ;   in Loop: Header=BB3_22 Depth=1
	v_lshl_add_u32 v2, s25, 2, v21
	v_ashrrev_i32_e32 v3, 31, v2
	v_lshlrev_b64 v[2:3], 2, v[2:3]
	v_mov_b32_e32 v23, s3
	v_add_co_u32_e32 v2, vcc, s2, v2
	v_addc_co_u32_e32 v3, vcc, v23, v3, vcc
	buffer_wbinvl1_vol
	global_load_dword v2, v[2:3], off
	s_cmp_lt_i32 s27, 2
	v_mov_b32_e32 v23, 0
	s_waitcnt vmcnt(0)
	ds_write_b32 v11, v2
	s_waitcnt lgkmcnt(0)
	s_cbranch_scc1 .LBB3_56
; %bb.38:                               ;   in Loop: Header=BB3_22 Depth=1
	s_add_i32 s24, s27, -1
	s_cmp_eq_u32 s27, 2
	s_cbranch_scc1 .LBB3_49
; %bb.39:                               ;   in Loop: Header=BB3_22 Depth=1
	s_and_b32 s25, s24, -2
	s_mov_b32 s26, 0
	s_mov_b32 s27, 0
	v_mov_b32_e32 v23, 0
	s_branch .LBB3_41
.LBB3_40:                               ;   in Loop: Header=BB3_41 Depth=2
	s_add_i32 s27, s27, 2
	s_add_i32 s26, s26, 8
	s_cmp_eq_u32 s25, s27
	s_cbranch_scc1 .LBB3_50
.LBB3_41:                               ;   Parent Loop BB3_22 Depth=1
                                        ; =>  This Inner Loop Header: Depth=2
	s_waitcnt lgkmcnt(0)
	v_mov_b32_e32 v2, s26
	ds_read2_b32 v[2:3], v2 offset1:32
	s_and_b64 vcc, exec, s[4:5]
	s_cbranch_vccz .LBB3_43
; %bb.42:                               ;   in Loop: Header=BB3_41 Depth=2
	s_waitcnt lgkmcnt(0)
	v_add_u32_e32 v24, v2, v12
	v_ashrrev_i32_e32 v25, 31, v24
	v_lshlrev_b64 v[24:25], 2, v[24:25]
	v_add_u32_e32 v26, v3, v13
	v_mov_b32_e32 v32, s3
	v_add_co_u32_e32 v24, vcc, s2, v24
	v_ashrrev_i32_e32 v27, 31, v26
	v_addc_co_u32_e32 v25, vcc, v32, v25, vcc
	v_lshlrev_b64 v[26:27], 2, v[26:27]
	v_add_u32_e32 v28, v16, v2
	v_add_co_u32_e32 v26, vcc, s2, v26
	v_ashrrev_i32_e32 v29, 31, v28
	v_addc_co_u32_e32 v27, vcc, v32, v27, vcc
	v_lshlrev_b64 v[28:29], 2, v[28:29]
	v_add_u32_e32 v30, v17, v3
	v_add_co_u32_e32 v28, vcc, s2, v28
	v_ashrrev_i32_e32 v31, 31, v30
	v_addc_co_u32_e32 v29, vcc, v32, v29, vcc
	v_lshlrev_b64 v[30:31], 2, v[30:31]
	v_add_co_u32_e32 v30, vcc, s2, v30
	v_addc_co_u32_e32 v31, vcc, v32, v31, vcc
	global_load_dword v32, v[24:25], off
	global_load_dword v33, v[26:27], off
	;; [unrolled: 1-line block ×4, first 2 shown]
	s_waitcnt vmcnt(2)
	v_fma_f32 v24, v32, v33, v23
	s_waitcnt vmcnt(0)
	v_fmac_f32_e32 v24, v34, v35
	s_cbranch_execz .LBB3_44
	s_branch .LBB3_45
.LBB3_43:                               ;   in Loop: Header=BB3_41 Depth=2
                                        ; implicit-def: $vgpr24
.LBB3_44:                               ;   in Loop: Header=BB3_41 Depth=2
	s_waitcnt lgkmcnt(0)
	v_add_u32_e32 v24, v2, v8
	v_ashrrev_i32_e32 v25, 31, v24
	v_lshlrev_b64 v[24:25], 2, v[24:25]
	v_add_u32_e32 v2, v3, v15
	v_mov_b32_e32 v26, s3
	v_add_co_u32_e32 v24, vcc, s2, v24
	v_ashrrev_i32_e32 v3, 31, v2
	v_addc_co_u32_e32 v25, vcc, v26, v25, vcc
	v_lshlrev_b64 v[2:3], 2, v[2:3]
	v_add_co_u32_e32 v2, vcc, s2, v2
	v_addc_co_u32_e32 v3, vcc, v26, v3, vcc
	global_load_dwordx2 v[26:27], v[24:25], off
	global_load_dwordx2 v[28:29], v[2:3], off
	s_waitcnt vmcnt(0)
	v_fmac_f32_e32 v23, v26, v28
	v_fmac_f32_e32 v23, v27, v29
	v_mov_b32_e32 v24, v23
.LBB3_45:                               ;   in Loop: Header=BB3_41 Depth=2
	s_waitcnt lgkmcnt(0)
	v_mov_b32_e32 v2, s26
	ds_read2_b32 v[2:3], v2 offset0:1 offset1:33
	s_andn2_b64 vcc, exec, s[4:5]
	s_cbranch_vccnz .LBB3_47
; %bb.46:                               ;   in Loop: Header=BB3_41 Depth=2
	s_waitcnt lgkmcnt(0)
	v_add_u32_e32 v26, v2, v12
	v_ashrrev_i32_e32 v27, 31, v26
	v_lshlrev_b64 v[26:27], 2, v[26:27]
	v_add_u32_e32 v28, v3, v13
	v_mov_b32_e32 v23, s3
	v_add_co_u32_e32 v26, vcc, s2, v26
	v_ashrrev_i32_e32 v29, 31, v28
	v_addc_co_u32_e32 v27, vcc, v23, v27, vcc
	v_lshlrev_b64 v[28:29], 2, v[28:29]
	v_add_u32_e32 v30, v16, v2
	v_add_co_u32_e32 v28, vcc, s2, v28
	v_ashrrev_i32_e32 v31, 31, v30
	v_addc_co_u32_e32 v29, vcc, v23, v29, vcc
	v_lshlrev_b64 v[30:31], 2, v[30:31]
	v_add_u32_e32 v32, v17, v3
	v_add_co_u32_e32 v30, vcc, s2, v30
	v_ashrrev_i32_e32 v33, 31, v32
	v_addc_co_u32_e32 v31, vcc, v23, v31, vcc
	v_lshlrev_b64 v[32:33], 2, v[32:33]
	v_add_co_u32_e32 v32, vcc, s2, v32
	v_addc_co_u32_e32 v33, vcc, v23, v33, vcc
	global_load_dword v23, v[26:27], off
	global_load_dword v25, v[28:29], off
	;; [unrolled: 1-line block ×4, first 2 shown]
	s_waitcnt vmcnt(2)
	v_fma_f32 v23, v23, v25, v24
	s_waitcnt vmcnt(0)
	v_fmac_f32_e32 v23, v34, v35
	s_cbranch_execnz .LBB3_40
	s_branch .LBB3_48
.LBB3_47:                               ;   in Loop: Header=BB3_41 Depth=2
                                        ; implicit-def: $vgpr23
.LBB3_48:                               ;   in Loop: Header=BB3_41 Depth=2
	s_waitcnt lgkmcnt(0)
	v_add_u32_e32 v26, v2, v8
	v_ashrrev_i32_e32 v27, 31, v26
	v_lshlrev_b64 v[26:27], 2, v[26:27]
	v_add_u32_e32 v2, v3, v15
	v_mov_b32_e32 v23, s3
	v_add_co_u32_e32 v26, vcc, s2, v26
	v_ashrrev_i32_e32 v3, 31, v2
	v_addc_co_u32_e32 v27, vcc, v23, v27, vcc
	v_lshlrev_b64 v[2:3], 2, v[2:3]
	v_add_co_u32_e32 v2, vcc, s2, v2
	v_addc_co_u32_e32 v3, vcc, v23, v3, vcc
	global_load_dwordx2 v[28:29], v[26:27], off
	global_load_dwordx2 v[30:31], v[2:3], off
	s_waitcnt vmcnt(0)
	v_fmac_f32_e32 v24, v28, v30
	v_fmac_f32_e32 v24, v29, v31
	v_mov_b32_e32 v23, v24
	s_branch .LBB3_40
.LBB3_49:                               ;   in Loop: Header=BB3_22 Depth=1
	s_mov_b32 s25, 0
	v_mov_b32_e32 v23, 0
.LBB3_50:                               ;   in Loop: Header=BB3_22 Depth=1
	s_bitcmp0_b32 s24, 0
	s_cbranch_scc1 .LBB3_56
; %bb.51:                               ;   in Loop: Header=BB3_22 Depth=1
	s_lshl_b32 s22, s25, 2
	s_waitcnt lgkmcnt(0)
	v_mov_b32_e32 v2, s22
	ds_read2_b32 v[2:3], v2 offset1:32
	s_andn2_b64 vcc, exec, s[4:5]
	s_cbranch_vccnz .LBB3_53
; %bb.52:                               ;   in Loop: Header=BB3_22 Depth=1
	s_waitcnt lgkmcnt(0)
	v_add_u32_e32 v24, v2, v12
	v_ashrrev_i32_e32 v25, 31, v24
	v_lshlrev_b64 v[24:25], 2, v[24:25]
	v_add_u32_e32 v26, v3, v13
	v_mov_b32_e32 v32, s3
	v_add_co_u32_e32 v24, vcc, s2, v24
	v_ashrrev_i32_e32 v27, 31, v26
	v_addc_co_u32_e32 v25, vcc, v32, v25, vcc
	v_lshlrev_b64 v[26:27], 2, v[26:27]
	v_add_u32_e32 v28, v16, v2
	v_add_co_u32_e32 v26, vcc, s2, v26
	v_ashrrev_i32_e32 v29, 31, v28
	v_addc_co_u32_e32 v27, vcc, v32, v27, vcc
	v_lshlrev_b64 v[28:29], 2, v[28:29]
	v_add_u32_e32 v30, v17, v3
	v_add_co_u32_e32 v28, vcc, s2, v28
	v_ashrrev_i32_e32 v31, 31, v30
	v_addc_co_u32_e32 v29, vcc, v32, v29, vcc
	v_lshlrev_b64 v[30:31], 2, v[30:31]
	v_add_co_u32_e32 v30, vcc, s2, v30
	v_addc_co_u32_e32 v31, vcc, v32, v31, vcc
	global_load_dword v32, v[24:25], off
	global_load_dword v33, v[26:27], off
	;; [unrolled: 1-line block ×4, first 2 shown]
	s_waitcnt vmcnt(2)
	v_fma_f32 v24, v32, v33, v23
	s_waitcnt vmcnt(0)
	v_fmac_f32_e32 v24, v34, v35
	s_cbranch_execz .LBB3_54
	s_branch .LBB3_55
.LBB3_53:                               ;   in Loop: Header=BB3_22 Depth=1
                                        ; implicit-def: $vgpr24
.LBB3_54:                               ;   in Loop: Header=BB3_22 Depth=1
	s_waitcnt lgkmcnt(0)
	v_add_u32_e32 v24, v2, v8
	v_ashrrev_i32_e32 v25, 31, v24
	v_lshlrev_b64 v[24:25], 2, v[24:25]
	v_add_u32_e32 v2, v3, v15
	v_mov_b32_e32 v26, s3
	v_add_co_u32_e32 v24, vcc, s2, v24
	v_ashrrev_i32_e32 v3, 31, v2
	v_addc_co_u32_e32 v25, vcc, v26, v25, vcc
	v_lshlrev_b64 v[2:3], 2, v[2:3]
	v_add_co_u32_e32 v2, vcc, s2, v2
	v_addc_co_u32_e32 v3, vcc, v26, v3, vcc
	global_load_dwordx2 v[26:27], v[24:25], off
	global_load_dwordx2 v[28:29], v[2:3], off
	s_waitcnt vmcnt(0)
	v_fmac_f32_e32 v23, v26, v28
	v_fmac_f32_e32 v23, v27, v29
	v_mov_b32_e32 v24, v23
.LBB3_55:                               ;   in Loop: Header=BB3_22 Depth=1
	v_mov_b32_e32 v23, v24
.LBB3_56:                               ;   in Loop: Header=BB3_22 Depth=1
	ds_write_b32 v19, v23
	s_waitcnt lgkmcnt(0)
	ds_read_b32 v3, v22 offset:384
	ds_read_b32 v2, v9
	s_waitcnt lgkmcnt(1)
	v_cmp_neq_f32_e32 vcc, 0, v3
	s_or_b64 s[22:23], vcc, s[0:1]
	v_cndmask_b32_e32 v3, 1.0, v3, vcc
	s_xor_b64 s[24:25], s[22:23], -1
	s_and_saveexec_b64 s[22:23], s[24:25]
	s_cbranch_execz .LBB3_60
; %bb.57:                               ;   in Loop: Header=BB3_22 Depth=1
	v_mbcnt_lo_u32_b32 v3, exec_lo, 0
	v_mbcnt_hi_u32_b32 v3, exec_hi, v3
	v_cmp_eq_u32_e32 vcc, 0, v3
	s_and_saveexec_b64 s[24:25], vcc
	s_cbranch_execz .LBB3_59
; %bb.58:                               ;   in Loop: Header=BB3_22 Depth=1
	v_mov_b32_e32 v3, s21
	global_atomic_smin v22, v3, s[14:15]
.LBB3_59:                               ;   in Loop: Header=BB3_22 Depth=1
	s_or_b64 exec, exec, s[24:25]
	v_mov_b32_e32 v3, 1.0
.LBB3_60:                               ;   in Loop: Header=BB3_22 Depth=1
	s_or_b64 exec, exec, s[22:23]
	ds_read_b32 v23, v18
	s_waitcnt lgkmcnt(0)
	v_sub_f32_e32 v2, v2, v23
	v_div_scale_f32 v23, s[22:23], v3, v3, v2
	v_rcp_f32_e32 v24, v23
	v_div_scale_f32 v25, vcc, v2, v3, v2
	v_fma_f32 v26, -v23, v24, 1.0
	v_fmac_f32_e32 v24, v26, v24
	v_mul_f32_e32 v26, v25, v24
	v_fma_f32 v27, -v23, v26, v25
	v_fmac_f32_e32 v26, v27, v24
	v_fma_f32 v23, -v23, v26, v25
	v_div_fmas_f32 v23, v23, v24, v26
	v_div_fixup_f32 v2, v23, v3, v2
	ds_write_b32 v9, v2
	s_waitcnt lgkmcnt(0)
	ds_read_b32 v3, v20
	ds_read_b32 v23, v5
	s_waitcnt lgkmcnt(0)
	v_fmac_f32_e32 v23, v2, v3
	ds_write_b32 v5, v23
	s_waitcnt lgkmcnt(0)
	ds_read_b32 v3, v22 offset:400
	ds_read_b32 v2, v9 offset:4
	s_waitcnt lgkmcnt(1)
	v_cmp_neq_f32_e32 vcc, 0, v3
	s_or_b64 s[22:23], vcc, s[0:1]
	v_cndmask_b32_e32 v3, 1.0, v3, vcc
	s_xor_b64 s[24:25], s[22:23], -1
	s_and_saveexec_b64 s[22:23], s[24:25]
	s_cbranch_execz .LBB3_20
; %bb.61:                               ;   in Loop: Header=BB3_22 Depth=1
	v_mbcnt_lo_u32_b32 v3, exec_lo, 0
	v_mbcnt_hi_u32_b32 v3, exec_hi, v3
	v_cmp_eq_u32_e32 vcc, 0, v3
	s_and_saveexec_b64 s[24:25], vcc
	s_cbranch_execz .LBB3_19
; %bb.62:                               ;   in Loop: Header=BB3_22 Depth=1
	v_mov_b32_e32 v3, s21
	global_atomic_smin v22, v3, s[14:15]
	s_branch .LBB3_19
.LBB3_63:
	s_waitcnt lgkmcnt(0)
	s_cmp_eq_u32 s33, 0
	s_cselect_b64 vcc, -1, 0
	v_cndmask_b32_e32 v0, v7, v14, vcc
	v_lshl_add_u32 v0, s30, 2, v0
	v_ashrrev_i32_e32 v1, 31, v0
	v_lshlrev_b64 v[0:1], 2, v[0:1]
	v_mov_b32_e32 v2, s3
	v_add_co_u32_e32 v0, vcc, s2, v0
	v_addc_co_u32_e32 v1, vcc, v2, v1, vcc
	global_load_dword v2, v[0:1], off
	v_cmp_ne_u32_e32 vcc, 0, v13
	v_cmp_eq_u32_e64 s[0:1], 0, v13
	s_waitcnt vmcnt(0)
	ds_write_b32 v6, v2 offset:448
	s_waitcnt lgkmcnt(0)
	s_and_saveexec_b64 s[4:5], s[0:1]
	s_cbranch_execz .LBB3_65
; %bb.64:
	v_mov_b32_e32 v7, 0
	ds_read2_b32 v[2:3], v7 offset0:112 offset1:120
	s_mov_b32 s2, 0xf800000
	s_waitcnt lgkmcnt(0)
	v_sub_f32_e32 v2, v2, v3
	v_cmp_gt_f32_e64 s[0:1], 0, v2
	v_cndmask_b32_e64 v2, v2, -v2, s[0:1]
	v_mul_f32_e32 v3, 0x4f800000, v2
	v_cmp_gt_f32_e64 s[0:1], s2, v2
	v_cndmask_b32_e64 v2, v2, v3, s[0:1]
	v_sqrt_f32_e32 v3, v2
	v_add_u32_e32 v8, -1, v3
	v_add_u32_e32 v9, 1, v3
	v_fma_f32 v10, -v8, v3, v2
	v_fma_f32 v11, -v9, v3, v2
	v_cmp_ge_f32_e64 s[2:3], 0, v10
	v_cndmask_b32_e64 v3, v3, v8, s[2:3]
	v_cmp_lt_f32_e64 s[2:3], 0, v11
	v_cndmask_b32_e64 v3, v3, v9, s[2:3]
	v_mul_f32_e32 v8, 0x37800000, v3
	v_cndmask_b32_e64 v3, v3, v8, s[0:1]
	v_mov_b32_e32 v8, 0x260
	v_cmp_class_f32_e64 s[0:1], v2, v8
	v_cndmask_b32_e64 v2, v3, v2, s[0:1]
	ds_write_b32 v7, v2 offset:448
.LBB3_65:
	s_or_b64 exec, exec, s[4:5]
	v_mov_b32_e32 v2, 0
	s_waitcnt lgkmcnt(0)
	ds_read_b32 v2, v2 offset:448
	v_cmp_ne_u32_e64 s[0:1], 0, v4
	s_add_i32 s16, s12, s13
	s_waitcnt lgkmcnt(0)
	v_cmp_neq_f32_e64 s[2:3], 0, v2
	v_cndmask_b32_e64 v2, 1.0, v2, s[2:3]
	s_or_b64 s[2:3], s[2:3], s[0:1]
	s_xor_b64 s[2:3], s[2:3], -1
	s_and_saveexec_b64 s[4:5], s[2:3]
	s_cbranch_execz .LBB3_69
; %bb.66:
	v_mbcnt_lo_u32_b32 v2, exec_lo, 0
	v_mbcnt_hi_u32_b32 v2, exec_hi, v2
	v_cmp_eq_u32_e64 s[2:3], 0, v2
	s_and_saveexec_b64 s[8:9], s[2:3]
	s_cbranch_execz .LBB3_68
; %bb.67:
	v_mov_b32_e32 v2, 0
	v_mov_b32_e32 v3, s16
	global_atomic_smin v2, v3, s[14:15]
.LBB3_68:
	s_or_b64 exec, exec, s[8:9]
	v_mov_b32_e32 v2, 1.0
.LBB3_69:
	s_or_b64 exec, exec, s[4:5]
	s_and_saveexec_b64 s[2:3], vcc
	s_cbranch_execz .LBB3_71
; %bb.70:
	v_mul_u32_u24_e32 v3, 12, v13
	ds_read2_b32 v[8:9], v3 offset0:112 offset1:120
	v_mul_u32_u24_e32 v10, 12, v12
	s_waitcnt lgkmcnt(0)
	v_sub_f32_e32 v7, v8, v9
	v_div_scale_f32 v8, s[4:5], v2, v2, v7
	v_rcp_f32_e32 v9, v8
	v_div_scale_f32 v11, vcc, v7, v2, v7
	v_fma_f32 v14, -v8, v9, 1.0
	v_fmac_f32_e32 v9, v14, v9
	v_mul_f32_e32 v14, v11, v9
	v_fma_f32 v15, -v8, v14, v11
	v_fmac_f32_e32 v14, v15, v9
	v_fma_f32 v8, -v8, v14, v11
	v_div_fmas_f32 v8, v8, v9, v14
	v_div_fixup_f32 v2, v8, v2, v7
	ds_write_b32 v3, v2 offset:448
	s_waitcnt lgkmcnt(0)
	ds_read_b32 v3, v10 offset:448
	ds_read_b32 v7, v5
	s_waitcnt lgkmcnt(0)
	v_fmac_f32_e32 v7, v2, v3
	ds_write_b32 v5, v7
.LBB3_71:
	s_or_b64 exec, exec, s[2:3]
	v_cmp_eq_u32_e32 vcc, 1, v13
	s_waitcnt lgkmcnt(0)
	s_and_saveexec_b64 s[4:5], vcc
	s_cbranch_execz .LBB3_73
; %bb.72:
	v_mov_b32_e32 v7, 0
	ds_read2_b32 v[2:3], v7 offset0:116 offset1:124
	s_mov_b32 s2, 0xf800000
	s_waitcnt lgkmcnt(0)
	v_sub_f32_e32 v2, v2, v3
	v_cmp_gt_f32_e32 vcc, 0, v2
	v_cndmask_b32_e64 v2, v2, -v2, vcc
	v_mul_f32_e32 v3, 0x4f800000, v2
	v_cmp_gt_f32_e32 vcc, s2, v2
	v_cndmask_b32_e32 v2, v2, v3, vcc
	v_sqrt_f32_e32 v3, v2
	v_add_u32_e32 v8, -1, v3
	v_add_u32_e32 v9, 1, v3
	v_fma_f32 v10, -v8, v3, v2
	v_fma_f32 v11, -v9, v3, v2
	v_cmp_ge_f32_e64 s[2:3], 0, v10
	v_cndmask_b32_e64 v3, v3, v8, s[2:3]
	v_cmp_lt_f32_e64 s[2:3], 0, v11
	v_cndmask_b32_e64 v3, v3, v9, s[2:3]
	v_mul_f32_e32 v8, 0x37800000, v3
	v_cndmask_b32_e32 v3, v3, v8, vcc
	v_mov_b32_e32 v8, 0x260
	v_cmp_class_f32_e32 vcc, v2, v8
	v_cndmask_b32_e32 v2, v3, v2, vcc
	ds_write_b32 v7, v2 offset:464
.LBB3_73:
	s_or_b64 exec, exec, s[4:5]
	v_mov_b32_e32 v2, 0
	s_waitcnt lgkmcnt(0)
	ds_read_b32 v2, v2 offset:464
	s_waitcnt lgkmcnt(0)
	v_cmp_neq_f32_e32 vcc, 0, v2
	s_or_b64 s[0:1], vcc, s[0:1]
	v_cndmask_b32_e32 v2, 1.0, v2, vcc
	s_xor_b64 s[2:3], s[0:1], -1
	s_and_saveexec_b64 s[0:1], s[2:3]
	s_cbranch_execz .LBB3_77
; %bb.74:
	v_mbcnt_lo_u32_b32 v2, exec_lo, 0
	v_mbcnt_hi_u32_b32 v2, exec_hi, v2
	v_cmp_eq_u32_e32 vcc, 0, v2
	s_and_saveexec_b64 s[2:3], vcc
	s_cbranch_execz .LBB3_76
; %bb.75:
	v_mov_b32_e32 v2, 0
	v_mov_b32_e32 v3, s16
	global_atomic_smin v2, v3, s[14:15]
.LBB3_76:
	s_or_b64 exec, exec, s[2:3]
	v_mov_b32_e32 v2, 1.0
.LBB3_77:
	s_or_b64 exec, exec, s[0:1]
	v_add_u32_e32 v3, 0x1c0, v6
	v_cmp_lt_u32_e32 vcc, 1, v13
	s_and_saveexec_b64 s[0:1], vcc
	s_cbranch_execz .LBB3_79
; %bb.78:
	v_mul_u32_u24_e32 v8, 12, v13
	ds_read2_b32 v[6:7], v8 offset0:113 offset1:121
	v_mul_u32_u24_e32 v10, 12, v12
	s_waitcnt lgkmcnt(0)
	v_sub_f32_e32 v6, v6, v7
	v_div_scale_f32 v7, s[2:3], v2, v2, v6
	v_rcp_f32_e32 v9, v7
	v_div_scale_f32 v11, vcc, v6, v2, v6
	v_fma_f32 v14, -v7, v9, 1.0
	v_fmac_f32_e32 v9, v14, v9
	v_mul_f32_e32 v14, v11, v9
	v_fma_f32 v15, -v7, v14, v11
	v_fmac_f32_e32 v14, v15, v9
	v_fma_f32 v7, -v7, v14, v11
	v_div_fmas_f32 v7, v7, v9, v14
	v_div_fixup_f32 v2, v7, v2, v6
	ds_write_b32 v8, v2 offset:452
	s_waitcnt lgkmcnt(0)
	ds_read_b32 v6, v10 offset:452
	ds_read_b32 v7, v5
	s_waitcnt lgkmcnt(0)
	v_fmac_f32_e32 v7, v2, v6
	ds_write_b32 v5, v7
.LBB3_79:
	s_or_b64 exec, exec, s[0:1]
	s_waitcnt lgkmcnt(0)
	ds_read_b32 v2, v3
	v_cmp_eq_u32_e64 s[0:1], 0, v4
	s_waitcnt lgkmcnt(0)
	global_store_dword v[0:1], v2, off
	s_branch .LBB3_85
.LBB3_80:
	v_or_b32_e32 v0, v12, v13
	v_cmp_eq_u32_e32 vcc, 0, v0
	s_and_saveexec_b64 s[2:3], vcc
	s_cbranch_execz .LBB3_84
; %bb.81:
	v_mbcnt_lo_u32_b32 v0, exec_lo, 0
	v_mbcnt_hi_u32_b32 v0, exec_hi, v0
	v_cmp_eq_u32_e32 vcc, 0, v0
	s_and_saveexec_b64 s[4:5], vcc
	s_cbranch_execz .LBB3_83
; %bb.82:
	s_add_i32 s8, s12, s13
	v_mov_b32_e32 v0, 0
	v_mov_b32_e32 v1, s8
	global_atomic_smin v0, v1, s[14:15]
.LBB3_83:
	s_or_b64 exec, exec, s[4:5]
	s_or_b64 s[0:1], s[0:1], exec
.LBB3_84:
	s_or_b64 exec, exec, s[2:3]
.LBB3_85:
	s_and_saveexec_b64 s[2:3], s[0:1]
	s_cbranch_execnz .LBB3_87
; %bb.86:
	s_endpgm
.LBB3_87:
	s_add_u32 s0, s10, s6
	s_addc_u32 s1, s11, s7
	v_mov_b32_e32 v0, 0
	v_mov_b32_e32 v1, 1
	s_waitcnt vmcnt(0)
	global_store_dword v0, v1, s[0:1]
	s_endpgm
	.section	.rodata,"a",@progbits
	.p2align	6, 0x0
	.amdhsa_kernel _ZN9rocsparseL26bsric0_2_8_unrolled_kernelILi4ELi32ELi2EfEEv20rocsparse_direction_iiPKiS3_PT2_S3_PiS3_S6_21rocsparse_index_base_
		.amdhsa_group_segment_fixed_size 504
		.amdhsa_private_segment_fixed_size 0
		.amdhsa_kernarg_size 76
		.amdhsa_user_sgpr_count 6
		.amdhsa_user_sgpr_private_segment_buffer 1
		.amdhsa_user_sgpr_dispatch_ptr 0
		.amdhsa_user_sgpr_queue_ptr 0
		.amdhsa_user_sgpr_kernarg_segment_ptr 1
		.amdhsa_user_sgpr_dispatch_id 0
		.amdhsa_user_sgpr_flat_scratch_init 0
		.amdhsa_user_sgpr_kernarg_preload_length 0
		.amdhsa_user_sgpr_kernarg_preload_offset 0
		.amdhsa_user_sgpr_private_segment_size 0
		.amdhsa_uses_dynamic_stack 0
		.amdhsa_system_sgpr_private_segment_wavefront_offset 0
		.amdhsa_system_sgpr_workgroup_id_x 1
		.amdhsa_system_sgpr_workgroup_id_y 0
		.amdhsa_system_sgpr_workgroup_id_z 0
		.amdhsa_system_sgpr_workgroup_info 0
		.amdhsa_system_vgpr_workitem_id 1
		.amdhsa_next_free_vgpr 72
		.amdhsa_next_free_sgpr 40
		.amdhsa_accum_offset 72
		.amdhsa_reserve_vcc 1
		.amdhsa_reserve_flat_scratch 0
		.amdhsa_float_round_mode_32 0
		.amdhsa_float_round_mode_16_64 0
		.amdhsa_float_denorm_mode_32 3
		.amdhsa_float_denorm_mode_16_64 3
		.amdhsa_dx10_clamp 1
		.amdhsa_ieee_mode 1
		.amdhsa_fp16_overflow 0
		.amdhsa_tg_split 0
		.amdhsa_exception_fp_ieee_invalid_op 0
		.amdhsa_exception_fp_denorm_src 0
		.amdhsa_exception_fp_ieee_div_zero 0
		.amdhsa_exception_fp_ieee_overflow 0
		.amdhsa_exception_fp_ieee_underflow 0
		.amdhsa_exception_fp_ieee_inexact 0
		.amdhsa_exception_int_div_zero 0
	.end_amdhsa_kernel
	.section	.text._ZN9rocsparseL26bsric0_2_8_unrolled_kernelILi4ELi32ELi2EfEEv20rocsparse_direction_iiPKiS3_PT2_S3_PiS3_S6_21rocsparse_index_base_,"axG",@progbits,_ZN9rocsparseL26bsric0_2_8_unrolled_kernelILi4ELi32ELi2EfEEv20rocsparse_direction_iiPKiS3_PT2_S3_PiS3_S6_21rocsparse_index_base_,comdat
.Lfunc_end3:
	.size	_ZN9rocsparseL26bsric0_2_8_unrolled_kernelILi4ELi32ELi2EfEEv20rocsparse_direction_iiPKiS3_PT2_S3_PiS3_S6_21rocsparse_index_base_, .Lfunc_end3-_ZN9rocsparseL26bsric0_2_8_unrolled_kernelILi4ELi32ELi2EfEEv20rocsparse_direction_iiPKiS3_PT2_S3_PiS3_S6_21rocsparse_index_base_
                                        ; -- End function
	.section	.AMDGPU.csdata,"",@progbits
; Kernel info:
; codeLenInByte = 4868
; NumSgprs: 44
; NumVgprs: 72
; NumAgprs: 0
; TotalNumVgprs: 72
; ScratchSize: 0
; MemoryBound: 0
; FloatMode: 240
; IeeeMode: 1
; LDSByteSize: 504 bytes/workgroup (compile time only)
; SGPRBlocks: 5
; VGPRBlocks: 8
; NumSGPRsForWavesPerEU: 44
; NumVGPRsForWavesPerEU: 72
; AccumOffset: 72
; Occupancy: 7
; WaveLimiterHint : 1
; COMPUTE_PGM_RSRC2:SCRATCH_EN: 0
; COMPUTE_PGM_RSRC2:USER_SGPR: 6
; COMPUTE_PGM_RSRC2:TRAP_HANDLER: 0
; COMPUTE_PGM_RSRC2:TGID_X_EN: 1
; COMPUTE_PGM_RSRC2:TGID_Y_EN: 0
; COMPUTE_PGM_RSRC2:TGID_Z_EN: 0
; COMPUTE_PGM_RSRC2:TIDIG_COMP_CNT: 1
; COMPUTE_PGM_RSRC3_GFX90A:ACCUM_OFFSET: 17
; COMPUTE_PGM_RSRC3_GFX90A:TG_SPLIT: 0
	.section	.text._ZN9rocsparseL26bsric0_2_8_unrolled_kernelILi9ELi32ELi3EfEEv20rocsparse_direction_iiPKiS3_PT2_S3_PiS3_S6_21rocsparse_index_base_,"axG",@progbits,_ZN9rocsparseL26bsric0_2_8_unrolled_kernelILi9ELi32ELi3EfEEv20rocsparse_direction_iiPKiS3_PT2_S3_PiS3_S6_21rocsparse_index_base_,comdat
	.globl	_ZN9rocsparseL26bsric0_2_8_unrolled_kernelILi9ELi32ELi3EfEEv20rocsparse_direction_iiPKiS3_PT2_S3_PiS3_S6_21rocsparse_index_base_ ; -- Begin function _ZN9rocsparseL26bsric0_2_8_unrolled_kernelILi9ELi32ELi3EfEEv20rocsparse_direction_iiPKiS3_PT2_S3_PiS3_S6_21rocsparse_index_base_
	.p2align	8
	.type	_ZN9rocsparseL26bsric0_2_8_unrolled_kernelILi9ELi32ELi3EfEEv20rocsparse_direction_iiPKiS3_PT2_S3_PiS3_S6_21rocsparse_index_base_,@function
_ZN9rocsparseL26bsric0_2_8_unrolled_kernelILi9ELi32ELi3EfEEv20rocsparse_direction_iiPKiS3_PT2_S3_PiS3_S6_21rocsparse_index_base_: ; @_ZN9rocsparseL26bsric0_2_8_unrolled_kernelILi9ELi32ELi3EfEEv20rocsparse_direction_iiPKiS3_PT2_S3_PiS3_S6_21rocsparse_index_base_
; %bb.0:
	s_load_dwordx8 s[8:15], s[4:5], 0x28
	s_mov_b32 s7, 0
	s_lshl_b64 s[0:1], s[6:7], 2
	v_and_b32_e32 v12, 0x3ff, v0
	v_bfe_u32 v13, v0, 10, 10
	s_waitcnt lgkmcnt(0)
	s_add_u32 s0, s12, s0
	s_addc_u32 s1, s13, s1
	s_load_dword s12, s[0:1], 0x0
	s_waitcnt lgkmcnt(0)
	s_ashr_i32 s13, s12, 31
	s_lshl_b64 s[6:7], s[12:13], 2
	s_add_u32 s0, s8, s6
	s_addc_u32 s1, s9, s7
	s_load_dword s30, s[0:1], 0x0
	s_load_dword s13, s[4:5], 0x48
	s_waitcnt lgkmcnt(0)
	s_cmp_lg_u32 s30, -1
	s_cbranch_scc0 .LBB4_95
; %bb.1:
	s_load_dwordx4 s[16:19], s[4:5], 0x10
	s_load_dwordx2 s[20:21], s[4:5], 0x20
	v_mad_u32_u24 v14, v13, 3, v12
	v_mul_u32_u24_e32 v15, 3, v13
	s_waitcnt lgkmcnt(0)
	s_add_u32 s0, s16, s6
	s_addc_u32 s1, s17, s7
	s_load_dword s26, s[0:1], 0x0
	s_waitcnt lgkmcnt(0)
	s_sub_i32 s31, s26, s13
	v_add_u32_e32 v0, s31, v14
	v_cmp_ge_i32_e32 vcc, s30, v0
	s_and_saveexec_b64 s[2:3], vcc
	s_cbranch_execz .LBB4_14
; %bb.2:
	v_add_u32_e32 v1, s26, v12
	v_add_u32_e32 v2, v1, v15
	v_subrev_u32_e32 v2, s13, v2
	v_add_u32_e32 v2, 9, v2
	s_add_i32 s0, s30, 1
	v_max_i32_e32 v2, s0, v2
	v_add_u32_e32 v2, s13, v2
	v_sub_u32_e32 v1, v2, v1
	v_add_u32_e32 v1, -9, v1
	v_cmp_ne_u32_e32 vcc, v1, v15
	v_addc_co_u32_e64 v2, s[0:1], 0, v15, vcc
	v_sub_u32_e32 v1, v1, v2
	s_mov_b32 s0, 0x38e38e39
	v_mul_hi_u32 v1, v1, s0
	v_lshrrev_b32_e32 v1, 1, v1
	v_addc_co_u32_e32 v16, vcc, 0, v1, vcc
	v_cmp_ne_u32_e32 vcc, 0, v16
	s_mov_b64 s[22:23], -1
	s_and_saveexec_b64 s[0:1], vcc
	s_cbranch_execz .LBB4_11
; %bb.3:
	v_add_u32_e32 v2, -1, v16
	v_add_u32_e32 v1, 9, v0
	v_lshrrev_b32_e32 v2, 1, v2
	v_add_u32_e32 v17, 1, v2
	v_cmp_lt_u32_e32 vcc, 14, v16
	v_pk_mov_b32 v[2:3], v[0:1], v[0:1] op_sel:[0,1]
	s_and_saveexec_b64 s[22:23], vcc
	s_cbranch_execz .LBB4_7
; %bb.4:
	v_and_b32_e32 v18, -8, v17
	s_mov_b64 s[24:25], 0
	v_mov_b32_e32 v19, s19
	v_pk_mov_b32 v[2:3], v[0:1], v[0:1] op_sel:[0,1]
.LBB4_5:                                ; =>This Inner Loop Header: Depth=1
	v_ashrrev_i32_e32 v23, 31, v2
	v_mov_b32_e32 v22, v2
	v_lshlrev_b64 v[22:23], 2, v[22:23]
	v_ashrrev_i32_e32 v21, 31, v3
	v_mov_b32_e32 v20, v3
	v_add_co_u32_e32 v22, vcc, s18, v22
	v_add_u32_e32 v4, 18, v2
	v_lshlrev_b64 v[20:21], 2, v[20:21]
	v_addc_co_u32_e32 v23, vcc, v19, v23, vcc
	v_ashrrev_i32_e32 v5, 31, v4
	v_add_co_u32_e32 v20, vcc, s18, v20
	v_add_u32_e32 v6, 18, v3
	v_addc_co_u32_e32 v21, vcc, v19, v21, vcc
	v_lshlrev_b64 v[42:43], 2, v[4:5]
	v_ashrrev_i32_e32 v7, 31, v6
	v_add_co_u32_e32 v42, vcc, s18, v42
	v_add_u32_e32 v8, 36, v2
	v_lshlrev_b64 v[44:45], 2, v[6:7]
	v_addc_co_u32_e32 v43, vcc, v19, v43, vcc
	v_ashrrev_i32_e32 v9, 31, v8
	v_add_co_u32_e32 v44, vcc, s18, v44
	v_add_u32_e32 v10, 36, v3
	v_lshlrev_b64 v[46:47], 2, v[8:9]
	v_addc_co_u32_e32 v45, vcc, v19, v45, vcc
	;; [unrolled: 5-line block ×11, first 2 shown]
	v_ashrrev_i32_e32 v41, 31, v40
	v_add_co_u32_e32 v64, vcc, s18, v64
	v_addc_co_u32_e32 v65, vcc, v19, v65, vcc
	v_lshlrev_b64 v[66:67], 2, v[40:41]
	v_add_u32_e32 v68, 0x7e, v3
	v_add_co_u32_e32 v66, vcc, s18, v66
	v_ashrrev_i32_e32 v69, 31, v68
	v_addc_co_u32_e32 v67, vcc, v19, v67, vcc
	v_lshlrev_b64 v[70:71], 2, v[68:69]
	v_add_co_u32_e32 v70, vcc, s18, v70
	v_addc_co_u32_e32 v71, vcc, v19, v71, vcc
	global_load_dword v1, v[20:21], off
	global_load_dword v5, v[22:23], off
	global_load_dword v7, v[44:45], off
	global_load_dword v9, v[42:43], off
	global_load_dword v11, v[48:49], off
	global_load_dword v25, v[46:47], off
	global_load_dword v27, v[52:53], off
	global_load_dword v29, v[50:51], off
	global_load_dword v31, v[56:57], off
	global_load_dword v33, v[54:55], off
	global_load_dword v35, v[60:61], off
	global_load_dword v37, v[58:59], off
	global_load_dword v39, v[64:65], off
	global_load_dword v41, v[62:63], off
	global_load_dword v69, v[70:71], off
                                        ; kill: killed $vgpr48 killed $vgpr49
                                        ; kill: killed $vgpr50 killed $vgpr51
                                        ; kill: killed $vgpr44 killed $vgpr45
                                        ; kill: killed $vgpr46 killed $vgpr47
                                        ; kill: killed $vgpr70 killed $vgpr71
                                        ; kill: killed $vgpr42 killed $vgpr43
                                        ; kill: killed $vgpr64 killed $vgpr65
                                        ; kill: killed $vgpr62 killed $vgpr63
                                        ; kill: killed $vgpr60 killed $vgpr61
                                        ; kill: killed $vgpr20 killed $vgpr21
                                        ; kill: killed $vgpr56 killed $vgpr57
                                        ; kill: killed $vgpr58 killed $vgpr59
                                        ; kill: killed $vgpr22 killed $vgpr23
                                        ; kill: killed $vgpr52 killed $vgpr53
                                        ; kill: killed $vgpr54 killed $vgpr55
	global_load_dword v20, v[66:67], off
	v_subrev_u32_e32 v22, s31, v2
	v_add_u32_e32 v18, -8, v18
	v_subrev_u32_e32 v21, s31, v3
	v_lshlrev_b32_e32 v22, 2, v22
	v_subrev_u32_e32 v4, s31, v4
	v_cmp_eq_u32_e32 vcc, 0, v18
	v_add_u32_e32 v3, 0x90, v3
	v_add_u32_e32 v2, 0x90, v2
	v_lshlrev_b32_e32 v21, 2, v21
	v_subrev_u32_e32 v6, s31, v6
	v_subrev_u32_e32 v10, s31, v10
	;; [unrolled: 1-line block ×13, first 2 shown]
	v_lshlrev_b32_e32 v4, 2, v4
	s_or_b64 s[24:25], vcc, s[24:25]
	v_lshlrev_b32_e32 v6, 2, v6
	v_lshlrev_b32_e32 v8, 2, v8
	;; [unrolled: 1-line block ×13, first 2 shown]
	s_waitcnt vmcnt(15)
	v_subrev_u32_e32 v1, s13, v1
	s_waitcnt vmcnt(14)
	v_subrev_u32_e32 v5, s13, v5
	ds_write_b32 v22, v5 offset:256
	ds_write_b32 v21, v1 offset:256
	s_waitcnt vmcnt(12)
	v_subrev_u32_e32 v5, s13, v9
	v_subrev_u32_e32 v1, s13, v7
	s_waitcnt vmcnt(11)
	v_subrev_u32_e32 v7, s13, v11
	s_waitcnt vmcnt(10)
	;; [unrolled: 2-line block ×12, first 2 shown]
	v_subrev_u32_e32 v20, s13, v20
	ds_write_b32 v4, v5 offset:256
	ds_write_b32 v6, v1 offset:256
	;; [unrolled: 1-line block ×14, first 2 shown]
	s_andn2_b64 exec, exec, s[24:25]
	s_cbranch_execnz .LBB4_5
; %bb.6:
	s_or_b64 exec, exec, s[24:25]
.LBB4_7:
	s_or_b64 exec, exec, s[22:23]
	v_and_b32_e32 v1, 7, v17
	v_cmp_ne_u32_e32 vcc, 0, v1
	s_and_saveexec_b64 s[22:23], vcc
	s_cbranch_execz .LBB4_10
; %bb.8:
	v_sub_u32_e32 v1, 0, v1
	s_mov_b64 s[24:25], 0
	v_mov_b32_e32 v4, s19
.LBB4_9:                                ; =>This Inner Loop Header: Depth=1
	v_ashrrev_i32_e32 v9, 31, v2
	v_mov_b32_e32 v8, v2
	v_lshlrev_b64 v[8:9], 2, v[8:9]
	v_ashrrev_i32_e32 v7, 31, v3
	v_mov_b32_e32 v6, v3
	v_add_co_u32_e32 v8, vcc, s18, v8
	v_lshlrev_b64 v[6:7], 2, v[6:7]
	v_addc_co_u32_e32 v9, vcc, v4, v9, vcc
	v_add_co_u32_e32 v6, vcc, s18, v6
	v_addc_co_u32_e32 v7, vcc, v4, v7, vcc
	global_load_dword v5, v[6:7], off
	global_load_dword v10, v[8:9], off
	v_subrev_u32_e32 v7, s31, v2
	v_add_co_u32_e32 v1, vcc, 1, v1
	v_subrev_u32_e32 v6, s31, v3
	v_add_u32_e32 v3, 18, v3
	v_add_u32_e32 v2, 18, v2
	v_lshlrev_b32_e32 v7, 2, v7
	s_or_b64 s[24:25], vcc, s[24:25]
	v_lshlrev_b32_e32 v6, 2, v6
	s_waitcnt vmcnt(1)
	v_subrev_u32_e32 v5, s13, v5
	s_waitcnt vmcnt(0)
	v_subrev_u32_e32 v8, s13, v10
	ds_write_b32 v7, v8 offset:256
	ds_write_b32 v6, v5 offset:256
	s_andn2_b64 exec, exec, s[24:25]
	s_cbranch_execnz .LBB4_9
.LBB4_10:
	s_or_b64 exec, exec, s[22:23]
	v_add_u32_e32 v2, 1, v16
	v_and_b32_e32 v3, 0x7ffffffe, v2
	v_mad_u64_u32 v[0:1], s[22:23], v3, 9, v[0:1]
	v_cmp_ne_u32_e32 vcc, v2, v3
	s_orn2_b64 s[22:23], vcc, exec
.LBB4_11:
	s_or_b64 exec, exec, s[0:1]
	s_and_b64 exec, exec, s[22:23]
	s_cbranch_execz .LBB4_14
; %bb.12:
	v_add_u32_e32 v1, s13, v0
	v_subrev_u32_e32 v1, s26, v1
	v_mov_b32_e32 v2, 0x100
	v_lshl_add_u32 v4, v1, 2, v2
	v_ashrrev_i32_e32 v1, 31, v0
	v_lshlrev_b64 v[2:3], 2, v[0:1]
	v_mov_b32_e32 v1, s19
	v_add_co_u32_e32 v2, vcc, s18, v2
	v_addc_co_u32_e32 v3, vcc, v1, v3, vcc
	s_mov_b64 s[0:1], 0
.LBB4_13:                               ; =>This Inner Loop Header: Depth=1
	global_load_dword v1, v[2:3], off
	v_add_co_u32_e32 v2, vcc, 36, v2
	v_add_u32_e32 v0, 9, v0
	v_addc_co_u32_e32 v3, vcc, 0, v3, vcc
	v_cmp_lt_i32_e32 vcc, s30, v0
	s_or_b64 s[0:1], vcc, s[0:1]
	s_waitcnt vmcnt(0)
	v_subrev_u32_e32 v1, s13, v1
	ds_write_b32 v4, v1
	v_add_u32_e32 v4, 36, v4
	s_andn2_b64 exec, exec, s[0:1]
	s_cbranch_execnz .LBB4_13
.LBB4_14:
	s_or_b64 exec, exec, s[2:3]
	s_load_dword s33, s[4:5], 0x0
	v_lshlrev_b32_e32 v0, 2, v12
	v_lshl_add_u32 v7, v13, 4, v0
	v_add_u32_e32 v6, 0x210, v7
	v_mov_b32_e32 v8, 0
	s_cmp_ge_i32 s31, s30
	v_mad_u32_u24 v1, v12, 3, v13
	ds_write_b32 v7, v8 offset:528
	s_waitcnt lgkmcnt(0)
	s_cbranch_scc1 .LBB4_64
; %bb.15:
	v_lshlrev_b32_e32 v3, 4, v13
	v_add_u32_e32 v10, 0x1e0, v3
	s_movk_i32 s0, 0x180
	v_add_u32_e32 v21, 0x1b0, v3
	s_cmp_eq_u32 s33, 0
	v_add_u32_e32 v11, v10, v0
	v_add3_u32 v16, v3, v0, s0
	v_add_u32_e32 v22, v21, v0
	v_or_b32_e32 v0, v12, v13
	v_mad_u32_u24 v2, v12, 3, v13
	s_cselect_b64 vcc, -1, 0
	s_cmp_lg_u32 s33, 0
	v_cmp_ne_u32_e64 s[0:1], 0, v0
	v_mov_b32_e32 v0, 0x1e0
	s_cselect_b64 s[2:3], -1, 0
	v_mul_u32_u24_e32 v9, 3, v12
	v_add_u32_e32 v17, 3, v12
	v_add_u32_e32 v18, 3, v13
	;; [unrolled: 1-line block ×4, first 2 shown]
	v_lshl_add_u32 v23, v12, 4, v0
	v_cndmask_b32_e32 v0, v2, v14, vcc
	s_mov_b32 s4, s31
	s_branch .LBB4_19
.LBB4_16:                               ;   in Loop: Header=BB4_19 Depth=1
	s_or_b64 exec, exec, s[24:25]
	v_mov_b32_e32 v5, 1.0
.LBB4_17:                               ;   in Loop: Header=BB4_19 Depth=1
	s_or_b64 exec, exec, s[22:23]
	ds_read_b64 v[24:25], v10
	ds_read_b64 v[26:27], v8 offset:416
	ds_read_b32 v28, v21 offset:8
	s_add_i32 s4, s4, 1
	s_cmp_ge_i32 s4, s30
	s_cselect_b64 s[26:27], -1, 0
	s_waitcnt lgkmcnt(0)
	v_fmac_f32_e32 v28, v26, v24
	v_fmac_f32_e32 v28, v27, v25
	v_sub_f32_e32 v4, v4, v28
	v_div_scale_f32 v24, s[22:23], v5, v5, v4
	v_rcp_f32_e32 v25, v24
	v_div_scale_f32 v26, vcc, v4, v5, v4
	v_fma_f32 v27, -v24, v25, 1.0
	v_fmac_f32_e32 v25, v27, v25
	v_mul_f32_e32 v27, v26, v25
	v_fma_f32 v28, -v24, v27, v26
	v_fmac_f32_e32 v27, v28, v25
	v_fma_f32 v24, -v24, v27, v26
	v_div_fmas_f32 v24, v24, v25, v27
	v_div_fixup_f32 v4, v24, v5, v4
	ds_write_b32 v10, v4 offset:8
	s_waitcnt lgkmcnt(0)
	ds_read_b32 v5, v23 offset:8
	ds_read_b32 v24, v6
	s_waitcnt lgkmcnt(0)
	v_fmac_f32_e32 v24, v4, v5
	ds_write_b32 v6, v24
	s_waitcnt lgkmcnt(0)
	ds_read_b32 v4, v11
	s_waitcnt lgkmcnt(0)
	global_store_dword v[2:3], v4, off
	s_waitcnt vmcnt(0)
	buffer_wbinvl1_vol
.LBB4_18:                               ;   in Loop: Header=BB4_19 Depth=1
	s_and_b64 vcc, exec, s[26:27]
	s_cbranch_vccnz .LBB4_64
.LBB4_19:                               ; =>This Loop Header: Depth=1
                                        ;     Child Loop BB4_22 Depth 2
                                        ;     Child Loop BB4_33 Depth 2
	;; [unrolled: 1-line block ×3, first 2 shown]
	s_ashr_i32 s5, s4, 31
	s_lshl_b64 s[22:23], s[4:5], 2
	s_add_u32 s22, s18, s22
	s_addc_u32 s23, s19, s23
	s_load_dword s5, s[22:23], 0x0
	s_waitcnt lgkmcnt(0)
	s_sub_i32 s24, s5, s13
	s_ashr_i32 s25, s24, 31
	s_lshl_b64 s[22:23], s[24:25], 2
	s_add_u32 s26, s8, s22
	s_addc_u32 s27, s9, s23
	s_load_dword s25, s[26:27], 0x0
	s_mov_b64 s[26:27], -1
	s_waitcnt lgkmcnt(0)
	s_cmp_eq_u32 s25, -1
	s_cbranch_scc1 .LBB4_18
; %bb.20:                               ;   in Loop: Header=BB4_19 Depth=1
	v_mad_u64_u32 v[2:3], s[26:27], s4, 9, v[0:1]
	v_ashrrev_i32_e32 v3, 31, v2
	v_lshlrev_b64 v[2:3], 2, v[2:3]
	v_mov_b32_e32 v4, s21
	v_add_co_u32_e32 v2, vcc, s20, v2
	v_addc_co_u32_e32 v3, vcc, v4, v3, vcc
	global_load_dword v4, v[2:3], off
	s_add_u32 s26, s16, s22
	s_addc_u32 s27, s17, s23
	s_load_dword s26, s[26:27], 0x0
	ds_read_b32 v5, v8 offset:256
	s_mov_b32 s27, 0
	s_waitcnt lgkmcnt(0)
	s_sub_i32 s26, s26, s13
	s_cmp_le_i32 s26, s25
	v_cmp_ge_i32_e32 vcc, s24, v5
	s_cselect_b64 s[28:29], -1, 0
	s_and_b64 s[28:29], s[28:29], vcc
	s_andn2_b64 vcc, exec, s[28:29]
	s_waitcnt vmcnt(0)
	ds_write_b32 v11, v4
	s_cbranch_vccnz .LBB4_32
; %bb.21:                               ;   in Loop: Header=BB4_19 Depth=1
	s_mov_b32 s34, 0
	s_mov_b32 s35, 0
.LBB4_22:                               ;   Parent Loop BB4_19 Depth=1
                                        ; =>  This Inner Loop Header: Depth=2
	s_ashr_i32 s27, s26, 31
	s_lshl_b64 s[28:29], s[26:27], 2
	s_add_u32 s28, s18, s28
	s_addc_u32 s29, s19, s29
	s_load_dword s27, s[28:29], 0x0
	s_lshl_b32 s28, s35, 2
	v_mov_b32_e32 v4, s28
	ds_read_b32 v4, v4 offset:256
	s_mov_b64 s[28:29], -1
	s_waitcnt lgkmcnt(0)
	s_sub_i32 s39, s27, s13
                                        ; implicit-def: $sgpr27
                                        ; implicit-def: $sgpr38
                                        ; implicit-def: $sgpr37
	v_cmp_ge_i32_e32 vcc, s39, v4
	v_readfirstlane_b32 s36, v4
	s_cbranch_vccz .LBB4_28
; %bb.23:                               ;   in Loop: Header=BB4_22 Depth=2
	s_cmp_le_i32 s39, s36
                                        ; implicit-def: $sgpr27
                                        ; implicit-def: $sgpr38
                                        ; implicit-def: $sgpr37
	s_cbranch_scc0 .LBB4_25
; %bb.24:                               ;   in Loop: Header=BB4_22 Depth=2
	s_add_i32 s27, s35, s31
	s_mul_i32 s27, s27, 9
	s_lshl_b32 s28, s34, 2
	v_mov_b32_e32 v5, s27
	s_mul_i32 s27, s26, 9
	v_mov_b32_e32 v4, s28
	v_mov_b32_e32 v24, s27
	ds_write2_b32 v4, v24, v5 offset1:32
	s_add_i32 s37, s35, 1
	s_add_i32 s38, s26, 1
	;; [unrolled: 1-line block ×3, first 2 shown]
	s_mov_b64 s[28:29], 0
.LBB4_25:                               ;   in Loop: Header=BB4_22 Depth=2
	s_andn2_b64 vcc, exec, s[28:29]
	s_cbranch_vccnz .LBB4_27
; %bb.26:                               ;   in Loop: Header=BB4_22 Depth=2
	s_add_i32 s37, s35, 1
	s_mov_b32 s27, s34
	s_mov_b32 s38, s26
.LBB4_27:                               ;   in Loop: Header=BB4_22 Depth=2
	s_mov_b64 s[28:29], 0
.LBB4_28:                               ;   in Loop: Header=BB4_22 Depth=2
	s_andn2_b64 vcc, exec, s[28:29]
	s_cbranch_vccnz .LBB4_30
; %bb.29:                               ;   in Loop: Header=BB4_22 Depth=2
	s_add_i32 s38, s26, 1
	s_mov_b32 s37, s35
	s_mov_b32 s27, s34
.LBB4_30:                               ;   in Loop: Header=BB4_22 Depth=2
	s_cmp_le_i32 s38, s25
	s_cselect_b64 s[28:29], -1, 0
	s_cmp_le_i32 s36, s24
	s_cselect_b64 s[34:35], -1, 0
	s_and_b64 s[28:29], s[28:29], s[34:35]
	s_and_b64 vcc, exec, s[28:29]
	s_cbranch_vccz .LBB4_32
; %bb.31:                               ;   in Loop: Header=BB4_22 Depth=2
	s_mov_b32 s34, s27
	s_mov_b32 s26, s38
	;; [unrolled: 1-line block ×3, first 2 shown]
	s_branch .LBB4_22
.LBB4_32:                               ;   in Loop: Header=BB4_19 Depth=1
	s_add_u32 s22, s10, s22
	s_addc_u32 s23, s11, s23
	s_waitcnt lgkmcnt(0)
.LBB4_33:                               ;   Parent Loop BB4_19 Depth=1
                                        ; =>  This Inner Loop Header: Depth=2
	global_load_dword v4, v8, s[22:23] glc
	s_waitcnt vmcnt(0)
	v_cmp_eq_u32_e32 vcc, 0, v4
	s_cbranch_vccnz .LBB4_33
; %bb.34:                               ;   in Loop: Header=BB4_19 Depth=1
	v_mad_u64_u32 v[4:5], s[22:23], s25, 9, v[0:1]
	v_ashrrev_i32_e32 v5, 31, v4
	v_lshlrev_b64 v[4:5], 2, v[4:5]
	v_mov_b32_e32 v24, s21
	v_add_co_u32_e32 v4, vcc, s20, v4
	v_addc_co_u32_e32 v5, vcc, v24, v5, vcc
	buffer_wbinvl1_vol
	global_load_dword v4, v[4:5], off
	s_cmp_lt_i32 s27, 2
	v_mov_b32_e32 v24, 0
	s_waitcnt vmcnt(0)
	ds_write_b32 v16, v4
	s_waitcnt lgkmcnt(0)
	s_cbranch_scc1 .LBB4_53
; %bb.35:                               ;   in Loop: Header=BB4_19 Depth=1
	s_add_i32 s24, s27, -1
	s_cmp_eq_u32 s27, 2
	s_cbranch_scc1 .LBB4_46
; %bb.36:                               ;   in Loop: Header=BB4_19 Depth=1
	s_and_b32 s25, s24, -2
	s_mov_b32 s26, 0
	s_mov_b32 s27, 0
	v_mov_b32_e32 v24, 0
	s_branch .LBB4_38
.LBB4_37:                               ;   in Loop: Header=BB4_38 Depth=2
	s_add_i32 s27, s27, 2
	s_add_i32 s26, s26, 8
	s_cmp_eq_u32 s25, s27
	s_cbranch_scc1 .LBB4_47
.LBB4_38:                               ;   Parent Loop BB4_19 Depth=1
                                        ; =>  This Inner Loop Header: Depth=2
	s_waitcnt lgkmcnt(0)
	v_mov_b32_e32 v4, s26
	ds_read2_b32 v[4:5], v4 offset1:32
	s_and_b64 vcc, exec, s[2:3]
	s_cbranch_vccz .LBB4_40
; %bb.39:                               ;   in Loop: Header=BB4_38 Depth=2
	s_waitcnt lgkmcnt(0)
	v_add_u32_e32 v26, v4, v12
	v_ashrrev_i32_e32 v27, 31, v26
	v_lshlrev_b64 v[26:27], 2, v[26:27]
	v_add_u32_e32 v28, v5, v13
	v_mov_b32_e32 v25, s21
	v_add_co_u32_e32 v26, vcc, s20, v26
	v_ashrrev_i32_e32 v29, 31, v28
	v_addc_co_u32_e32 v27, vcc, v25, v27, vcc
	v_lshlrev_b64 v[28:29], 2, v[28:29]
	v_add_u32_e32 v30, v17, v4
	v_add_co_u32_e32 v28, vcc, s20, v28
	v_ashrrev_i32_e32 v31, 31, v30
	v_addc_co_u32_e32 v29, vcc, v25, v29, vcc
	v_lshlrev_b64 v[30:31], 2, v[30:31]
	v_add_u32_e32 v32, v18, v5
	;; [unrolled: 5-line block ×4, first 2 shown]
	v_add_co_u32_e32 v34, vcc, s20, v34
	v_ashrrev_i32_e32 v37, 31, v36
	v_addc_co_u32_e32 v35, vcc, v25, v35, vcc
	v_lshlrev_b64 v[36:37], 2, v[36:37]
	v_add_co_u32_e32 v36, vcc, s20, v36
	v_addc_co_u32_e32 v37, vcc, v25, v37, vcc
	global_load_dword v25, v[26:27], off
	global_load_dword v38, v[28:29], off
	;; [unrolled: 1-line block ×6, first 2 shown]
	s_waitcnt vmcnt(4)
	v_fma_f32 v25, v25, v38, v24
	s_waitcnt vmcnt(2)
	v_fmac_f32_e32 v25, v39, v40
	s_waitcnt vmcnt(0)
	v_fmac_f32_e32 v25, v41, v42
	s_cbranch_execz .LBB4_41
	s_branch .LBB4_42
.LBB4_40:                               ;   in Loop: Header=BB4_38 Depth=2
                                        ; implicit-def: $vgpr25
.LBB4_41:                               ;   in Loop: Header=BB4_38 Depth=2
	s_waitcnt lgkmcnt(0)
	v_add_u32_e32 v26, v4, v9
	v_ashrrev_i32_e32 v27, 31, v26
	v_lshlrev_b64 v[26:27], 2, v[26:27]
	v_add_u32_e32 v4, v5, v15
	v_mov_b32_e32 v25, s21
	v_add_co_u32_e32 v34, vcc, s20, v26
	v_ashrrev_i32_e32 v5, 31, v4
	v_addc_co_u32_e32 v35, vcc, v25, v27, vcc
	v_lshlrev_b64 v[4:5], 2, v[4:5]
	v_add_co_u32_e32 v4, vcc, s20, v4
	v_addc_co_u32_e32 v5, vcc, v25, v5, vcc
	global_load_dwordx3 v[26:28], v[34:35], off
	global_load_dwordx3 v[30:32], v[4:5], off
	s_waitcnt vmcnt(0)
	v_fmac_f32_e32 v24, v26, v30
	v_fmac_f32_e32 v24, v27, v31
	;; [unrolled: 1-line block ×3, first 2 shown]
	v_mov_b32_e32 v25, v24
.LBB4_42:                               ;   in Loop: Header=BB4_38 Depth=2
	s_waitcnt lgkmcnt(0)
	v_mov_b32_e32 v4, s26
	ds_read2_b32 v[4:5], v4 offset0:1 offset1:33
	s_andn2_b64 vcc, exec, s[2:3]
	s_cbranch_vccnz .LBB4_44
; %bb.43:                               ;   in Loop: Header=BB4_38 Depth=2
	s_waitcnt lgkmcnt(0)
	v_add_u32_e32 v26, v4, v12
	v_ashrrev_i32_e32 v27, 31, v26
	v_lshlrev_b64 v[26:27], 2, v[26:27]
	v_add_u32_e32 v28, v5, v13
	v_mov_b32_e32 v24, s21
	v_add_co_u32_e32 v26, vcc, s20, v26
	v_ashrrev_i32_e32 v29, 31, v28
	v_addc_co_u32_e32 v27, vcc, v24, v27, vcc
	v_lshlrev_b64 v[28:29], 2, v[28:29]
	v_add_u32_e32 v30, v17, v4
	v_add_co_u32_e32 v28, vcc, s20, v28
	v_ashrrev_i32_e32 v31, 31, v30
	v_addc_co_u32_e32 v29, vcc, v24, v29, vcc
	v_lshlrev_b64 v[30:31], 2, v[30:31]
	v_add_u32_e32 v32, v18, v5
	;; [unrolled: 5-line block ×4, first 2 shown]
	v_add_co_u32_e32 v34, vcc, s20, v34
	v_ashrrev_i32_e32 v37, 31, v36
	v_addc_co_u32_e32 v35, vcc, v24, v35, vcc
	v_lshlrev_b64 v[36:37], 2, v[36:37]
	v_add_co_u32_e32 v36, vcc, s20, v36
	v_addc_co_u32_e32 v37, vcc, v24, v37, vcc
	global_load_dword v24, v[26:27], off
	global_load_dword v38, v[28:29], off
	;; [unrolled: 1-line block ×6, first 2 shown]
	s_waitcnt vmcnt(4)
	v_fma_f32 v24, v24, v38, v25
	s_waitcnt vmcnt(2)
	v_fmac_f32_e32 v24, v39, v40
	s_waitcnt vmcnt(0)
	v_fmac_f32_e32 v24, v41, v42
	s_cbranch_execnz .LBB4_37
	s_branch .LBB4_45
.LBB4_44:                               ;   in Loop: Header=BB4_38 Depth=2
                                        ; implicit-def: $vgpr24
.LBB4_45:                               ;   in Loop: Header=BB4_38 Depth=2
	s_waitcnt lgkmcnt(0)
	v_add_u32_e32 v26, v4, v9
	v_ashrrev_i32_e32 v27, 31, v26
	v_lshlrev_b64 v[26:27], 2, v[26:27]
	v_add_u32_e32 v4, v5, v15
	v_mov_b32_e32 v24, s21
	v_add_co_u32_e32 v34, vcc, s20, v26
	v_ashrrev_i32_e32 v5, 31, v4
	v_addc_co_u32_e32 v35, vcc, v24, v27, vcc
	v_lshlrev_b64 v[4:5], 2, v[4:5]
	v_add_co_u32_e32 v4, vcc, s20, v4
	v_addc_co_u32_e32 v5, vcc, v24, v5, vcc
	global_load_dwordx3 v[26:28], v[34:35], off
	global_load_dwordx3 v[30:32], v[4:5], off
	s_waitcnt vmcnt(0)
	v_fmac_f32_e32 v25, v26, v30
	v_fmac_f32_e32 v25, v27, v31
	;; [unrolled: 1-line block ×3, first 2 shown]
	v_mov_b32_e32 v24, v25
	s_branch .LBB4_37
.LBB4_46:                               ;   in Loop: Header=BB4_19 Depth=1
	s_mov_b32 s25, 0
	v_mov_b32_e32 v24, 0
.LBB4_47:                               ;   in Loop: Header=BB4_19 Depth=1
	s_bitcmp0_b32 s24, 0
	s_cbranch_scc1 .LBB4_53
; %bb.48:                               ;   in Loop: Header=BB4_19 Depth=1
	s_lshl_b32 s22, s25, 2
	s_waitcnt lgkmcnt(0)
	v_mov_b32_e32 v4, s22
	ds_read2_b32 v[4:5], v4 offset1:32
	s_andn2_b64 vcc, exec, s[2:3]
	s_cbranch_vccnz .LBB4_50
; %bb.49:                               ;   in Loop: Header=BB4_19 Depth=1
	s_waitcnt lgkmcnt(0)
	v_add_u32_e32 v26, v4, v12
	v_ashrrev_i32_e32 v27, 31, v26
	v_lshlrev_b64 v[26:27], 2, v[26:27]
	v_add_u32_e32 v28, v5, v13
	v_mov_b32_e32 v25, s21
	v_add_co_u32_e32 v26, vcc, s20, v26
	v_ashrrev_i32_e32 v29, 31, v28
	v_addc_co_u32_e32 v27, vcc, v25, v27, vcc
	v_lshlrev_b64 v[28:29], 2, v[28:29]
	v_add_u32_e32 v30, v17, v4
	v_add_co_u32_e32 v28, vcc, s20, v28
	v_ashrrev_i32_e32 v31, 31, v30
	v_addc_co_u32_e32 v29, vcc, v25, v29, vcc
	v_lshlrev_b64 v[30:31], 2, v[30:31]
	v_add_u32_e32 v32, v18, v5
	;; [unrolled: 5-line block ×4, first 2 shown]
	v_add_co_u32_e32 v34, vcc, s20, v34
	v_ashrrev_i32_e32 v37, 31, v36
	v_addc_co_u32_e32 v35, vcc, v25, v35, vcc
	v_lshlrev_b64 v[36:37], 2, v[36:37]
	v_add_co_u32_e32 v36, vcc, s20, v36
	v_addc_co_u32_e32 v37, vcc, v25, v37, vcc
	global_load_dword v25, v[26:27], off
	global_load_dword v38, v[28:29], off
	;; [unrolled: 1-line block ×6, first 2 shown]
	s_waitcnt vmcnt(4)
	v_fma_f32 v25, v25, v38, v24
	s_waitcnt vmcnt(2)
	v_fmac_f32_e32 v25, v39, v40
	s_waitcnt vmcnt(0)
	v_fmac_f32_e32 v25, v41, v42
	s_cbranch_execz .LBB4_51
	s_branch .LBB4_52
.LBB4_50:                               ;   in Loop: Header=BB4_19 Depth=1
                                        ; implicit-def: $vgpr25
.LBB4_51:                               ;   in Loop: Header=BB4_19 Depth=1
	s_waitcnt lgkmcnt(0)
	v_add_u32_e32 v26, v4, v9
	v_ashrrev_i32_e32 v27, 31, v26
	v_lshlrev_b64 v[26:27], 2, v[26:27]
	v_add_u32_e32 v4, v5, v15
	v_mov_b32_e32 v25, s21
	v_add_co_u32_e32 v34, vcc, s20, v26
	v_ashrrev_i32_e32 v5, 31, v4
	v_addc_co_u32_e32 v35, vcc, v25, v27, vcc
	v_lshlrev_b64 v[4:5], 2, v[4:5]
	v_add_co_u32_e32 v4, vcc, s20, v4
	v_addc_co_u32_e32 v5, vcc, v25, v5, vcc
	global_load_dwordx3 v[26:28], v[34:35], off
	global_load_dwordx3 v[30:32], v[4:5], off
	s_waitcnt vmcnt(0)
	v_fmac_f32_e32 v24, v26, v30
	v_fmac_f32_e32 v24, v27, v31
	;; [unrolled: 1-line block ×3, first 2 shown]
	v_mov_b32_e32 v25, v24
.LBB4_52:                               ;   in Loop: Header=BB4_19 Depth=1
	v_mov_b32_e32 v24, v25
.LBB4_53:                               ;   in Loop: Header=BB4_19 Depth=1
	ds_write_b32 v22, v24
	s_waitcnt lgkmcnt(0)
	ds_read_b32 v5, v8 offset:384
	ds_read_b32 v4, v10
	s_waitcnt lgkmcnt(1)
	v_cmp_neq_f32_e32 vcc, 0, v5
	s_or_b64 s[22:23], vcc, s[0:1]
	v_cndmask_b32_e32 v5, 1.0, v5, vcc
	s_xor_b64 s[24:25], s[22:23], -1
	s_and_saveexec_b64 s[22:23], s[24:25]
	s_cbranch_execz .LBB4_57
; %bb.54:                               ;   in Loop: Header=BB4_19 Depth=1
	v_mbcnt_lo_u32_b32 v5, exec_lo, 0
	v_mbcnt_hi_u32_b32 v5, exec_hi, v5
	v_cmp_eq_u32_e32 vcc, 0, v5
	s_and_saveexec_b64 s[24:25], vcc
	s_cbranch_execz .LBB4_56
; %bb.55:                               ;   in Loop: Header=BB4_19 Depth=1
	v_mov_b32_e32 v5, s5
	global_atomic_smin v8, v5, s[14:15]
.LBB4_56:                               ;   in Loop: Header=BB4_19 Depth=1
	s_or_b64 exec, exec, s[24:25]
	v_mov_b32_e32 v5, 1.0
.LBB4_57:                               ;   in Loop: Header=BB4_19 Depth=1
	s_or_b64 exec, exec, s[22:23]
	ds_read_b32 v24, v21
	s_waitcnt lgkmcnt(0)
	v_sub_f32_e32 v4, v4, v24
	v_div_scale_f32 v24, s[22:23], v5, v5, v4
	v_rcp_f32_e32 v25, v24
	v_div_scale_f32 v26, vcc, v4, v5, v4
	v_fma_f32 v27, -v24, v25, 1.0
	v_fmac_f32_e32 v25, v27, v25
	v_mul_f32_e32 v27, v26, v25
	v_fma_f32 v28, -v24, v27, v26
	v_fmac_f32_e32 v27, v28, v25
	v_fma_f32 v24, -v24, v27, v26
	v_div_fmas_f32 v24, v24, v25, v27
	v_div_fixup_f32 v4, v24, v5, v4
	ds_write_b32 v10, v4
	s_waitcnt lgkmcnt(0)
	ds_read_b32 v5, v23
	ds_read_b32 v24, v6
	s_waitcnt lgkmcnt(0)
	v_fmac_f32_e32 v24, v4, v5
	ds_write_b32 v6, v24
	s_waitcnt lgkmcnt(0)
	ds_read_b32 v5, v8 offset:404
	ds_read_b32 v4, v10 offset:4
	s_waitcnt lgkmcnt(1)
	v_cmp_neq_f32_e32 vcc, 0, v5
	s_or_b64 s[22:23], vcc, s[0:1]
	v_cndmask_b32_e32 v5, 1.0, v5, vcc
	s_xor_b64 s[24:25], s[22:23], -1
	s_and_saveexec_b64 s[22:23], s[24:25]
	s_cbranch_execz .LBB4_61
; %bb.58:                               ;   in Loop: Header=BB4_19 Depth=1
	v_mbcnt_lo_u32_b32 v5, exec_lo, 0
	v_mbcnt_hi_u32_b32 v5, exec_hi, v5
	v_cmp_eq_u32_e32 vcc, 0, v5
	s_and_saveexec_b64 s[24:25], vcc
	s_cbranch_execz .LBB4_60
; %bb.59:                               ;   in Loop: Header=BB4_19 Depth=1
	v_mov_b32_e32 v5, s5
	global_atomic_smin v8, v5, s[14:15]
.LBB4_60:                               ;   in Loop: Header=BB4_19 Depth=1
	s_or_b64 exec, exec, s[24:25]
	v_mov_b32_e32 v5, 1.0
.LBB4_61:                               ;   in Loop: Header=BB4_19 Depth=1
	s_or_b64 exec, exec, s[22:23]
	ds_read_b32 v24, v10
	ds_read_b32 v25, v8 offset:400
	ds_read_b32 v26, v21 offset:4
	s_waitcnt lgkmcnt(0)
	v_fmac_f32_e32 v26, v25, v24
	v_sub_f32_e32 v4, v4, v26
	v_div_scale_f32 v24, s[22:23], v5, v5, v4
	v_rcp_f32_e32 v25, v24
	v_div_scale_f32 v26, vcc, v4, v5, v4
	v_fma_f32 v27, -v24, v25, 1.0
	v_fmac_f32_e32 v25, v27, v25
	v_mul_f32_e32 v27, v26, v25
	v_fma_f32 v28, -v24, v27, v26
	v_fmac_f32_e32 v27, v28, v25
	v_fma_f32 v24, -v24, v27, v26
	v_div_fmas_f32 v24, v24, v25, v27
	v_div_fixup_f32 v4, v24, v5, v4
	ds_write_b32 v10, v4 offset:4
	s_waitcnt lgkmcnt(0)
	ds_read_b32 v5, v23 offset:4
	ds_read_b32 v24, v6
	s_waitcnt lgkmcnt(0)
	v_fmac_f32_e32 v24, v4, v5
	ds_write_b32 v6, v24
	s_waitcnt lgkmcnt(0)
	ds_read_b32 v5, v8 offset:424
	ds_read_b32 v4, v10 offset:8
	s_waitcnt lgkmcnt(1)
	v_cmp_neq_f32_e32 vcc, 0, v5
	s_or_b64 s[22:23], vcc, s[0:1]
	v_cndmask_b32_e32 v5, 1.0, v5, vcc
	s_xor_b64 s[24:25], s[22:23], -1
	s_and_saveexec_b64 s[22:23], s[24:25]
	s_cbranch_execz .LBB4_17
; %bb.62:                               ;   in Loop: Header=BB4_19 Depth=1
	v_mbcnt_lo_u32_b32 v5, exec_lo, 0
	v_mbcnt_hi_u32_b32 v5, exec_hi, v5
	v_cmp_eq_u32_e32 vcc, 0, v5
	s_and_saveexec_b64 s[24:25], vcc
	s_cbranch_execz .LBB4_16
; %bb.63:                               ;   in Loop: Header=BB4_19 Depth=1
	v_mov_b32_e32 v5, s5
	global_atomic_smin v8, v5, s[14:15]
	s_branch .LBB4_16
.LBB4_64:
	s_cmp_lg_u32 s33, 0
	s_cselect_b64 s[4:5], -1, 0
	s_cmp_eq_u32 s33, 0
	v_mov_b32_e32 v0, v14
	s_cbranch_scc1 .LBB4_66
; %bb.65:
	v_mad_u32_u24 v0, v12, 3, v13
.LBB4_66:
	s_mul_i32 s30, s30, 9
	v_add_u32_e32 v2, s30, v0
	v_ashrrev_i32_e32 v3, 31, v2
	v_lshlrev_b64 v[2:3], 2, v[2:3]
	v_mov_b32_e32 v0, s21
	v_add_co_u32_e32 v2, vcc, s20, v2
	v_addc_co_u32_e32 v3, vcc, v0, v3, vcc
	global_load_dword v0, v[2:3], off
	v_cmp_ne_u32_e32 vcc, 0, v13
	v_cmp_eq_u32_e64 s[0:1], 0, v13
	s_waitcnt vmcnt(0)
	ds_write_b32 v7, v0 offset:480
	s_waitcnt lgkmcnt(0)
	s_and_saveexec_b64 s[8:9], s[0:1]
	s_cbranch_execz .LBB4_68
; %bb.67:
	v_mov_b32_e32 v0, 0
	ds_read2_b32 v[2:3], v0 offset0:120 offset1:132
	s_mov_b32 s2, 0xf800000
	s_waitcnt lgkmcnt(0)
	v_sub_f32_e32 v2, v2, v3
	v_cmp_gt_f32_e64 s[0:1], 0, v2
	v_cndmask_b32_e64 v2, v2, -v2, s[0:1]
	v_mul_f32_e32 v3, 0x4f800000, v2
	v_cmp_gt_f32_e64 s[0:1], s2, v2
	v_cndmask_b32_e64 v2, v2, v3, s[0:1]
	v_sqrt_f32_e32 v3, v2
	v_add_u32_e32 v4, -1, v3
	v_add_u32_e32 v5, 1, v3
	v_fma_f32 v8, -v4, v3, v2
	v_fma_f32 v9, -v5, v3, v2
	v_cmp_ge_f32_e64 s[2:3], 0, v8
	v_cndmask_b32_e64 v3, v3, v4, s[2:3]
	v_cmp_lt_f32_e64 s[2:3], 0, v9
	v_cndmask_b32_e64 v3, v3, v5, s[2:3]
	v_mul_f32_e32 v4, 0x37800000, v3
	v_cndmask_b32_e64 v3, v3, v4, s[0:1]
	v_mov_b32_e32 v4, 0x260
	v_cmp_class_f32_e64 s[0:1], v2, v4
	v_cndmask_b32_e64 v2, v3, v2, s[0:1]
	ds_write_b32 v0, v2 offset:480
.LBB4_68:
	s_or_b64 exec, exec, s[8:9]
	v_mov_b32_e32 v0, 0
	s_waitcnt lgkmcnt(0)
	ds_read_b32 v2, v0 offset:480
	v_or_b32_e32 v0, v12, v13
	v_cmp_ne_u32_e64 s[0:1], 0, v0
	s_add_i32 s18, s12, s13
	s_waitcnt lgkmcnt(0)
	v_cmp_neq_f32_e64 s[2:3], 0, v2
	v_cndmask_b32_e64 v2, 1.0, v2, s[2:3]
	s_or_b64 s[2:3], s[2:3], s[0:1]
	s_xor_b64 s[2:3], s[2:3], -1
	s_and_saveexec_b64 s[8:9], s[2:3]
	s_cbranch_execz .LBB4_72
; %bb.69:
	v_mbcnt_lo_u32_b32 v2, exec_lo, 0
	v_mbcnt_hi_u32_b32 v2, exec_hi, v2
	v_cmp_eq_u32_e64 s[2:3], 0, v2
	s_and_saveexec_b64 s[16:17], s[2:3]
	s_cbranch_execz .LBB4_71
; %bb.70:
	v_mov_b32_e32 v2, 0
	v_mov_b32_e32 v3, s18
	global_atomic_smin v2, v3, s[14:15]
.LBB4_71:
	s_or_b64 exec, exec, s[16:17]
	v_mov_b32_e32 v2, 1.0
.LBB4_72:
	s_or_b64 exec, exec, s[8:9]
	s_and_saveexec_b64 s[2:3], vcc
	s_cbranch_execz .LBB4_74
; %bb.73:
	v_lshlrev_b32_e32 v3, 4, v13
	ds_read2_b32 v[4:5], v3 offset0:120 offset1:132
	v_lshlrev_b32_e32 v9, 4, v12
	s_waitcnt lgkmcnt(0)
	v_sub_f32_e32 v4, v4, v5
	v_div_scale_f32 v5, s[8:9], v2, v2, v4
	v_rcp_f32_e32 v8, v5
	v_div_scale_f32 v10, vcc, v4, v2, v4
	v_fma_f32 v11, -v5, v8, 1.0
	v_fmac_f32_e32 v8, v11, v8
	v_mul_f32_e32 v11, v10, v8
	v_fma_f32 v15, -v5, v11, v10
	v_fmac_f32_e32 v11, v15, v8
	v_fma_f32 v5, -v5, v11, v10
	v_div_fmas_f32 v5, v5, v8, v11
	v_div_fixup_f32 v2, v5, v2, v4
	ds_write_b32 v3, v2 offset:480
	s_waitcnt lgkmcnt(0)
	ds_read_b32 v3, v9 offset:480
	ds_read_b32 v4, v6
	s_waitcnt lgkmcnt(0)
	v_fmac_f32_e32 v4, v2, v3
	ds_write_b32 v6, v4
.LBB4_74:
	s_or_b64 exec, exec, s[2:3]
	v_cmp_eq_u32_e32 vcc, 1, v13
	s_waitcnt lgkmcnt(0)
	s_and_saveexec_b64 s[8:9], vcc
	s_cbranch_execz .LBB4_76
; %bb.75:
	v_mov_b32_e32 v4, 0
	ds_read2_b32 v[2:3], v4 offset0:125 offset1:137
	s_mov_b32 s2, 0xf800000
	s_waitcnt lgkmcnt(0)
	v_sub_f32_e32 v2, v2, v3
	v_cmp_gt_f32_e32 vcc, 0, v2
	v_cndmask_b32_e64 v2, v2, -v2, vcc
	v_mul_f32_e32 v3, 0x4f800000, v2
	v_cmp_gt_f32_e32 vcc, s2, v2
	v_cndmask_b32_e32 v2, v2, v3, vcc
	v_sqrt_f32_e32 v3, v2
	v_add_u32_e32 v5, -1, v3
	v_add_u32_e32 v8, 1, v3
	v_fma_f32 v9, -v5, v3, v2
	v_fma_f32 v10, -v8, v3, v2
	v_cmp_ge_f32_e64 s[2:3], 0, v9
	v_cndmask_b32_e64 v3, v3, v5, s[2:3]
	v_cmp_lt_f32_e64 s[2:3], 0, v10
	v_cndmask_b32_e64 v3, v3, v8, s[2:3]
	v_mul_f32_e32 v5, 0x37800000, v3
	v_cndmask_b32_e32 v3, v3, v5, vcc
	v_mov_b32_e32 v5, 0x260
	v_cmp_class_f32_e32 vcc, v2, v5
	v_cndmask_b32_e32 v2, v3, v2, vcc
	ds_write_b32 v4, v2 offset:500
.LBB4_76:
	s_or_b64 exec, exec, s[8:9]
	v_mov_b32_e32 v2, 0
	s_waitcnt lgkmcnt(0)
	ds_read_b32 v2, v2 offset:500
	s_waitcnt lgkmcnt(0)
	v_cmp_neq_f32_e32 vcc, 0, v2
	s_or_b64 s[2:3], vcc, s[0:1]
	v_cndmask_b32_e32 v2, 1.0, v2, vcc
	s_xor_b64 s[8:9], s[2:3], -1
	s_and_saveexec_b64 s[2:3], s[8:9]
	s_cbranch_execz .LBB4_80
; %bb.77:
	v_mbcnt_lo_u32_b32 v2, exec_lo, 0
	v_mbcnt_hi_u32_b32 v2, exec_hi, v2
	v_cmp_eq_u32_e32 vcc, 0, v2
	s_and_saveexec_b64 s[8:9], vcc
	s_cbranch_execz .LBB4_79
; %bb.78:
	v_mov_b32_e32 v2, 0
	v_mov_b32_e32 v3, s18
	global_atomic_smin v2, v3, s[14:15]
.LBB4_79:
	s_or_b64 exec, exec, s[8:9]
	v_mov_b32_e32 v2, 1.0
.LBB4_80:
	s_or_b64 exec, exec, s[2:3]
	v_cmp_lt_u32_e32 vcc, 1, v13
	s_and_saveexec_b64 s[2:3], vcc
	s_cbranch_execz .LBB4_82
; %bb.81:
	v_lshlrev_b32_e32 v3, 4, v13
	ds_read2_b32 v[4:5], v3 offset0:121 offset1:133
	v_lshlrev_b32_e32 v9, 4, v12
	s_waitcnt lgkmcnt(0)
	v_sub_f32_e32 v4, v4, v5
	v_div_scale_f32 v5, s[8:9], v2, v2, v4
	v_rcp_f32_e32 v8, v5
	v_div_scale_f32 v10, vcc, v4, v2, v4
	v_fma_f32 v11, -v5, v8, 1.0
	v_fmac_f32_e32 v8, v11, v8
	v_mul_f32_e32 v11, v10, v8
	v_fma_f32 v15, -v5, v11, v10
	v_fmac_f32_e32 v11, v15, v8
	v_fma_f32 v5, -v5, v11, v10
	v_div_fmas_f32 v5, v5, v8, v11
	v_div_fixup_f32 v2, v5, v2, v4
	ds_write_b32 v3, v2 offset:484
	s_waitcnt lgkmcnt(0)
	ds_read_b32 v3, v9 offset:484
	ds_read_b32 v4, v6
	s_waitcnt lgkmcnt(0)
	v_fmac_f32_e32 v4, v2, v3
	ds_write_b32 v6, v4
.LBB4_82:
	s_or_b64 exec, exec, s[2:3]
	v_cmp_eq_u32_e32 vcc, 2, v13
	s_waitcnt lgkmcnt(0)
	s_and_saveexec_b64 s[8:9], vcc
	s_cbranch_execz .LBB4_84
; %bb.83:
	v_mov_b32_e32 v4, 0
	ds_read2_b32 v[2:3], v4 offset0:130 offset1:142
	s_mov_b32 s2, 0xf800000
	s_waitcnt lgkmcnt(0)
	v_sub_f32_e32 v2, v2, v3
	v_cmp_gt_f32_e32 vcc, 0, v2
	v_cndmask_b32_e64 v2, v2, -v2, vcc
	v_mul_f32_e32 v3, 0x4f800000, v2
	v_cmp_gt_f32_e32 vcc, s2, v2
	v_cndmask_b32_e32 v2, v2, v3, vcc
	v_sqrt_f32_e32 v3, v2
	v_add_u32_e32 v5, -1, v3
	v_add_u32_e32 v8, 1, v3
	v_fma_f32 v9, -v5, v3, v2
	v_fma_f32 v10, -v8, v3, v2
	v_cmp_ge_f32_e64 s[2:3], 0, v9
	v_cndmask_b32_e64 v3, v3, v5, s[2:3]
	v_cmp_lt_f32_e64 s[2:3], 0, v10
	v_cndmask_b32_e64 v3, v3, v8, s[2:3]
	v_mul_f32_e32 v5, 0x37800000, v3
	v_cndmask_b32_e32 v3, v3, v5, vcc
	v_mov_b32_e32 v5, 0x260
	v_cmp_class_f32_e32 vcc, v2, v5
	v_cndmask_b32_e32 v2, v3, v2, vcc
	ds_write_b32 v4, v2 offset:520
.LBB4_84:
	s_or_b64 exec, exec, s[8:9]
	v_mov_b32_e32 v2, 0
	s_waitcnt lgkmcnt(0)
	ds_read_b32 v2, v2 offset:520
	s_waitcnt lgkmcnt(0)
	v_cmp_neq_f32_e32 vcc, 0, v2
	s_or_b64 s[0:1], vcc, s[0:1]
	v_cndmask_b32_e32 v2, 1.0, v2, vcc
	s_xor_b64 s[2:3], s[0:1], -1
	s_and_saveexec_b64 s[0:1], s[2:3]
	s_cbranch_execz .LBB4_88
; %bb.85:
	v_mbcnt_lo_u32_b32 v2, exec_lo, 0
	v_mbcnt_hi_u32_b32 v2, exec_hi, v2
	v_cmp_eq_u32_e32 vcc, 0, v2
	s_and_saveexec_b64 s[2:3], vcc
	s_cbranch_execz .LBB4_87
; %bb.86:
	v_mov_b32_e32 v2, 0
	v_mov_b32_e32 v3, s18
	global_atomic_smin v2, v3, s[14:15]
.LBB4_87:
	s_or_b64 exec, exec, s[2:3]
	v_mov_b32_e32 v2, 1.0
.LBB4_88:
	s_or_b64 exec, exec, s[0:1]
	v_add_u32_e32 v3, 0x1e0, v7
	v_cmp_lt_u32_e32 vcc, 2, v13
	s_and_saveexec_b64 s[0:1], vcc
	s_cbranch_execz .LBB4_90
; %bb.89:
	v_lshlrev_b32_e32 v7, 4, v13
	ds_read2_b32 v[4:5], v7 offset0:122 offset1:134
	v_lshlrev_b32_e32 v9, 4, v12
	s_waitcnt lgkmcnt(0)
	v_sub_f32_e32 v4, v4, v5
	v_div_scale_f32 v5, s[2:3], v2, v2, v4
	v_rcp_f32_e32 v8, v5
	v_div_scale_f32 v10, vcc, v4, v2, v4
	v_fma_f32 v11, -v5, v8, 1.0
	v_fmac_f32_e32 v8, v11, v8
	v_mul_f32_e32 v11, v10, v8
	v_fma_f32 v15, -v5, v11, v10
	v_fmac_f32_e32 v11, v15, v8
	v_fma_f32 v5, -v5, v11, v10
	v_div_fmas_f32 v5, v5, v8, v11
	v_div_fixup_f32 v2, v5, v2, v4
	ds_write_b32 v7, v2 offset:488
	s_waitcnt lgkmcnt(0)
	ds_read_b32 v4, v9 offset:488
	ds_read_b32 v5, v6
	s_waitcnt lgkmcnt(0)
	v_fmac_f32_e32 v5, v2, v4
	ds_write_b32 v6, v5
.LBB4_90:
	s_or_b64 exec, exec, s[0:1]
	s_waitcnt lgkmcnt(0)
	ds_read_b32 v2, v3
	s_andn2_b64 vcc, exec, s[4:5]
	s_cbranch_vccnz .LBB4_92
; %bb.91:
	v_mov_b32_e32 v14, v1
.LBB4_92:
	v_add_u32_e32 v4, s30, v14
	v_ashrrev_i32_e32 v5, 31, v4
	v_lshlrev_b64 v[4:5], 2, v[4:5]
	v_mov_b32_e32 v1, s21
	v_add_co_u32_e32 v4, vcc, s20, v4
	v_addc_co_u32_e32 v5, vcc, v1, v5, vcc
	s_waitcnt lgkmcnt(0)
	global_store_dword v[4:5], v2, off
	v_cmp_eq_u32_e64 s[0:1], 0, v0
.LBB4_93:
	s_and_saveexec_b64 s[2:3], s[0:1]
	s_cbranch_execnz .LBB4_101
.LBB4_94:
	s_endpgm
.LBB4_95:
	s_mov_b64 s[0:1], 0
	s_cbranch_execz .LBB4_93
; %bb.96:
	v_or_b32_e32 v0, v12, v13
	v_cmp_eq_u32_e32 vcc, 0, v0
	s_and_saveexec_b64 s[2:3], vcc
	s_cbranch_execz .LBB4_100
; %bb.97:
	v_mbcnt_lo_u32_b32 v0, exec_lo, 0
	v_mbcnt_hi_u32_b32 v0, exec_hi, v0
	v_cmp_eq_u32_e32 vcc, 0, v0
	s_and_saveexec_b64 s[4:5], vcc
	s_cbranch_execz .LBB4_99
; %bb.98:
	s_add_i32 s8, s12, s13
	v_mov_b32_e32 v0, 0
	v_mov_b32_e32 v1, s8
	global_atomic_smin v0, v1, s[14:15]
.LBB4_99:
	s_or_b64 exec, exec, s[4:5]
	s_or_b64 s[0:1], s[0:1], exec
.LBB4_100:
	s_or_b64 exec, exec, s[2:3]
	s_and_saveexec_b64 s[2:3], s[0:1]
	s_cbranch_execz .LBB4_94
.LBB4_101:
	s_add_u32 s0, s10, s6
	s_addc_u32 s1, s11, s7
	v_mov_b32_e32 v0, 0
	v_mov_b32_e32 v1, 1
	s_waitcnt vmcnt(0)
	global_store_dword v0, v1, s[0:1]
	s_endpgm
	.section	.rodata,"a",@progbits
	.p2align	6, 0x0
	.amdhsa_kernel _ZN9rocsparseL26bsric0_2_8_unrolled_kernelILi9ELi32ELi3EfEEv20rocsparse_direction_iiPKiS3_PT2_S3_PiS3_S6_21rocsparse_index_base_
		.amdhsa_group_segment_fixed_size 576
		.amdhsa_private_segment_fixed_size 0
		.amdhsa_kernarg_size 76
		.amdhsa_user_sgpr_count 6
		.amdhsa_user_sgpr_private_segment_buffer 1
		.amdhsa_user_sgpr_dispatch_ptr 0
		.amdhsa_user_sgpr_queue_ptr 0
		.amdhsa_user_sgpr_kernarg_segment_ptr 1
		.amdhsa_user_sgpr_dispatch_id 0
		.amdhsa_user_sgpr_flat_scratch_init 0
		.amdhsa_user_sgpr_kernarg_preload_length 0
		.amdhsa_user_sgpr_kernarg_preload_offset 0
		.amdhsa_user_sgpr_private_segment_size 0
		.amdhsa_uses_dynamic_stack 0
		.amdhsa_system_sgpr_private_segment_wavefront_offset 0
		.amdhsa_system_sgpr_workgroup_id_x 1
		.amdhsa_system_sgpr_workgroup_id_y 0
		.amdhsa_system_sgpr_workgroup_id_z 0
		.amdhsa_system_sgpr_workgroup_info 0
		.amdhsa_system_vgpr_workitem_id 1
		.amdhsa_next_free_vgpr 72
		.amdhsa_next_free_sgpr 40
		.amdhsa_accum_offset 72
		.amdhsa_reserve_vcc 1
		.amdhsa_reserve_flat_scratch 0
		.amdhsa_float_round_mode_32 0
		.amdhsa_float_round_mode_16_64 0
		.amdhsa_float_denorm_mode_32 3
		.amdhsa_float_denorm_mode_16_64 3
		.amdhsa_dx10_clamp 1
		.amdhsa_ieee_mode 1
		.amdhsa_fp16_overflow 0
		.amdhsa_tg_split 0
		.amdhsa_exception_fp_ieee_invalid_op 0
		.amdhsa_exception_fp_denorm_src 0
		.amdhsa_exception_fp_ieee_div_zero 0
		.amdhsa_exception_fp_ieee_overflow 0
		.amdhsa_exception_fp_ieee_underflow 0
		.amdhsa_exception_fp_ieee_inexact 0
		.amdhsa_exception_int_div_zero 0
	.end_amdhsa_kernel
	.section	.text._ZN9rocsparseL26bsric0_2_8_unrolled_kernelILi9ELi32ELi3EfEEv20rocsparse_direction_iiPKiS3_PT2_S3_PiS3_S6_21rocsparse_index_base_,"axG",@progbits,_ZN9rocsparseL26bsric0_2_8_unrolled_kernelILi9ELi32ELi3EfEEv20rocsparse_direction_iiPKiS3_PT2_S3_PiS3_S6_21rocsparse_index_base_,comdat
.Lfunc_end4:
	.size	_ZN9rocsparseL26bsric0_2_8_unrolled_kernelILi9ELi32ELi3EfEEv20rocsparse_direction_iiPKiS3_PT2_S3_PiS3_S6_21rocsparse_index_base_, .Lfunc_end4-_ZN9rocsparseL26bsric0_2_8_unrolled_kernelILi9ELi32ELi3EfEEv20rocsparse_direction_iiPKiS3_PT2_S3_PiS3_S6_21rocsparse_index_base_
                                        ; -- End function
	.section	.AMDGPU.csdata,"",@progbits
; Kernel info:
; codeLenInByte = 5880
; NumSgprs: 44
; NumVgprs: 72
; NumAgprs: 0
; TotalNumVgprs: 72
; ScratchSize: 0
; MemoryBound: 0
; FloatMode: 240
; IeeeMode: 1
; LDSByteSize: 576 bytes/workgroup (compile time only)
; SGPRBlocks: 5
; VGPRBlocks: 8
; NumSGPRsForWavesPerEU: 44
; NumVGPRsForWavesPerEU: 72
; AccumOffset: 72
; Occupancy: 7
; WaveLimiterHint : 1
; COMPUTE_PGM_RSRC2:SCRATCH_EN: 0
; COMPUTE_PGM_RSRC2:USER_SGPR: 6
; COMPUTE_PGM_RSRC2:TRAP_HANDLER: 0
; COMPUTE_PGM_RSRC2:TGID_X_EN: 1
; COMPUTE_PGM_RSRC2:TGID_Y_EN: 0
; COMPUTE_PGM_RSRC2:TGID_Z_EN: 0
; COMPUTE_PGM_RSRC2:TIDIG_COMP_CNT: 1
; COMPUTE_PGM_RSRC3_GFX90A:ACCUM_OFFSET: 17
; COMPUTE_PGM_RSRC3_GFX90A:TG_SPLIT: 0
	.section	.text._ZN9rocsparseL26bsric0_2_8_unrolled_kernelILi16ELi32ELi4EfEEv20rocsparse_direction_iiPKiS3_PT2_S3_PiS3_S6_21rocsparse_index_base_,"axG",@progbits,_ZN9rocsparseL26bsric0_2_8_unrolled_kernelILi16ELi32ELi4EfEEv20rocsparse_direction_iiPKiS3_PT2_S3_PiS3_S6_21rocsparse_index_base_,comdat
	.globl	_ZN9rocsparseL26bsric0_2_8_unrolled_kernelILi16ELi32ELi4EfEEv20rocsparse_direction_iiPKiS3_PT2_S3_PiS3_S6_21rocsparse_index_base_ ; -- Begin function _ZN9rocsparseL26bsric0_2_8_unrolled_kernelILi16ELi32ELi4EfEEv20rocsparse_direction_iiPKiS3_PT2_S3_PiS3_S6_21rocsparse_index_base_
	.p2align	8
	.type	_ZN9rocsparseL26bsric0_2_8_unrolled_kernelILi16ELi32ELi4EfEEv20rocsparse_direction_iiPKiS3_PT2_S3_PiS3_S6_21rocsparse_index_base_,@function
_ZN9rocsparseL26bsric0_2_8_unrolled_kernelILi16ELi32ELi4EfEEv20rocsparse_direction_iiPKiS3_PT2_S3_PiS3_S6_21rocsparse_index_base_: ; @_ZN9rocsparseL26bsric0_2_8_unrolled_kernelILi16ELi32ELi4EfEEv20rocsparse_direction_iiPKiS3_PT2_S3_PiS3_S6_21rocsparse_index_base_
; %bb.0:
	s_load_dwordx8 s[8:15], s[4:5], 0x28
	s_mov_b32 s7, 0
	s_lshl_b64 s[0:1], s[6:7], 2
	v_and_b32_e32 v12, 0x3ff, v0
	v_bfe_u32 v13, v0, 10, 10
	s_waitcnt lgkmcnt(0)
	s_add_u32 s0, s12, s0
	s_addc_u32 s1, s13, s1
	s_load_dword s12, s[0:1], 0x0
	s_waitcnt lgkmcnt(0)
	s_ashr_i32 s13, s12, 31
	s_lshl_b64 s[6:7], s[12:13], 2
	s_add_u32 s0, s8, s6
	s_addc_u32 s1, s9, s7
	s_load_dword s30, s[0:1], 0x0
	s_load_dword s13, s[4:5], 0x48
	s_waitcnt lgkmcnt(0)
	s_cmp_lg_u32 s30, -1
	s_cbranch_scc0 .LBB5_16
; %bb.1:
	s_load_dwordx4 s[16:19], s[4:5], 0x10
	v_lshlrev_b32_e32 v15, 2, v13
	v_add_u32_e32 v14, v15, v12
	s_waitcnt lgkmcnt(0)
	s_add_u32 s0, s16, s6
	s_addc_u32 s1, s17, s7
	s_load_dword s24, s[0:1], 0x0
	s_waitcnt lgkmcnt(0)
	s_sub_i32 s31, s24, s13
	v_add_u32_e32 v0, s31, v14
	v_cmp_ge_i32_e32 vcc, s30, v0
	s_and_saveexec_b64 s[0:1], vcc
	s_cbranch_execz .LBB5_14
; %bb.2:
	v_add_u32_e32 v1, s24, v14
	v_subrev_u32_e32 v1, s13, v1
	v_add_u32_e32 v1, 16, v1
	s_add_i32 s2, s30, 1
	v_max_i32_e32 v1, s2, v1
	v_not_b32_e32 v2, v12
	v_add3_u32 v1, v1, s13, v2
	v_add_u32_e32 v2, s24, v15
	v_sub_u32_e32 v1, v1, v2
	v_cmp_lt_u32_e32 vcc, 15, v1
	s_mov_b64 s[20:21], -1
	s_and_saveexec_b64 s[2:3], vcc
	s_cbranch_execz .LBB5_11
; %bb.3:
	v_lshrrev_b32_e32 v16, 4, v1
	v_add_u32_e32 v2, -1, v16
	v_add_u32_e32 v1, 16, v0
	v_lshrrev_b32_e32 v3, 1, v2
	v_add_u32_e32 v17, 1, v3
	v_cmp_lt_u32_e32 vcc, 13, v2
	v_pk_mov_b32 v[2:3], v[0:1], v[0:1] op_sel:[0,1]
	s_and_saveexec_b64 s[20:21], vcc
	s_cbranch_execz .LBB5_7
; %bb.4:
	v_and_b32_e32 v18, -8, v17
	s_mov_b64 s[22:23], 0
	v_mov_b32_e32 v19, s19
	v_pk_mov_b32 v[2:3], v[0:1], v[0:1] op_sel:[0,1]
.LBB5_5:                                ; =>This Inner Loop Header: Depth=1
	v_ashrrev_i32_e32 v23, 31, v2
	v_mov_b32_e32 v22, v2
	v_lshlrev_b64 v[22:23], 2, v[22:23]
	v_ashrrev_i32_e32 v21, 31, v3
	v_mov_b32_e32 v20, v3
	v_add_co_u32_e32 v22, vcc, s18, v22
	v_add_u32_e32 v4, 32, v2
	v_lshlrev_b64 v[20:21], 2, v[20:21]
	v_addc_co_u32_e32 v23, vcc, v19, v23, vcc
	v_ashrrev_i32_e32 v5, 31, v4
	v_add_co_u32_e32 v20, vcc, s18, v20
	v_add_u32_e32 v6, 32, v3
	v_addc_co_u32_e32 v21, vcc, v19, v21, vcc
	v_lshlrev_b64 v[42:43], 2, v[4:5]
	v_ashrrev_i32_e32 v7, 31, v6
	v_add_co_u32_e32 v42, vcc, s18, v42
	v_add_u32_e32 v8, 64, v2
	v_lshlrev_b64 v[44:45], 2, v[6:7]
	v_addc_co_u32_e32 v43, vcc, v19, v43, vcc
	v_ashrrev_i32_e32 v9, 31, v8
	v_add_co_u32_e32 v44, vcc, s18, v44
	v_add_u32_e32 v10, 64, v3
	v_lshlrev_b64 v[46:47], 2, v[8:9]
	v_addc_co_u32_e32 v45, vcc, v19, v45, vcc
	;; [unrolled: 5-line block ×11, first 2 shown]
	v_ashrrev_i32_e32 v41, 31, v40
	v_add_co_u32_e32 v64, vcc, s18, v64
	v_addc_co_u32_e32 v65, vcc, v19, v65, vcc
	v_lshlrev_b64 v[66:67], 2, v[40:41]
	v_add_u32_e32 v68, 0xe0, v3
	v_add_co_u32_e32 v66, vcc, s18, v66
	v_ashrrev_i32_e32 v69, 31, v68
	v_addc_co_u32_e32 v67, vcc, v19, v67, vcc
	v_lshlrev_b64 v[70:71], 2, v[68:69]
	v_add_co_u32_e32 v70, vcc, s18, v70
	v_addc_co_u32_e32 v71, vcc, v19, v71, vcc
	global_load_dword v1, v[20:21], off
	global_load_dword v5, v[22:23], off
	global_load_dword v7, v[44:45], off
	global_load_dword v9, v[42:43], off
	global_load_dword v11, v[48:49], off
	global_load_dword v25, v[46:47], off
	global_load_dword v27, v[52:53], off
	global_load_dword v29, v[50:51], off
	global_load_dword v31, v[56:57], off
	global_load_dword v33, v[54:55], off
	global_load_dword v35, v[60:61], off
	global_load_dword v37, v[58:59], off
	global_load_dword v39, v[64:65], off
	global_load_dword v41, v[62:63], off
	global_load_dword v69, v[70:71], off
                                        ; kill: killed $vgpr70 killed $vgpr71
                                        ; kill: killed $vgpr42 killed $vgpr43
                                        ; kill: killed $vgpr64 killed $vgpr65
                                        ; kill: killed $vgpr62 killed $vgpr63
                                        ; kill: killed $vgpr60 killed $vgpr61
                                        ; kill: killed $vgpr20 killed $vgpr21
                                        ; kill: killed $vgpr56 killed $vgpr57
                                        ; kill: killed $vgpr58 killed $vgpr59
                                        ; kill: killed $vgpr22 killed $vgpr23
                                        ; kill: killed $vgpr52 killed $vgpr53
                                        ; kill: killed $vgpr54 killed $vgpr55
                                        ; kill: killed $vgpr48 killed $vgpr49
                                        ; kill: killed $vgpr50 killed $vgpr51
                                        ; kill: killed $vgpr44 killed $vgpr45
                                        ; kill: killed $vgpr46 killed $vgpr47
	global_load_dword v20, v[66:67], off
	v_subrev_u32_e32 v22, s31, v2
	v_add_u32_e32 v18, -8, v18
	v_subrev_u32_e32 v21, s31, v3
	v_lshlrev_b32_e32 v22, 2, v22
	v_subrev_u32_e32 v4, s31, v4
	v_cmp_eq_u32_e32 vcc, 0, v18
	v_add_u32_e32 v3, 0x100, v3
	v_add_u32_e32 v2, 0x100, v2
	v_lshlrev_b32_e32 v21, 2, v21
	v_subrev_u32_e32 v6, s31, v6
	v_subrev_u32_e32 v10, s31, v10
	;; [unrolled: 1-line block ×13, first 2 shown]
	v_lshlrev_b32_e32 v4, 2, v4
	s_or_b64 s[22:23], vcc, s[22:23]
	v_lshlrev_b32_e32 v6, 2, v6
	v_lshlrev_b32_e32 v8, 2, v8
	;; [unrolled: 1-line block ×13, first 2 shown]
	s_waitcnt vmcnt(15)
	v_subrev_u32_e32 v1, s13, v1
	s_waitcnt vmcnt(14)
	v_subrev_u32_e32 v5, s13, v5
	ds_write_b32 v22, v5 offset:256
	ds_write_b32 v21, v1 offset:256
	s_waitcnt vmcnt(12)
	v_subrev_u32_e32 v5, s13, v9
	v_subrev_u32_e32 v1, s13, v7
	s_waitcnt vmcnt(11)
	v_subrev_u32_e32 v7, s13, v11
	s_waitcnt vmcnt(10)
	;; [unrolled: 2-line block ×12, first 2 shown]
	v_subrev_u32_e32 v20, s13, v20
	ds_write_b32 v4, v5 offset:256
	ds_write_b32 v6, v1 offset:256
	;; [unrolled: 1-line block ×14, first 2 shown]
	s_andn2_b64 exec, exec, s[22:23]
	s_cbranch_execnz .LBB5_5
; %bb.6:
	s_or_b64 exec, exec, s[22:23]
.LBB5_7:
	s_or_b64 exec, exec, s[20:21]
	v_and_b32_e32 v1, 7, v17
	v_cmp_ne_u32_e32 vcc, 0, v1
	s_and_saveexec_b64 s[20:21], vcc
	s_cbranch_execz .LBB5_10
; %bb.8:
	s_mov_b64 s[22:23], 0
	v_mov_b32_e32 v4, s19
.LBB5_9:                                ; =>This Inner Loop Header: Depth=1
	v_ashrrev_i32_e32 v9, 31, v2
	v_mov_b32_e32 v8, v2
	v_lshlrev_b64 v[8:9], 2, v[8:9]
	v_ashrrev_i32_e32 v7, 31, v3
	v_mov_b32_e32 v6, v3
	v_add_co_u32_e32 v8, vcc, s18, v8
	v_lshlrev_b64 v[6:7], 2, v[6:7]
	v_addc_co_u32_e32 v9, vcc, v4, v9, vcc
	v_add_co_u32_e32 v6, vcc, s18, v6
	v_addc_co_u32_e32 v7, vcc, v4, v7, vcc
	global_load_dword v5, v[6:7], off
	global_load_dword v10, v[8:9], off
	v_add_u32_e32 v1, -1, v1
	v_subrev_u32_e32 v7, s31, v2
	v_cmp_eq_u32_e32 vcc, 0, v1
	v_subrev_u32_e32 v6, s31, v3
	v_add_u32_e32 v3, 32, v3
	v_add_u32_e32 v2, 32, v2
	v_lshlrev_b32_e32 v7, 2, v7
	s_or_b64 s[22:23], vcc, s[22:23]
	v_lshlrev_b32_e32 v6, 2, v6
	s_waitcnt vmcnt(1)
	v_subrev_u32_e32 v5, s13, v5
	s_waitcnt vmcnt(0)
	v_subrev_u32_e32 v8, s13, v10
	ds_write_b32 v7, v8 offset:256
	ds_write_b32 v6, v5 offset:256
	s_andn2_b64 exec, exec, s[22:23]
	s_cbranch_execnz .LBB5_9
.LBB5_10:
	s_or_b64 exec, exec, s[20:21]
	v_add_u32_e32 v1, 1, v16
	v_and_b32_e32 v2, 0x1ffffffe, v1
	v_cmp_ne_u32_e32 vcc, v1, v2
	v_lshl_add_u32 v0, v2, 4, v0
	s_orn2_b64 s[20:21], vcc, exec
.LBB5_11:
	s_or_b64 exec, exec, s[2:3]
	s_and_b64 exec, exec, s[20:21]
	s_cbranch_execz .LBB5_14
; %bb.12:
	v_add_u32_e32 v1, s13, v0
	v_subrev_u32_e32 v1, s24, v1
	v_mov_b32_e32 v2, 0x100
	v_lshl_add_u32 v4, v1, 2, v2
	v_ashrrev_i32_e32 v1, 31, v0
	v_lshlrev_b64 v[2:3], 2, v[0:1]
	v_mov_b32_e32 v1, s19
	v_add_co_u32_e32 v2, vcc, s18, v2
	v_addc_co_u32_e32 v3, vcc, v1, v3, vcc
	s_mov_b64 s[2:3], 0
.LBB5_13:                               ; =>This Inner Loop Header: Depth=1
	global_load_dword v1, v[2:3], off
	v_add_co_u32_e32 v2, vcc, 64, v2
	v_add_u32_e32 v0, 16, v0
	v_addc_co_u32_e32 v3, vcc, 0, v3, vcc
	v_cmp_lt_i32_e32 vcc, s30, v0
	s_or_b64 s[2:3], vcc, s[2:3]
	s_waitcnt vmcnt(0)
	v_subrev_u32_e32 v1, s13, v1
	ds_write_b32 v4, v1
	v_add_u32_e32 v4, 64, v4
	s_andn2_b64 exec, exec, s[2:3]
	s_cbranch_execnz .LBB5_13
.LBB5_14:
	s_or_b64 exec, exec, s[0:1]
	s_load_dwordx2 s[2:3], s[4:5], 0x20
	v_lshlrev_b32_e32 v7, 2, v12
	v_mad_u32_u24 v6, v13, 20, v7
	v_mov_b32_e32 v0, 0
	s_cmp_lt_i32 s31, s30
	ds_write_b32 v6, v0 offset:624
	s_waitcnt lgkmcnt(0)
	s_cbranch_scc1 .LBB5_17
; %bb.15:
	v_lshl_add_u32 v8, v12, 2, v13
	v_or_b32_e32 v4, v12, v13
	s_load_dword s33, s[4:5], 0x0
	v_add_u32_e32 v5, 0x270, v6
	s_cbranch_execz .LBB5_18
	s_branch .LBB5_59
.LBB5_16:
	s_mov_b64 s[0:1], 0
	s_cbranch_execnz .LBB5_92
	s_branch .LBB5_97
.LBB5_17:
                                        ; implicit-def: $vgpr8
                                        ; implicit-def: $vgpr4
	s_load_dword s33, s[4:5], 0x0
	v_add_u32_e32 v5, 0x270, v6
.LBB5_18:
	v_mul_u32_u24_e32 v1, 20, v13
	s_movk_i32 s0, 0x180
	s_waitcnt lgkmcnt(0)
	s_cmp_eq_u32 s33, 0
	v_mov_b32_e32 v0, 0x220
	v_add3_u32 v11, v1, v7, s0
	v_mov_b32_e32 v1, 0x1d0
	v_add_u32_e32 v8, v7, v13
	s_cselect_b64 vcc, -1, 0
	s_cmp_lg_u32 s33, 0
	v_mad_u32_u24 v9, v13, 20, v0
	v_mad_u32_u24 v16, v13, 20, v1
	v_or_b32_e32 v4, v12, v13
	s_cselect_b64 s[4:5], -1, 0
	v_add_u32_e32 v10, v9, v7
	v_add_u32_e32 v17, v16, v7
	v_cmp_ne_u32_e64 s[0:1], 0, v4
	v_mad_u32_u24 v18, v12, 20, v0
	v_cndmask_b32_e32 v19, v8, v14, vcc
	v_mov_b32_e32 v20, 0
	s_mov_b32 s20, s31
	s_branch .LBB5_22
.LBB5_19:                               ;   in Loop: Header=BB5_22 Depth=1
	s_or_b64 exec, exec, s[24:25]
	v_mov_b32_e32 v3, 1.0
.LBB5_20:                               ;   in Loop: Header=BB5_22 Depth=1
	s_or_b64 exec, exec, s[22:23]
	ds_read2_b32 v[22:23], v20 offset0:111 offset1:112
	ds_read_b32 v21, v16 offset:12
	ds_read2_b32 v[24:25], v9 offset1:1
	ds_read_b32 v26, v9 offset:8
	ds_read_b32 v27, v20 offset:452
	s_add_i32 s20, s20, 1
	s_cmp_ge_i32 s20, s30
	s_waitcnt lgkmcnt(2)
	v_fmac_f32_e32 v21, v22, v24
	v_fmac_f32_e32 v21, v23, v25
	s_waitcnt lgkmcnt(0)
	v_fmac_f32_e32 v21, v27, v26
	v_sub_f32_e32 v2, v2, v21
	v_div_scale_f32 v21, s[22:23], v3, v3, v2
	v_rcp_f32_e32 v22, v21
	v_div_scale_f32 v23, vcc, v2, v3, v2
	s_cselect_b64 s[26:27], -1, 0
	v_fma_f32 v24, -v21, v22, 1.0
	v_fmac_f32_e32 v22, v24, v22
	v_mul_f32_e32 v24, v23, v22
	v_fma_f32 v25, -v21, v24, v23
	v_fmac_f32_e32 v24, v25, v22
	v_fma_f32 v21, -v21, v24, v23
	v_div_fmas_f32 v21, v21, v22, v24
	v_div_fixup_f32 v2, v21, v3, v2
	ds_write_b32 v9, v2 offset:12
	s_waitcnt lgkmcnt(0)
	ds_read_b32 v3, v18 offset:12
	ds_read_b32 v21, v5
	s_waitcnt lgkmcnt(0)
	v_fmac_f32_e32 v21, v2, v3
	ds_write_b32 v5, v21
	s_waitcnt lgkmcnt(0)
	ds_read_b32 v2, v10
	s_waitcnt lgkmcnt(0)
	global_store_dword v[0:1], v2, off
	s_waitcnt vmcnt(0)
	buffer_wbinvl1_vol
.LBB5_21:                               ;   in Loop: Header=BB5_22 Depth=1
	s_and_b64 vcc, exec, s[26:27]
	s_cbranch_vccnz .LBB5_59
.LBB5_22:                               ; =>This Loop Header: Depth=1
                                        ;     Child Loop BB5_25 Depth 2
                                        ;     Child Loop BB5_36 Depth 2
	s_ashr_i32 s21, s20, 31
	s_lshl_b64 s[22:23], s[20:21], 2
	s_add_u32 s22, s18, s22
	s_addc_u32 s23, s19, s23
	s_load_dword s21, s[22:23], 0x0
	s_waitcnt lgkmcnt(0)
	s_sub_i32 s24, s21, s13
	s_ashr_i32 s25, s24, 31
	s_lshl_b64 s[22:23], s[24:25], 2
	s_add_u32 s26, s8, s22
	s_addc_u32 s27, s9, s23
	s_load_dword s25, s[26:27], 0x0
	s_mov_b64 s[26:27], -1
	s_waitcnt lgkmcnt(0)
	s_cmp_eq_u32 s25, -1
	s_cbranch_scc1 .LBB5_21
; %bb.23:                               ;   in Loop: Header=BB5_22 Depth=1
	v_lshl_add_u32 v0, s20, 4, v19
	v_ashrrev_i32_e32 v1, 31, v0
	v_lshlrev_b64 v[0:1], 2, v[0:1]
	v_mov_b32_e32 v2, s3
	v_add_co_u32_e32 v0, vcc, s2, v0
	v_addc_co_u32_e32 v1, vcc, v2, v1, vcc
	global_load_dword v2, v[0:1], off
	s_add_u32 s26, s16, s22
	s_addc_u32 s27, s17, s23
	s_load_dword s26, s[26:27], 0x0
	ds_read_b32 v3, v20 offset:256
	s_mov_b32 s27, 0
	s_waitcnt lgkmcnt(0)
	s_sub_i32 s26, s26, s13
	s_cmp_le_i32 s26, s25
	v_cmp_ge_i32_e32 vcc, s24, v3
	s_cselect_b64 s[28:29], -1, 0
	s_and_b64 s[28:29], s[28:29], vcc
	s_andn2_b64 vcc, exec, s[28:29]
	s_waitcnt vmcnt(0)
	ds_write_b32 v10, v2
	s_cbranch_vccnz .LBB5_35
; %bb.24:                               ;   in Loop: Header=BB5_22 Depth=1
	s_mov_b32 s34, 0
	s_mov_b32 s35, 0
.LBB5_25:                               ;   Parent Loop BB5_22 Depth=1
                                        ; =>  This Inner Loop Header: Depth=2
	s_ashr_i32 s27, s26, 31
	s_lshl_b64 s[28:29], s[26:27], 2
	s_add_u32 s28, s18, s28
	s_addc_u32 s29, s19, s29
	s_load_dword s27, s[28:29], 0x0
	s_lshl_b32 s28, s35, 2
	v_mov_b32_e32 v2, s28
	ds_read_b32 v2, v2 offset:256
	s_mov_b64 s[28:29], -1
	s_waitcnt lgkmcnt(0)
	s_sub_i32 s39, s27, s13
                                        ; implicit-def: $sgpr27
                                        ; implicit-def: $sgpr38
                                        ; implicit-def: $sgpr37
	v_cmp_ge_i32_e32 vcc, s39, v2
	v_readfirstlane_b32 s36, v2
	s_cbranch_vccz .LBB5_31
; %bb.26:                               ;   in Loop: Header=BB5_25 Depth=2
	s_cmp_le_i32 s39, s36
                                        ; implicit-def: $sgpr27
                                        ; implicit-def: $sgpr38
                                        ; implicit-def: $sgpr37
	s_cbranch_scc0 .LBB5_28
; %bb.27:                               ;   in Loop: Header=BB5_25 Depth=2
	s_add_i32 s27, s35, s31
	s_lshl_b32 s27, s27, 4
	s_lshl_b32 s28, s34, 2
	v_mov_b32_e32 v3, s27
	s_lshl_b32 s27, s26, 4
	v_mov_b32_e32 v2, s28
	v_mov_b32_e32 v21, s27
	ds_write2_b32 v2, v21, v3 offset1:32
	s_add_i32 s37, s35, 1
	s_add_i32 s38, s26, 1
	;; [unrolled: 1-line block ×3, first 2 shown]
	s_mov_b64 s[28:29], 0
.LBB5_28:                               ;   in Loop: Header=BB5_25 Depth=2
	s_andn2_b64 vcc, exec, s[28:29]
	s_cbranch_vccnz .LBB5_30
; %bb.29:                               ;   in Loop: Header=BB5_25 Depth=2
	s_add_i32 s37, s35, 1
	s_mov_b32 s27, s34
	s_mov_b32 s38, s26
.LBB5_30:                               ;   in Loop: Header=BB5_25 Depth=2
	s_mov_b64 s[28:29], 0
.LBB5_31:                               ;   in Loop: Header=BB5_25 Depth=2
	s_andn2_b64 vcc, exec, s[28:29]
	s_cbranch_vccnz .LBB5_33
; %bb.32:                               ;   in Loop: Header=BB5_25 Depth=2
	s_add_i32 s38, s26, 1
	s_mov_b32 s37, s35
	s_mov_b32 s27, s34
.LBB5_33:                               ;   in Loop: Header=BB5_25 Depth=2
	s_cmp_le_i32 s38, s25
	s_cselect_b64 s[28:29], -1, 0
	s_cmp_le_i32 s36, s24
	s_cselect_b64 s[34:35], -1, 0
	s_and_b64 s[28:29], s[28:29], s[34:35]
	s_and_b64 vcc, exec, s[28:29]
	s_cbranch_vccz .LBB5_35
; %bb.34:                               ;   in Loop: Header=BB5_25 Depth=2
	s_mov_b32 s34, s27
	s_mov_b32 s26, s38
	;; [unrolled: 1-line block ×3, first 2 shown]
	s_branch .LBB5_25
.LBB5_35:                               ;   in Loop: Header=BB5_22 Depth=1
	s_add_u32 s22, s10, s22
	s_addc_u32 s23, s11, s23
	s_waitcnt lgkmcnt(0)
.LBB5_36:                               ;   Parent Loop BB5_22 Depth=1
                                        ; =>  This Inner Loop Header: Depth=2
	global_load_dword v2, v20, s[22:23] glc
	s_waitcnt vmcnt(0)
	v_cmp_eq_u32_e32 vcc, 0, v2
	s_cbranch_vccnz .LBB5_36
; %bb.37:                               ;   in Loop: Header=BB5_22 Depth=1
	v_lshl_add_u32 v2, s25, 4, v19
	v_ashrrev_i32_e32 v3, 31, v2
	v_lshlrev_b64 v[2:3], 2, v[2:3]
	v_mov_b32_e32 v21, s3
	v_add_co_u32_e32 v2, vcc, s2, v2
	v_addc_co_u32_e32 v3, vcc, v21, v3, vcc
	buffer_wbinvl1_vol
	global_load_dword v2, v[2:3], off
	s_cmp_lt_i32 s27, 2
	v_mov_b32_e32 v22, 0
	s_waitcnt vmcnt(0)
	ds_write_b32 v11, v2
	s_waitcnt lgkmcnt(0)
	s_cbranch_scc1 .LBB5_44
; %bb.38:                               ;   in Loop: Header=BB5_22 Depth=1
	s_add_i32 s24, s27, -1
	s_mov_b32 s25, 0
	v_mov_b32_e32 v21, 0
	v_mov_b32_e32 v2, s25
	ds_read2_b32 v[2:3], v2 offset1:32
	s_and_b64 vcc, exec, s[4:5]
	s_cbranch_vccz .LBB5_40
.LBB5_39:                               ;   in Loop: Header=BB5_22 Depth=1
	s_waitcnt lgkmcnt(0)
	v_add_u32_e32 v22, v2, v12
	v_ashrrev_i32_e32 v23, 31, v22
	v_lshlrev_b64 v[24:25], 2, v[22:23]
	v_add_u32_e32 v26, v3, v13
	v_mov_b32_e32 v38, s3
	v_add_co_u32_e32 v24, vcc, s2, v24
	v_ashrrev_i32_e32 v27, 31, v26
	v_addc_co_u32_e32 v25, vcc, v38, v25, vcc
	v_lshlrev_b64 v[28:29], 2, v[26:27]
	v_add_u32_e32 v30, 4, v22
	v_add_co_u32_e32 v28, vcc, s2, v28
	v_ashrrev_i32_e32 v31, 31, v30
	v_addc_co_u32_e32 v29, vcc, v38, v29, vcc
	v_lshlrev_b64 v[30:31], 2, v[30:31]
	v_add_u32_e32 v32, 4, v26
	;; [unrolled: 5-line block ×6, first 2 shown]
	v_add_co_u32_e32 v22, vcc, s2, v22
	v_ashrrev_i32_e32 v27, 31, v26
	v_addc_co_u32_e32 v23, vcc, v38, v23, vcc
	v_lshlrev_b64 v[26:27], 2, v[26:27]
	v_add_co_u32_e32 v26, vcc, s2, v26
	v_addc_co_u32_e32 v27, vcc, v38, v27, vcc
	global_load_dword v38, v[24:25], off
	global_load_dword v39, v[28:29], off
	;; [unrolled: 1-line block ×8, first 2 shown]
	s_waitcnt vmcnt(6)
	v_fma_f32 v22, v38, v39, v21
	s_waitcnt vmcnt(4)
	v_fmac_f32_e32 v22, v40, v41
	s_waitcnt vmcnt(2)
	v_fmac_f32_e32 v22, v42, v43
	;; [unrolled: 2-line block ×3, first 2 shown]
	s_cbranch_execz .LBB5_41
	s_branch .LBB5_42
.LBB5_40:                               ;   in Loop: Header=BB5_22 Depth=1
                                        ; implicit-def: $vgpr22
.LBB5_41:                               ;   in Loop: Header=BB5_22 Depth=1
	s_waitcnt lgkmcnt(0)
	v_add_u32_e32 v22, v2, v7
	v_ashrrev_i32_e32 v23, 31, v22
	v_lshlrev_b64 v[22:23], 2, v[22:23]
	v_add_u32_e32 v2, v3, v15
	v_mov_b32_e32 v24, s3
	v_add_co_u32_e32 v30, vcc, s2, v22
	v_ashrrev_i32_e32 v3, 31, v2
	v_addc_co_u32_e32 v31, vcc, v24, v23, vcc
	v_lshlrev_b64 v[2:3], 2, v[2:3]
	v_add_co_u32_e32 v2, vcc, s2, v2
	v_addc_co_u32_e32 v3, vcc, v24, v3, vcc
	global_load_dwordx4 v[22:25], v[30:31], off
	global_load_dwordx4 v[26:29], v[2:3], off
	s_waitcnt vmcnt(0)
	v_fmac_f32_e32 v21, v22, v26
	v_fmac_f32_e32 v21, v23, v27
	;; [unrolled: 1-line block ×4, first 2 shown]
	v_mov_b32_e32 v22, v21
.LBB5_42:                               ;   in Loop: Header=BB5_22 Depth=1
	s_add_i32 s24, s24, -1
	s_add_i32 s25, s25, 4
	s_cmp_eq_u32 s24, 0
	s_cbranch_scc1 .LBB5_44
; %bb.43:                               ;   in Loop: Header=BB5_22 Depth=1
	v_mov_b32_e32 v21, v22
	s_waitcnt lgkmcnt(0)
	v_mov_b32_e32 v2, s25
	ds_read2_b32 v[2:3], v2 offset1:32
	s_and_b64 vcc, exec, s[4:5]
	s_cbranch_vccz .LBB5_40
	s_branch .LBB5_39
.LBB5_44:                               ;   in Loop: Header=BB5_22 Depth=1
	ds_write_b32 v17, v22
	s_waitcnt lgkmcnt(0)
	ds_read_b32 v3, v20 offset:384
	ds_read_b32 v2, v9
	s_waitcnt lgkmcnt(1)
	v_cmp_neq_f32_e32 vcc, 0, v3
	s_or_b64 s[22:23], vcc, s[0:1]
	v_cndmask_b32_e32 v3, 1.0, v3, vcc
	s_xor_b64 s[24:25], s[22:23], -1
	s_and_saveexec_b64 s[22:23], s[24:25]
	s_cbranch_execz .LBB5_48
; %bb.45:                               ;   in Loop: Header=BB5_22 Depth=1
	v_mbcnt_lo_u32_b32 v3, exec_lo, 0
	v_mbcnt_hi_u32_b32 v3, exec_hi, v3
	v_cmp_eq_u32_e32 vcc, 0, v3
	s_and_saveexec_b64 s[24:25], vcc
	s_cbranch_execz .LBB5_47
; %bb.46:                               ;   in Loop: Header=BB5_22 Depth=1
	v_mov_b32_e32 v3, s21
	global_atomic_smin v20, v3, s[14:15]
.LBB5_47:                               ;   in Loop: Header=BB5_22 Depth=1
	s_or_b64 exec, exec, s[24:25]
	v_mov_b32_e32 v3, 1.0
.LBB5_48:                               ;   in Loop: Header=BB5_22 Depth=1
	s_or_b64 exec, exec, s[22:23]
	ds_read_b32 v21, v16
	s_waitcnt lgkmcnt(0)
	v_sub_f32_e32 v2, v2, v21
	v_div_scale_f32 v21, s[22:23], v3, v3, v2
	v_rcp_f32_e32 v22, v21
	v_div_scale_f32 v23, vcc, v2, v3, v2
	v_fma_f32 v24, -v21, v22, 1.0
	v_fmac_f32_e32 v22, v24, v22
	v_mul_f32_e32 v24, v23, v22
	v_fma_f32 v25, -v21, v24, v23
	v_fmac_f32_e32 v24, v25, v22
	v_fma_f32 v21, -v21, v24, v23
	v_div_fmas_f32 v21, v21, v22, v24
	v_div_fixup_f32 v2, v21, v3, v2
	ds_write_b32 v9, v2
	s_waitcnt lgkmcnt(0)
	ds_read_b32 v3, v18
	ds_read_b32 v21, v5
	s_waitcnt lgkmcnt(0)
	v_fmac_f32_e32 v21, v2, v3
	ds_write_b32 v5, v21
	s_waitcnt lgkmcnt(0)
	ds_read_b32 v3, v20 offset:408
	ds_read_b32 v2, v9 offset:4
	s_waitcnt lgkmcnt(1)
	v_cmp_neq_f32_e32 vcc, 0, v3
	s_or_b64 s[22:23], vcc, s[0:1]
	v_cndmask_b32_e32 v3, 1.0, v3, vcc
	s_xor_b64 s[24:25], s[22:23], -1
	s_and_saveexec_b64 s[22:23], s[24:25]
	s_cbranch_execz .LBB5_52
; %bb.49:                               ;   in Loop: Header=BB5_22 Depth=1
	v_mbcnt_lo_u32_b32 v3, exec_lo, 0
	v_mbcnt_hi_u32_b32 v3, exec_hi, v3
	v_cmp_eq_u32_e32 vcc, 0, v3
	s_and_saveexec_b64 s[24:25], vcc
	s_cbranch_execz .LBB5_51
; %bb.50:                               ;   in Loop: Header=BB5_22 Depth=1
	v_mov_b32_e32 v3, s21
	global_atomic_smin v20, v3, s[14:15]
.LBB5_51:                               ;   in Loop: Header=BB5_22 Depth=1
	s_or_b64 exec, exec, s[24:25]
	v_mov_b32_e32 v3, 1.0
.LBB5_52:                               ;   in Loop: Header=BB5_22 Depth=1
	s_or_b64 exec, exec, s[22:23]
	ds_read_b32 v21, v9
	ds_read_b32 v22, v20 offset:404
	ds_read_b32 v23, v16 offset:4
	s_waitcnt lgkmcnt(0)
	v_fmac_f32_e32 v23, v22, v21
	v_sub_f32_e32 v2, v2, v23
	v_div_scale_f32 v21, s[22:23], v3, v3, v2
	v_rcp_f32_e32 v22, v21
	v_div_scale_f32 v23, vcc, v2, v3, v2
	v_fma_f32 v24, -v21, v22, 1.0
	v_fmac_f32_e32 v22, v24, v22
	v_mul_f32_e32 v24, v23, v22
	v_fma_f32 v25, -v21, v24, v23
	v_fmac_f32_e32 v24, v25, v22
	v_fma_f32 v21, -v21, v24, v23
	v_div_fmas_f32 v21, v21, v22, v24
	v_div_fixup_f32 v2, v21, v3, v2
	ds_write_b32 v9, v2 offset:4
	s_waitcnt lgkmcnt(0)
	ds_read_b32 v3, v18 offset:4
	ds_read_b32 v21, v5
	s_waitcnt lgkmcnt(0)
	v_fmac_f32_e32 v21, v2, v3
	ds_write_b32 v5, v21
	s_waitcnt lgkmcnt(0)
	ds_read_b32 v3, v20 offset:432
	ds_read_b32 v2, v9 offset:8
	s_waitcnt lgkmcnt(1)
	v_cmp_neq_f32_e32 vcc, 0, v3
	s_or_b64 s[22:23], vcc, s[0:1]
	v_cndmask_b32_e32 v3, 1.0, v3, vcc
	s_xor_b64 s[24:25], s[22:23], -1
	s_and_saveexec_b64 s[22:23], s[24:25]
	s_cbranch_execz .LBB5_56
; %bb.53:                               ;   in Loop: Header=BB5_22 Depth=1
	v_mbcnt_lo_u32_b32 v3, exec_lo, 0
	v_mbcnt_hi_u32_b32 v3, exec_hi, v3
	v_cmp_eq_u32_e32 vcc, 0, v3
	s_and_saveexec_b64 s[24:25], vcc
	s_cbranch_execz .LBB5_55
; %bb.54:                               ;   in Loop: Header=BB5_22 Depth=1
	v_mov_b32_e32 v3, s21
	global_atomic_smin v20, v3, s[14:15]
.LBB5_55:                               ;   in Loop: Header=BB5_22 Depth=1
	s_or_b64 exec, exec, s[24:25]
	v_mov_b32_e32 v3, 1.0
.LBB5_56:                               ;   in Loop: Header=BB5_22 Depth=1
	s_or_b64 exec, exec, s[22:23]
	ds_read2_b32 v[22:23], v9 offset1:1
	ds_read_b64 v[24:25], v20 offset:424
	ds_read_b32 v21, v16 offset:8
	s_waitcnt lgkmcnt(0)
	v_fmac_f32_e32 v21, v24, v22
	v_fmac_f32_e32 v21, v25, v23
	v_sub_f32_e32 v2, v2, v21
	v_div_scale_f32 v21, s[22:23], v3, v3, v2
	v_rcp_f32_e32 v22, v21
	v_div_scale_f32 v23, vcc, v2, v3, v2
	v_fma_f32 v24, -v21, v22, 1.0
	v_fmac_f32_e32 v22, v24, v22
	v_mul_f32_e32 v24, v23, v22
	v_fma_f32 v25, -v21, v24, v23
	v_fmac_f32_e32 v24, v25, v22
	v_fma_f32 v21, -v21, v24, v23
	v_div_fmas_f32 v21, v21, v22, v24
	v_div_fixup_f32 v2, v21, v3, v2
	ds_write_b32 v9, v2 offset:8
	s_waitcnt lgkmcnt(0)
	ds_read_b32 v3, v18 offset:8
	ds_read_b32 v21, v5
	s_waitcnt lgkmcnt(0)
	v_fmac_f32_e32 v21, v2, v3
	ds_write_b32 v5, v21
	s_waitcnt lgkmcnt(0)
	ds_read_b32 v3, v20 offset:456
	ds_read_b32 v2, v9 offset:12
	s_waitcnt lgkmcnt(1)
	v_cmp_neq_f32_e32 vcc, 0, v3
	s_or_b64 s[22:23], vcc, s[0:1]
	v_cndmask_b32_e32 v3, 1.0, v3, vcc
	s_xor_b64 s[24:25], s[22:23], -1
	s_and_saveexec_b64 s[22:23], s[24:25]
	s_cbranch_execz .LBB5_20
; %bb.57:                               ;   in Loop: Header=BB5_22 Depth=1
	v_mbcnt_lo_u32_b32 v3, exec_lo, 0
	v_mbcnt_hi_u32_b32 v3, exec_hi, v3
	v_cmp_eq_u32_e32 vcc, 0, v3
	s_and_saveexec_b64 s[24:25], vcc
	s_cbranch_execz .LBB5_19
; %bb.58:                               ;   in Loop: Header=BB5_22 Depth=1
	v_mov_b32_e32 v3, s21
	global_atomic_smin v20, v3, s[14:15]
	s_branch .LBB5_19
.LBB5_59:
	s_waitcnt lgkmcnt(0)
	s_cmp_eq_u32 s33, 0
	s_cselect_b64 vcc, -1, 0
	v_cndmask_b32_e32 v0, v8, v14, vcc
	v_lshl_add_u32 v0, s30, 4, v0
	v_ashrrev_i32_e32 v1, 31, v0
	v_lshlrev_b64 v[0:1], 2, v[0:1]
	v_mov_b32_e32 v2, s3
	v_add_co_u32_e32 v0, vcc, s2, v0
	v_addc_co_u32_e32 v1, vcc, v2, v1, vcc
	global_load_dword v2, v[0:1], off
	v_cmp_ne_u32_e32 vcc, 0, v13
	v_cmp_eq_u32_e64 s[0:1], 0, v13
	s_waitcnt vmcnt(0)
	ds_write_b32 v6, v2 offset:544
	s_waitcnt lgkmcnt(0)
	s_and_saveexec_b64 s[4:5], s[0:1]
	s_cbranch_execz .LBB5_61
; %bb.60:
	v_mov_b32_e32 v7, 0
	ds_read2_b32 v[2:3], v7 offset0:136 offset1:156
	s_mov_b32 s2, 0xf800000
	s_waitcnt lgkmcnt(0)
	v_sub_f32_e32 v2, v2, v3
	v_cmp_gt_f32_e64 s[0:1], 0, v2
	v_cndmask_b32_e64 v2, v2, -v2, s[0:1]
	v_mul_f32_e32 v3, 0x4f800000, v2
	v_cmp_gt_f32_e64 s[0:1], s2, v2
	v_cndmask_b32_e64 v2, v2, v3, s[0:1]
	v_sqrt_f32_e32 v3, v2
	v_add_u32_e32 v8, -1, v3
	v_add_u32_e32 v9, 1, v3
	v_fma_f32 v10, -v8, v3, v2
	v_fma_f32 v11, -v9, v3, v2
	v_cmp_ge_f32_e64 s[2:3], 0, v10
	v_cndmask_b32_e64 v3, v3, v8, s[2:3]
	v_cmp_lt_f32_e64 s[2:3], 0, v11
	v_cndmask_b32_e64 v3, v3, v9, s[2:3]
	v_mul_f32_e32 v8, 0x37800000, v3
	v_cndmask_b32_e64 v3, v3, v8, s[0:1]
	v_mov_b32_e32 v8, 0x260
	v_cmp_class_f32_e64 s[0:1], v2, v8
	v_cndmask_b32_e64 v2, v3, v2, s[0:1]
	ds_write_b32 v7, v2 offset:544
.LBB5_61:
	s_or_b64 exec, exec, s[4:5]
	v_mov_b32_e32 v2, 0
	s_waitcnt lgkmcnt(0)
	ds_read_b32 v2, v2 offset:544
	v_cmp_ne_u32_e64 s[0:1], 0, v4
	s_add_i32 s16, s12, s13
	s_waitcnt lgkmcnt(0)
	v_cmp_neq_f32_e64 s[2:3], 0, v2
	v_cndmask_b32_e64 v2, 1.0, v2, s[2:3]
	s_or_b64 s[2:3], s[2:3], s[0:1]
	s_xor_b64 s[2:3], s[2:3], -1
	s_and_saveexec_b64 s[4:5], s[2:3]
	s_cbranch_execz .LBB5_65
; %bb.62:
	v_mbcnt_lo_u32_b32 v2, exec_lo, 0
	v_mbcnt_hi_u32_b32 v2, exec_hi, v2
	v_cmp_eq_u32_e64 s[2:3], 0, v2
	s_and_saveexec_b64 s[8:9], s[2:3]
	s_cbranch_execz .LBB5_64
; %bb.63:
	v_mov_b32_e32 v2, 0
	v_mov_b32_e32 v3, s16
	global_atomic_smin v2, v3, s[14:15]
.LBB5_64:
	s_or_b64 exec, exec, s[8:9]
	v_mov_b32_e32 v2, 1.0
.LBB5_65:
	s_or_b64 exec, exec, s[4:5]
	s_and_saveexec_b64 s[2:3], vcc
	s_cbranch_execz .LBB5_67
; %bb.66:
	v_mul_u32_u24_e32 v3, 20, v13
	ds_read2_b32 v[8:9], v3 offset0:136 offset1:156
	v_mul_u32_u24_e32 v10, 20, v12
	s_waitcnt lgkmcnt(0)
	v_sub_f32_e32 v7, v8, v9
	v_div_scale_f32 v8, s[4:5], v2, v2, v7
	v_rcp_f32_e32 v9, v8
	v_div_scale_f32 v11, vcc, v7, v2, v7
	v_fma_f32 v14, -v8, v9, 1.0
	v_fmac_f32_e32 v9, v14, v9
	v_mul_f32_e32 v14, v11, v9
	v_fma_f32 v15, -v8, v14, v11
	v_fmac_f32_e32 v14, v15, v9
	v_fma_f32 v8, -v8, v14, v11
	v_div_fmas_f32 v8, v8, v9, v14
	v_div_fixup_f32 v2, v8, v2, v7
	ds_write_b32 v3, v2 offset:544
	s_waitcnt lgkmcnt(0)
	ds_read_b32 v3, v10 offset:544
	ds_read_b32 v7, v5
	s_waitcnt lgkmcnt(0)
	v_fmac_f32_e32 v7, v2, v3
	ds_write_b32 v5, v7
.LBB5_67:
	s_or_b64 exec, exec, s[2:3]
	v_cmp_eq_u32_e32 vcc, 1, v13
	s_waitcnt lgkmcnt(0)
	s_and_saveexec_b64 s[4:5], vcc
	s_cbranch_execz .LBB5_69
; %bb.68:
	v_mov_b32_e32 v7, 0
	ds_read2_b32 v[2:3], v7 offset0:142 offset1:162
	s_mov_b32 s2, 0xf800000
	s_waitcnt lgkmcnt(0)
	v_sub_f32_e32 v2, v2, v3
	v_cmp_gt_f32_e32 vcc, 0, v2
	v_cndmask_b32_e64 v2, v2, -v2, vcc
	v_mul_f32_e32 v3, 0x4f800000, v2
	v_cmp_gt_f32_e32 vcc, s2, v2
	v_cndmask_b32_e32 v2, v2, v3, vcc
	v_sqrt_f32_e32 v3, v2
	v_add_u32_e32 v8, -1, v3
	v_add_u32_e32 v9, 1, v3
	v_fma_f32 v10, -v8, v3, v2
	v_fma_f32 v11, -v9, v3, v2
	v_cmp_ge_f32_e64 s[2:3], 0, v10
	v_cndmask_b32_e64 v3, v3, v8, s[2:3]
	v_cmp_lt_f32_e64 s[2:3], 0, v11
	v_cndmask_b32_e64 v3, v3, v9, s[2:3]
	v_mul_f32_e32 v8, 0x37800000, v3
	v_cndmask_b32_e32 v3, v3, v8, vcc
	v_mov_b32_e32 v8, 0x260
	v_cmp_class_f32_e32 vcc, v2, v8
	v_cndmask_b32_e32 v2, v3, v2, vcc
	ds_write_b32 v7, v2 offset:568
.LBB5_69:
	s_or_b64 exec, exec, s[4:5]
	v_mov_b32_e32 v2, 0
	s_waitcnt lgkmcnt(0)
	ds_read_b32 v2, v2 offset:568
	s_waitcnt lgkmcnt(0)
	v_cmp_neq_f32_e32 vcc, 0, v2
	s_or_b64 s[2:3], vcc, s[0:1]
	v_cndmask_b32_e32 v2, 1.0, v2, vcc
	s_xor_b64 s[4:5], s[2:3], -1
	s_and_saveexec_b64 s[2:3], s[4:5]
	s_cbranch_execz .LBB5_73
; %bb.70:
	v_mbcnt_lo_u32_b32 v2, exec_lo, 0
	v_mbcnt_hi_u32_b32 v2, exec_hi, v2
	v_cmp_eq_u32_e32 vcc, 0, v2
	s_and_saveexec_b64 s[4:5], vcc
	s_cbranch_execz .LBB5_72
; %bb.71:
	v_mov_b32_e32 v2, 0
	v_mov_b32_e32 v3, s16
	global_atomic_smin v2, v3, s[14:15]
.LBB5_72:
	s_or_b64 exec, exec, s[4:5]
	v_mov_b32_e32 v2, 1.0
.LBB5_73:
	s_or_b64 exec, exec, s[2:3]
	v_cmp_lt_u32_e32 vcc, 1, v13
	s_and_saveexec_b64 s[2:3], vcc
	s_cbranch_execz .LBB5_75
; %bb.74:
	v_mul_u32_u24_e32 v3, 20, v13
	ds_read2_b32 v[8:9], v3 offset0:137 offset1:157
	v_mul_u32_u24_e32 v10, 20, v12
	s_waitcnt lgkmcnt(0)
	v_sub_f32_e32 v7, v8, v9
	v_div_scale_f32 v8, s[4:5], v2, v2, v7
	v_rcp_f32_e32 v9, v8
	v_div_scale_f32 v11, vcc, v7, v2, v7
	v_fma_f32 v14, -v8, v9, 1.0
	v_fmac_f32_e32 v9, v14, v9
	v_mul_f32_e32 v14, v11, v9
	v_fma_f32 v15, -v8, v14, v11
	v_fmac_f32_e32 v14, v15, v9
	v_fma_f32 v8, -v8, v14, v11
	v_div_fmas_f32 v8, v8, v9, v14
	v_div_fixup_f32 v2, v8, v2, v7
	ds_write_b32 v3, v2 offset:548
	s_waitcnt lgkmcnt(0)
	ds_read_b32 v3, v10 offset:548
	ds_read_b32 v7, v5
	s_waitcnt lgkmcnt(0)
	v_fmac_f32_e32 v7, v2, v3
	ds_write_b32 v5, v7
.LBB5_75:
	s_or_b64 exec, exec, s[2:3]
	v_cmp_eq_u32_e32 vcc, 2, v13
	s_waitcnt lgkmcnt(0)
	s_and_saveexec_b64 s[4:5], vcc
	s_cbranch_execz .LBB5_77
; %bb.76:
	v_mov_b32_e32 v7, 0
	ds_read2_b32 v[2:3], v7 offset0:148 offset1:168
	s_mov_b32 s2, 0xf800000
	s_waitcnt lgkmcnt(0)
	v_sub_f32_e32 v2, v2, v3
	v_cmp_gt_f32_e32 vcc, 0, v2
	v_cndmask_b32_e64 v2, v2, -v2, vcc
	v_mul_f32_e32 v3, 0x4f800000, v2
	v_cmp_gt_f32_e32 vcc, s2, v2
	v_cndmask_b32_e32 v2, v2, v3, vcc
	v_sqrt_f32_e32 v3, v2
	v_add_u32_e32 v8, -1, v3
	v_add_u32_e32 v9, 1, v3
	v_fma_f32 v10, -v8, v3, v2
	v_fma_f32 v11, -v9, v3, v2
	v_cmp_ge_f32_e64 s[2:3], 0, v10
	v_cndmask_b32_e64 v3, v3, v8, s[2:3]
	v_cmp_lt_f32_e64 s[2:3], 0, v11
	v_cndmask_b32_e64 v3, v3, v9, s[2:3]
	v_mul_f32_e32 v8, 0x37800000, v3
	v_cndmask_b32_e32 v3, v3, v8, vcc
	v_mov_b32_e32 v8, 0x260
	v_cmp_class_f32_e32 vcc, v2, v8
	v_cndmask_b32_e32 v2, v3, v2, vcc
	ds_write_b32 v7, v2 offset:592
.LBB5_77:
	s_or_b64 exec, exec, s[4:5]
	v_mov_b32_e32 v2, 0
	s_waitcnt lgkmcnt(0)
	ds_read_b32 v2, v2 offset:592
	s_waitcnt lgkmcnt(0)
	v_cmp_neq_f32_e32 vcc, 0, v2
	s_or_b64 s[2:3], vcc, s[0:1]
	v_cndmask_b32_e32 v2, 1.0, v2, vcc
	s_xor_b64 s[4:5], s[2:3], -1
	s_and_saveexec_b64 s[2:3], s[4:5]
	s_cbranch_execz .LBB5_81
; %bb.78:
	v_mbcnt_lo_u32_b32 v2, exec_lo, 0
	v_mbcnt_hi_u32_b32 v2, exec_hi, v2
	v_cmp_eq_u32_e32 vcc, 0, v2
	s_and_saveexec_b64 s[4:5], vcc
	s_cbranch_execz .LBB5_80
; %bb.79:
	v_mov_b32_e32 v2, 0
	v_mov_b32_e32 v3, s16
	global_atomic_smin v2, v3, s[14:15]
.LBB5_80:
	s_or_b64 exec, exec, s[4:5]
	v_mov_b32_e32 v2, 1.0
.LBB5_81:
	s_or_b64 exec, exec, s[2:3]
	v_cmp_lt_u32_e32 vcc, 2, v13
	s_and_saveexec_b64 s[2:3], vcc
	s_cbranch_execz .LBB5_83
; %bb.82:
	v_mul_u32_u24_e32 v3, 20, v13
	ds_read2_b32 v[8:9], v3 offset0:138 offset1:158
	v_mul_u32_u24_e32 v10, 20, v12
	s_waitcnt lgkmcnt(0)
	v_sub_f32_e32 v7, v8, v9
	v_div_scale_f32 v8, s[4:5], v2, v2, v7
	v_rcp_f32_e32 v9, v8
	v_div_scale_f32 v11, vcc, v7, v2, v7
	v_fma_f32 v14, -v8, v9, 1.0
	v_fmac_f32_e32 v9, v14, v9
	v_mul_f32_e32 v14, v11, v9
	v_fma_f32 v15, -v8, v14, v11
	v_fmac_f32_e32 v14, v15, v9
	v_fma_f32 v8, -v8, v14, v11
	v_div_fmas_f32 v8, v8, v9, v14
	v_div_fixup_f32 v2, v8, v2, v7
	ds_write_b32 v3, v2 offset:552
	s_waitcnt lgkmcnt(0)
	ds_read_b32 v3, v10 offset:552
	ds_read_b32 v7, v5
	s_waitcnt lgkmcnt(0)
	v_fmac_f32_e32 v7, v2, v3
	ds_write_b32 v5, v7
.LBB5_83:
	s_or_b64 exec, exec, s[2:3]
	v_cmp_eq_u32_e32 vcc, 3, v13
	s_waitcnt lgkmcnt(0)
	s_and_saveexec_b64 s[4:5], vcc
	s_cbranch_execz .LBB5_85
; %bb.84:
	v_mov_b32_e32 v7, 0
	ds_read2_b32 v[2:3], v7 offset0:154 offset1:174
	s_mov_b32 s2, 0xf800000
	s_waitcnt lgkmcnt(0)
	v_sub_f32_e32 v2, v2, v3
	v_cmp_gt_f32_e32 vcc, 0, v2
	v_cndmask_b32_e64 v2, v2, -v2, vcc
	v_mul_f32_e32 v3, 0x4f800000, v2
	v_cmp_gt_f32_e32 vcc, s2, v2
	v_cndmask_b32_e32 v2, v2, v3, vcc
	v_sqrt_f32_e32 v3, v2
	v_add_u32_e32 v8, -1, v3
	v_add_u32_e32 v9, 1, v3
	v_fma_f32 v10, -v8, v3, v2
	v_fma_f32 v11, -v9, v3, v2
	v_cmp_ge_f32_e64 s[2:3], 0, v10
	v_cndmask_b32_e64 v3, v3, v8, s[2:3]
	v_cmp_lt_f32_e64 s[2:3], 0, v11
	v_cndmask_b32_e64 v3, v3, v9, s[2:3]
	v_mul_f32_e32 v8, 0x37800000, v3
	v_cndmask_b32_e32 v3, v3, v8, vcc
	v_mov_b32_e32 v8, 0x260
	v_cmp_class_f32_e32 vcc, v2, v8
	v_cndmask_b32_e32 v2, v3, v2, vcc
	ds_write_b32 v7, v2 offset:616
.LBB5_85:
	s_or_b64 exec, exec, s[4:5]
	v_mov_b32_e32 v2, 0
	s_waitcnt lgkmcnt(0)
	ds_read_b32 v2, v2 offset:616
	s_waitcnt lgkmcnt(0)
	v_cmp_neq_f32_e32 vcc, 0, v2
	s_or_b64 s[0:1], vcc, s[0:1]
	v_cndmask_b32_e32 v2, 1.0, v2, vcc
	s_xor_b64 s[2:3], s[0:1], -1
	s_and_saveexec_b64 s[0:1], s[2:3]
	s_cbranch_execz .LBB5_89
; %bb.86:
	v_mbcnt_lo_u32_b32 v2, exec_lo, 0
	v_mbcnt_hi_u32_b32 v2, exec_hi, v2
	v_cmp_eq_u32_e32 vcc, 0, v2
	s_and_saveexec_b64 s[2:3], vcc
	s_cbranch_execz .LBB5_88
; %bb.87:
	v_mov_b32_e32 v2, 0
	v_mov_b32_e32 v3, s16
	global_atomic_smin v2, v3, s[14:15]
.LBB5_88:
	s_or_b64 exec, exec, s[2:3]
	v_mov_b32_e32 v2, 1.0
.LBB5_89:
	s_or_b64 exec, exec, s[0:1]
	v_add_u32_e32 v3, 0x220, v6
	v_cmp_lt_u32_e32 vcc, 3, v13
	s_and_saveexec_b64 s[0:1], vcc
	s_cbranch_execz .LBB5_91
; %bb.90:
	v_mul_u32_u24_e32 v8, 20, v13
	ds_read2_b32 v[6:7], v8 offset0:139 offset1:159
	v_mul_u32_u24_e32 v10, 20, v12
	s_waitcnt lgkmcnt(0)
	v_sub_f32_e32 v6, v6, v7
	v_div_scale_f32 v7, s[2:3], v2, v2, v6
	v_rcp_f32_e32 v9, v7
	v_div_scale_f32 v11, vcc, v6, v2, v6
	v_fma_f32 v14, -v7, v9, 1.0
	v_fmac_f32_e32 v9, v14, v9
	v_mul_f32_e32 v14, v11, v9
	v_fma_f32 v15, -v7, v14, v11
	v_fmac_f32_e32 v14, v15, v9
	v_fma_f32 v7, -v7, v14, v11
	v_div_fmas_f32 v7, v7, v9, v14
	v_div_fixup_f32 v2, v7, v2, v6
	ds_write_b32 v8, v2 offset:556
	s_waitcnt lgkmcnt(0)
	ds_read_b32 v6, v10 offset:556
	ds_read_b32 v7, v5
	s_waitcnt lgkmcnt(0)
	v_fmac_f32_e32 v7, v2, v6
	ds_write_b32 v5, v7
.LBB5_91:
	s_or_b64 exec, exec, s[0:1]
	s_waitcnt lgkmcnt(0)
	ds_read_b32 v2, v3
	v_cmp_eq_u32_e64 s[0:1], 0, v4
	s_waitcnt lgkmcnt(0)
	global_store_dword v[0:1], v2, off
	s_branch .LBB5_97
.LBB5_92:
	v_or_b32_e32 v0, v12, v13
	v_cmp_eq_u32_e32 vcc, 0, v0
	s_and_saveexec_b64 s[2:3], vcc
	s_cbranch_execz .LBB5_96
; %bb.93:
	v_mbcnt_lo_u32_b32 v0, exec_lo, 0
	v_mbcnt_hi_u32_b32 v0, exec_hi, v0
	v_cmp_eq_u32_e32 vcc, 0, v0
	s_and_saveexec_b64 s[4:5], vcc
	s_cbranch_execz .LBB5_95
; %bb.94:
	s_add_i32 s8, s12, s13
	v_mov_b32_e32 v0, 0
	v_mov_b32_e32 v1, s8
	global_atomic_smin v0, v1, s[14:15]
.LBB5_95:
	s_or_b64 exec, exec, s[4:5]
	s_or_b64 s[0:1], s[0:1], exec
.LBB5_96:
	s_or_b64 exec, exec, s[2:3]
.LBB5_97:
	s_and_saveexec_b64 s[2:3], s[0:1]
	s_cbranch_execnz .LBB5_99
; %bb.98:
	s_endpgm
.LBB5_99:
	s_add_u32 s0, s10, s6
	s_addc_u32 s1, s11, s7
	v_mov_b32_e32 v0, 0
	v_mov_b32_e32 v1, 1
	s_waitcnt vmcnt(0)
	global_store_dword v0, v1, s[0:1]
	s_endpgm
	.section	.rodata,"a",@progbits
	.p2align	6, 0x0
	.amdhsa_kernel _ZN9rocsparseL26bsric0_2_8_unrolled_kernelILi16ELi32ELi4EfEEv20rocsparse_direction_iiPKiS3_PT2_S3_PiS3_S6_21rocsparse_index_base_
		.amdhsa_group_segment_fixed_size 704
		.amdhsa_private_segment_fixed_size 0
		.amdhsa_kernarg_size 76
		.amdhsa_user_sgpr_count 6
		.amdhsa_user_sgpr_private_segment_buffer 1
		.amdhsa_user_sgpr_dispatch_ptr 0
		.amdhsa_user_sgpr_queue_ptr 0
		.amdhsa_user_sgpr_kernarg_segment_ptr 1
		.amdhsa_user_sgpr_dispatch_id 0
		.amdhsa_user_sgpr_flat_scratch_init 0
		.amdhsa_user_sgpr_kernarg_preload_length 0
		.amdhsa_user_sgpr_kernarg_preload_offset 0
		.amdhsa_user_sgpr_private_segment_size 0
		.amdhsa_uses_dynamic_stack 0
		.amdhsa_system_sgpr_private_segment_wavefront_offset 0
		.amdhsa_system_sgpr_workgroup_id_x 1
		.amdhsa_system_sgpr_workgroup_id_y 0
		.amdhsa_system_sgpr_workgroup_id_z 0
		.amdhsa_system_sgpr_workgroup_info 0
		.amdhsa_system_vgpr_workitem_id 1
		.amdhsa_next_free_vgpr 72
		.amdhsa_next_free_sgpr 40
		.amdhsa_accum_offset 72
		.amdhsa_reserve_vcc 1
		.amdhsa_reserve_flat_scratch 0
		.amdhsa_float_round_mode_32 0
		.amdhsa_float_round_mode_16_64 0
		.amdhsa_float_denorm_mode_32 3
		.amdhsa_float_denorm_mode_16_64 3
		.amdhsa_dx10_clamp 1
		.amdhsa_ieee_mode 1
		.amdhsa_fp16_overflow 0
		.amdhsa_tg_split 0
		.amdhsa_exception_fp_ieee_invalid_op 0
		.amdhsa_exception_fp_denorm_src 0
		.amdhsa_exception_fp_ieee_div_zero 0
		.amdhsa_exception_fp_ieee_overflow 0
		.amdhsa_exception_fp_ieee_underflow 0
		.amdhsa_exception_fp_ieee_inexact 0
		.amdhsa_exception_int_div_zero 0
	.end_amdhsa_kernel
	.section	.text._ZN9rocsparseL26bsric0_2_8_unrolled_kernelILi16ELi32ELi4EfEEv20rocsparse_direction_iiPKiS3_PT2_S3_PiS3_S6_21rocsparse_index_base_,"axG",@progbits,_ZN9rocsparseL26bsric0_2_8_unrolled_kernelILi16ELi32ELi4EfEEv20rocsparse_direction_iiPKiS3_PT2_S3_PiS3_S6_21rocsparse_index_base_,comdat
.Lfunc_end5:
	.size	_ZN9rocsparseL26bsric0_2_8_unrolled_kernelILi16ELi32ELi4EfEEv20rocsparse_direction_iiPKiS3_PT2_S3_PiS3_S6_21rocsparse_index_base_, .Lfunc_end5-_ZN9rocsparseL26bsric0_2_8_unrolled_kernelILi16ELi32ELi4EfEEv20rocsparse_direction_iiPKiS3_PT2_S3_PiS3_S6_21rocsparse_index_base_
                                        ; -- End function
	.section	.AMDGPU.csdata,"",@progbits
; Kernel info:
; codeLenInByte = 5876
; NumSgprs: 44
; NumVgprs: 72
; NumAgprs: 0
; TotalNumVgprs: 72
; ScratchSize: 0
; MemoryBound: 0
; FloatMode: 240
; IeeeMode: 1
; LDSByteSize: 704 bytes/workgroup (compile time only)
; SGPRBlocks: 5
; VGPRBlocks: 8
; NumSGPRsForWavesPerEU: 44
; NumVGPRsForWavesPerEU: 72
; AccumOffset: 72
; Occupancy: 7
; WaveLimiterHint : 1
; COMPUTE_PGM_RSRC2:SCRATCH_EN: 0
; COMPUTE_PGM_RSRC2:USER_SGPR: 6
; COMPUTE_PGM_RSRC2:TRAP_HANDLER: 0
; COMPUTE_PGM_RSRC2:TGID_X_EN: 1
; COMPUTE_PGM_RSRC2:TGID_Y_EN: 0
; COMPUTE_PGM_RSRC2:TGID_Z_EN: 0
; COMPUTE_PGM_RSRC2:TIDIG_COMP_CNT: 1
; COMPUTE_PGM_RSRC3_GFX90A:ACCUM_OFFSET: 17
; COMPUTE_PGM_RSRC3_GFX90A:TG_SPLIT: 0
	.section	.text._ZN9rocsparseL26bsric0_2_8_unrolled_kernelILi25ELi32ELi5EfEEv20rocsparse_direction_iiPKiS3_PT2_S3_PiS3_S6_21rocsparse_index_base_,"axG",@progbits,_ZN9rocsparseL26bsric0_2_8_unrolled_kernelILi25ELi32ELi5EfEEv20rocsparse_direction_iiPKiS3_PT2_S3_PiS3_S6_21rocsparse_index_base_,comdat
	.globl	_ZN9rocsparseL26bsric0_2_8_unrolled_kernelILi25ELi32ELi5EfEEv20rocsparse_direction_iiPKiS3_PT2_S3_PiS3_S6_21rocsparse_index_base_ ; -- Begin function _ZN9rocsparseL26bsric0_2_8_unrolled_kernelILi25ELi32ELi5EfEEv20rocsparse_direction_iiPKiS3_PT2_S3_PiS3_S6_21rocsparse_index_base_
	.p2align	8
	.type	_ZN9rocsparseL26bsric0_2_8_unrolled_kernelILi25ELi32ELi5EfEEv20rocsparse_direction_iiPKiS3_PT2_S3_PiS3_S6_21rocsparse_index_base_,@function
_ZN9rocsparseL26bsric0_2_8_unrolled_kernelILi25ELi32ELi5EfEEv20rocsparse_direction_iiPKiS3_PT2_S3_PiS3_S6_21rocsparse_index_base_: ; @_ZN9rocsparseL26bsric0_2_8_unrolled_kernelILi25ELi32ELi5EfEEv20rocsparse_direction_iiPKiS3_PT2_S3_PiS3_S6_21rocsparse_index_base_
; %bb.0:
	s_load_dwordx8 s[8:15], s[4:5], 0x28
	s_mov_b32 s7, 0
	s_lshl_b64 s[0:1], s[6:7], 2
	v_and_b32_e32 v12, 0x3ff, v0
	v_bfe_u32 v13, v0, 10, 10
	s_waitcnt lgkmcnt(0)
	s_add_u32 s0, s12, s0
	s_addc_u32 s1, s13, s1
	s_load_dword s12, s[0:1], 0x0
	s_waitcnt lgkmcnt(0)
	s_ashr_i32 s13, s12, 31
	s_lshl_b64 s[6:7], s[12:13], 2
	s_add_u32 s0, s8, s6
	s_addc_u32 s1, s9, s7
	s_load_dword s30, s[0:1], 0x0
	s_load_dword s13, s[4:5], 0x48
	s_waitcnt lgkmcnt(0)
	s_cmp_lg_u32 s30, -1
	s_cbranch_scc0 .LBB6_107
; %bb.1:
	s_load_dwordx4 s[16:19], s[4:5], 0x10
	s_load_dwordx2 s[20:21], s[4:5], 0x20
	v_mad_u32_u24 v14, v13, 5, v12
	v_mul_u32_u24_e32 v15, 5, v13
	s_waitcnt lgkmcnt(0)
	s_add_u32 s0, s16, s6
	s_addc_u32 s1, s17, s7
	s_load_dword s26, s[0:1], 0x0
	s_waitcnt lgkmcnt(0)
	s_sub_i32 s31, s26, s13
	v_add_u32_e32 v0, s31, v14
	v_cmp_ge_i32_e32 vcc, s30, v0
	s_and_saveexec_b64 s[2:3], vcc
	s_cbranch_execz .LBB6_14
; %bb.2:
	v_add_u32_e32 v1, s26, v12
	v_add_u32_e32 v2, v1, v15
	v_subrev_u32_e32 v2, s13, v2
	v_add_u32_e32 v2, 25, v2
	s_add_i32 s0, s30, 1
	v_max_i32_e32 v2, s0, v2
	v_add_u32_e32 v2, s13, v2
	v_sub_u32_e32 v1, v2, v1
	v_subrev_u32_e32 v1, 25, v1
	v_cmp_ne_u32_e32 vcc, v1, v15
	v_addc_co_u32_e64 v2, s[0:1], 0, v15, vcc
	v_sub_u32_e32 v1, v1, v2
	s_mov_b32 s0, 0x51eb851f
	v_mul_hi_u32 v1, v1, s0
	v_lshrrev_b32_e32 v1, 3, v1
	v_addc_co_u32_e32 v16, vcc, 0, v1, vcc
	v_cmp_ne_u32_e32 vcc, 0, v16
	s_mov_b64 s[22:23], -1
	s_and_saveexec_b64 s[0:1], vcc
	s_cbranch_execz .LBB6_11
; %bb.3:
	v_add_u32_e32 v2, -1, v16
	v_add_u32_e32 v1, 25, v0
	v_lshrrev_b32_e32 v2, 1, v2
	v_add_u32_e32 v17, 1, v2
	v_cmp_lt_u32_e32 vcc, 14, v16
	v_pk_mov_b32 v[2:3], v[0:1], v[0:1] op_sel:[0,1]
	s_and_saveexec_b64 s[22:23], vcc
	s_cbranch_execz .LBB6_7
; %bb.4:
	v_and_b32_e32 v18, -8, v17
	s_mov_b64 s[24:25], 0
	v_mov_b32_e32 v19, s19
	v_pk_mov_b32 v[2:3], v[0:1], v[0:1] op_sel:[0,1]
.LBB6_5:                                ; =>This Inner Loop Header: Depth=1
	v_ashrrev_i32_e32 v23, 31, v2
	v_mov_b32_e32 v22, v2
	v_lshlrev_b64 v[22:23], 2, v[22:23]
	v_ashrrev_i32_e32 v21, 31, v3
	v_mov_b32_e32 v20, v3
	v_add_co_u32_e32 v22, vcc, s18, v22
	v_add_u32_e32 v4, 50, v2
	v_lshlrev_b64 v[20:21], 2, v[20:21]
	v_addc_co_u32_e32 v23, vcc, v19, v23, vcc
	v_ashrrev_i32_e32 v5, 31, v4
	v_add_co_u32_e32 v20, vcc, s18, v20
	v_add_u32_e32 v6, 50, v3
	v_addc_co_u32_e32 v21, vcc, v19, v21, vcc
	v_lshlrev_b64 v[42:43], 2, v[4:5]
	v_ashrrev_i32_e32 v7, 31, v6
	v_add_co_u32_e32 v42, vcc, s18, v42
	v_add_u32_e32 v8, 0x64, v2
	v_lshlrev_b64 v[44:45], 2, v[6:7]
	v_addc_co_u32_e32 v43, vcc, v19, v43, vcc
	v_ashrrev_i32_e32 v9, 31, v8
	v_add_co_u32_e32 v44, vcc, s18, v44
	v_add_u32_e32 v10, 0x64, v3
	v_lshlrev_b64 v[46:47], 2, v[8:9]
	v_addc_co_u32_e32 v45, vcc, v19, v45, vcc
	;; [unrolled: 5-line block ×11, first 2 shown]
	v_ashrrev_i32_e32 v41, 31, v40
	v_add_co_u32_e32 v64, vcc, s18, v64
	v_addc_co_u32_e32 v65, vcc, v19, v65, vcc
	v_lshlrev_b64 v[66:67], 2, v[40:41]
	v_add_u32_e32 v68, 0x15e, v3
	v_add_co_u32_e32 v66, vcc, s18, v66
	v_ashrrev_i32_e32 v69, 31, v68
	v_addc_co_u32_e32 v67, vcc, v19, v67, vcc
	v_lshlrev_b64 v[70:71], 2, v[68:69]
	v_add_co_u32_e32 v70, vcc, s18, v70
	v_addc_co_u32_e32 v71, vcc, v19, v71, vcc
	global_load_dword v1, v[20:21], off
	global_load_dword v5, v[22:23], off
	;; [unrolled: 1-line block ×15, first 2 shown]
                                        ; kill: killed $vgpr64 killed $vgpr65
                                        ; kill: killed $vgpr62 killed $vgpr63
                                        ; kill: killed $vgpr60 killed $vgpr61
                                        ; kill: killed $vgpr20 killed $vgpr21
                                        ; kill: killed $vgpr56 killed $vgpr57
                                        ; kill: killed $vgpr58 killed $vgpr59
                                        ; kill: killed $vgpr22 killed $vgpr23
                                        ; kill: killed $vgpr52 killed $vgpr53
                                        ; kill: killed $vgpr54 killed $vgpr55
                                        ; kill: killed $vgpr48 killed $vgpr49
                                        ; kill: killed $vgpr50 killed $vgpr51
                                        ; kill: killed $vgpr44 killed $vgpr45
                                        ; kill: killed $vgpr46 killed $vgpr47
                                        ; kill: killed $vgpr70 killed $vgpr71
                                        ; kill: killed $vgpr42 killed $vgpr43
	global_load_dword v20, v[66:67], off
	v_subrev_u32_e32 v22, s31, v2
	v_add_u32_e32 v18, -8, v18
	v_subrev_u32_e32 v21, s31, v3
	v_lshlrev_b32_e32 v22, 2, v22
	v_subrev_u32_e32 v4, s31, v4
	v_cmp_eq_u32_e32 vcc, 0, v18
	v_add_u32_e32 v3, 0x190, v3
	v_add_u32_e32 v2, 0x190, v2
	v_lshlrev_b32_e32 v21, 2, v21
	v_subrev_u32_e32 v6, s31, v6
	v_subrev_u32_e32 v10, s31, v10
	;; [unrolled: 1-line block ×13, first 2 shown]
	v_lshlrev_b32_e32 v4, 2, v4
	s_or_b64 s[24:25], vcc, s[24:25]
	v_lshlrev_b32_e32 v6, 2, v6
	v_lshlrev_b32_e32 v8, 2, v8
	;; [unrolled: 1-line block ×13, first 2 shown]
	s_waitcnt vmcnt(15)
	v_subrev_u32_e32 v1, s13, v1
	s_waitcnt vmcnt(14)
	v_subrev_u32_e32 v5, s13, v5
	ds_write_b32 v22, v5 offset:256
	ds_write_b32 v21, v1 offset:256
	s_waitcnt vmcnt(12)
	v_subrev_u32_e32 v5, s13, v9
	v_subrev_u32_e32 v1, s13, v7
	s_waitcnt vmcnt(11)
	v_subrev_u32_e32 v7, s13, v11
	s_waitcnt vmcnt(10)
	;; [unrolled: 2-line block ×12, first 2 shown]
	v_subrev_u32_e32 v20, s13, v20
	ds_write_b32 v4, v5 offset:256
	ds_write_b32 v6, v1 offset:256
	;; [unrolled: 1-line block ×14, first 2 shown]
	s_andn2_b64 exec, exec, s[24:25]
	s_cbranch_execnz .LBB6_5
; %bb.6:
	s_or_b64 exec, exec, s[24:25]
.LBB6_7:
	s_or_b64 exec, exec, s[22:23]
	v_and_b32_e32 v1, 7, v17
	v_cmp_ne_u32_e32 vcc, 0, v1
	s_and_saveexec_b64 s[22:23], vcc
	s_cbranch_execz .LBB6_10
; %bb.8:
	v_sub_u32_e32 v1, 0, v1
	s_mov_b64 s[24:25], 0
	v_mov_b32_e32 v4, s19
.LBB6_9:                                ; =>This Inner Loop Header: Depth=1
	v_ashrrev_i32_e32 v9, 31, v2
	v_mov_b32_e32 v8, v2
	v_lshlrev_b64 v[8:9], 2, v[8:9]
	v_ashrrev_i32_e32 v7, 31, v3
	v_mov_b32_e32 v6, v3
	v_add_co_u32_e32 v8, vcc, s18, v8
	v_lshlrev_b64 v[6:7], 2, v[6:7]
	v_addc_co_u32_e32 v9, vcc, v4, v9, vcc
	v_add_co_u32_e32 v6, vcc, s18, v6
	v_addc_co_u32_e32 v7, vcc, v4, v7, vcc
	global_load_dword v5, v[6:7], off
	global_load_dword v10, v[8:9], off
	v_subrev_u32_e32 v7, s31, v2
	v_add_co_u32_e32 v1, vcc, 1, v1
	v_subrev_u32_e32 v6, s31, v3
	v_add_u32_e32 v3, 50, v3
	v_add_u32_e32 v2, 50, v2
	v_lshlrev_b32_e32 v7, 2, v7
	s_or_b64 s[24:25], vcc, s[24:25]
	v_lshlrev_b32_e32 v6, 2, v6
	s_waitcnt vmcnt(1)
	v_subrev_u32_e32 v5, s13, v5
	s_waitcnt vmcnt(0)
	v_subrev_u32_e32 v8, s13, v10
	ds_write_b32 v7, v8 offset:256
	ds_write_b32 v6, v5 offset:256
	s_andn2_b64 exec, exec, s[24:25]
	s_cbranch_execnz .LBB6_9
.LBB6_10:
	s_or_b64 exec, exec, s[22:23]
	v_add_u32_e32 v2, 1, v16
	v_and_b32_e32 v3, 0x3ffffffe, v2
	v_mad_u64_u32 v[0:1], s[22:23], v3, 25, v[0:1]
	v_cmp_ne_u32_e32 vcc, v2, v3
	s_orn2_b64 s[22:23], vcc, exec
.LBB6_11:
	s_or_b64 exec, exec, s[0:1]
	s_and_b64 exec, exec, s[22:23]
	s_cbranch_execz .LBB6_14
; %bb.12:
	v_add_u32_e32 v1, s13, v0
	v_subrev_u32_e32 v1, s26, v1
	v_mov_b32_e32 v2, 0x100
	v_lshl_add_u32 v4, v1, 2, v2
	v_ashrrev_i32_e32 v1, 31, v0
	v_lshlrev_b64 v[2:3], 2, v[0:1]
	v_mov_b32_e32 v1, s19
	v_add_co_u32_e32 v2, vcc, s18, v2
	v_addc_co_u32_e32 v3, vcc, v1, v3, vcc
	s_mov_b64 s[0:1], 0
.LBB6_13:                               ; =>This Inner Loop Header: Depth=1
	global_load_dword v1, v[2:3], off
	v_add_co_u32_e32 v2, vcc, 0x64, v2
	v_add_u32_e32 v0, 25, v0
	v_addc_co_u32_e32 v3, vcc, 0, v3, vcc
	v_cmp_lt_i32_e32 vcc, s30, v0
	s_or_b64 s[0:1], vcc, s[0:1]
	s_waitcnt vmcnt(0)
	v_subrev_u32_e32 v1, s13, v1
	ds_write_b32 v4, v1
	v_add_u32_e32 v4, 0x64, v4
	s_andn2_b64 exec, exec, s[0:1]
	s_cbranch_execnz .LBB6_13
.LBB6_14:
	s_or_b64 exec, exec, s[2:3]
	s_load_dword s33, s[4:5], 0x0
	v_lshlrev_b32_e32 v0, 2, v12
	v_mad_u32_u24 v7, v13, 24, v0
	v_add_u32_e32 v6, 0x300, v7
	v_mov_b32_e32 v8, 0
	s_cmp_ge_i32 s31, s30
	v_mad_u32_u24 v1, v12, 5, v13
	ds_write_b32 v7, v8 offset:768
	s_waitcnt lgkmcnt(0)
	s_cbranch_scc1 .LBB6_60
; %bb.15:
	v_mul_u32_u24_e32 v4, 24, v13
	s_movk_i32 s0, 0x180
	v_mov_b32_e32 v3, 0x280
	v_add3_u32 v16, v4, v0, s0
	v_mov_b32_e32 v4, 0x200
	s_cmp_eq_u32 s33, 0
	v_mad_u32_u24 v10, v13, 24, v3
	v_mad_u32_u24 v17, v13, 24, v4
	;; [unrolled: 1-line block ×3, first 2 shown]
	s_cselect_b64 vcc, -1, 0
	s_cmp_lg_u32 s33, 0
	v_add_u32_e32 v11, v10, v0
	v_add_u32_e32 v18, v17, v0
	v_or_b32_e32 v0, v12, v13
	s_cselect_b64 s[2:3], -1, 0
	v_mul_u32_u24_e32 v9, 5, v12
	v_cmp_ne_u32_e64 s[0:1], 0, v0
	v_mad_u32_u24 v19, v12, 24, v3
	v_cndmask_b32_e32 v0, v2, v14, vcc
	s_mov_b32 s4, s31
	s_branch .LBB6_19
.LBB6_16:                               ;   in Loop: Header=BB6_19 Depth=1
	s_or_b64 exec, exec, s[24:25]
	v_mov_b32_e32 v5, 1.0
.LBB6_17:                               ;   in Loop: Header=BB6_19 Depth=1
	s_or_b64 exec, exec, s[22:23]
	ds_read_b128 v[20:23], v8 offset:480
	ds_read2_b64 v[24:27], v10 offset1:1
	ds_read_b32 v28, v17 offset:16
	s_add_i32 s4, s4, 1
	s_cmp_ge_i32 s4, s30
	s_cselect_b64 s[26:27], -1, 0
	s_waitcnt lgkmcnt(0)
	v_fmac_f32_e32 v28, v20, v24
	v_fmac_f32_e32 v28, v21, v25
	;; [unrolled: 1-line block ×4, first 2 shown]
	v_sub_f32_e32 v4, v4, v28
	v_div_scale_f32 v20, s[22:23], v5, v5, v4
	v_rcp_f32_e32 v21, v20
	v_div_scale_f32 v22, vcc, v4, v5, v4
	v_fma_f32 v23, -v20, v21, 1.0
	v_fmac_f32_e32 v21, v23, v21
	v_mul_f32_e32 v23, v22, v21
	v_fma_f32 v24, -v20, v23, v22
	v_fmac_f32_e32 v23, v24, v21
	v_fma_f32 v20, -v20, v23, v22
	v_div_fmas_f32 v20, v20, v21, v23
	v_div_fixup_f32 v4, v20, v5, v4
	ds_write_b32 v10, v4 offset:16
	s_waitcnt lgkmcnt(0)
	ds_read_b32 v5, v19 offset:16
	ds_read_b32 v20, v6
	s_waitcnt lgkmcnt(0)
	v_fmac_f32_e32 v20, v4, v5
	ds_write_b32 v6, v20
	s_waitcnt lgkmcnt(0)
	ds_read_b32 v4, v11
	s_waitcnt lgkmcnt(0)
	global_store_dword v[2:3], v4, off
	s_waitcnt vmcnt(0)
	buffer_wbinvl1_vol
.LBB6_18:                               ;   in Loop: Header=BB6_19 Depth=1
	s_and_b64 vcc, exec, s[26:27]
	s_cbranch_vccnz .LBB6_60
.LBB6_19:                               ; =>This Loop Header: Depth=1
                                        ;     Child Loop BB6_22 Depth 2
                                        ;     Child Loop BB6_33 Depth 2
	s_ashr_i32 s5, s4, 31
	s_lshl_b64 s[22:23], s[4:5], 2
	s_add_u32 s22, s18, s22
	s_addc_u32 s23, s19, s23
	s_load_dword s5, s[22:23], 0x0
	s_waitcnt lgkmcnt(0)
	s_sub_i32 s24, s5, s13
	s_ashr_i32 s25, s24, 31
	s_lshl_b64 s[22:23], s[24:25], 2
	s_add_u32 s26, s8, s22
	s_addc_u32 s27, s9, s23
	s_load_dword s25, s[26:27], 0x0
	s_mov_b64 s[26:27], -1
	s_waitcnt lgkmcnt(0)
	s_cmp_eq_u32 s25, -1
	s_cbranch_scc1 .LBB6_18
; %bb.20:                               ;   in Loop: Header=BB6_19 Depth=1
	v_mad_u64_u32 v[2:3], s[26:27], s4, 25, v[0:1]
	v_ashrrev_i32_e32 v3, 31, v2
	v_lshlrev_b64 v[2:3], 2, v[2:3]
	v_mov_b32_e32 v4, s21
	v_add_co_u32_e32 v2, vcc, s20, v2
	v_addc_co_u32_e32 v3, vcc, v4, v3, vcc
	global_load_dword v4, v[2:3], off
	s_add_u32 s26, s16, s22
	s_addc_u32 s27, s17, s23
	s_load_dword s26, s[26:27], 0x0
	ds_read_b32 v5, v8 offset:256
	s_mov_b32 s27, 0
	s_waitcnt lgkmcnt(0)
	s_sub_i32 s26, s26, s13
	s_cmp_le_i32 s26, s25
	v_cmp_ge_i32_e32 vcc, s24, v5
	s_cselect_b64 s[28:29], -1, 0
	s_and_b64 s[28:29], s[28:29], vcc
	s_andn2_b64 vcc, exec, s[28:29]
	s_waitcnt vmcnt(0)
	ds_write_b32 v11, v4
	s_cbranch_vccnz .LBB6_32
; %bb.21:                               ;   in Loop: Header=BB6_19 Depth=1
	s_mov_b32 s34, 0
	s_mov_b32 s35, 0
.LBB6_22:                               ;   Parent Loop BB6_19 Depth=1
                                        ; =>  This Inner Loop Header: Depth=2
	s_ashr_i32 s27, s26, 31
	s_lshl_b64 s[28:29], s[26:27], 2
	s_add_u32 s28, s18, s28
	s_addc_u32 s29, s19, s29
	s_load_dword s27, s[28:29], 0x0
	s_lshl_b32 s28, s35, 2
	v_mov_b32_e32 v4, s28
	ds_read_b32 v4, v4 offset:256
	s_mov_b64 s[28:29], -1
	s_waitcnt lgkmcnt(0)
	s_sub_i32 s39, s27, s13
                                        ; implicit-def: $sgpr27
                                        ; implicit-def: $sgpr38
                                        ; implicit-def: $sgpr37
	v_cmp_ge_i32_e32 vcc, s39, v4
	v_readfirstlane_b32 s36, v4
	s_cbranch_vccz .LBB6_28
; %bb.23:                               ;   in Loop: Header=BB6_22 Depth=2
	s_cmp_le_i32 s39, s36
                                        ; implicit-def: $sgpr27
                                        ; implicit-def: $sgpr38
                                        ; implicit-def: $sgpr37
	s_cbranch_scc0 .LBB6_25
; %bb.24:                               ;   in Loop: Header=BB6_22 Depth=2
	s_add_i32 s27, s35, s31
	s_mul_i32 s27, s27, 25
	s_lshl_b32 s28, s34, 2
	v_mov_b32_e32 v5, s27
	s_mul_i32 s27, s26, 25
	v_mov_b32_e32 v4, s28
	v_mov_b32_e32 v20, s27
	ds_write2_b32 v4, v20, v5 offset1:32
	s_add_i32 s37, s35, 1
	s_add_i32 s38, s26, 1
	;; [unrolled: 1-line block ×3, first 2 shown]
	s_mov_b64 s[28:29], 0
.LBB6_25:                               ;   in Loop: Header=BB6_22 Depth=2
	s_andn2_b64 vcc, exec, s[28:29]
	s_cbranch_vccnz .LBB6_27
; %bb.26:                               ;   in Loop: Header=BB6_22 Depth=2
	s_add_i32 s37, s35, 1
	s_mov_b32 s27, s34
	s_mov_b32 s38, s26
.LBB6_27:                               ;   in Loop: Header=BB6_22 Depth=2
	s_mov_b64 s[28:29], 0
.LBB6_28:                               ;   in Loop: Header=BB6_22 Depth=2
	s_andn2_b64 vcc, exec, s[28:29]
	s_cbranch_vccnz .LBB6_30
; %bb.29:                               ;   in Loop: Header=BB6_22 Depth=2
	s_add_i32 s38, s26, 1
	s_mov_b32 s37, s35
	s_mov_b32 s27, s34
.LBB6_30:                               ;   in Loop: Header=BB6_22 Depth=2
	s_cmp_le_i32 s38, s25
	s_cselect_b64 s[28:29], -1, 0
	s_cmp_le_i32 s36, s24
	s_cselect_b64 s[34:35], -1, 0
	s_and_b64 s[28:29], s[28:29], s[34:35]
	s_and_b64 vcc, exec, s[28:29]
	s_cbranch_vccz .LBB6_32
; %bb.31:                               ;   in Loop: Header=BB6_22 Depth=2
	s_mov_b32 s34, s27
	s_mov_b32 s26, s38
	;; [unrolled: 1-line block ×3, first 2 shown]
	s_branch .LBB6_22
.LBB6_32:                               ;   in Loop: Header=BB6_19 Depth=1
	s_add_u32 s22, s10, s22
	s_addc_u32 s23, s11, s23
	s_waitcnt lgkmcnt(0)
.LBB6_33:                               ;   Parent Loop BB6_19 Depth=1
                                        ; =>  This Inner Loop Header: Depth=2
	global_load_dword v4, v8, s[22:23] glc
	s_waitcnt vmcnt(0)
	v_cmp_eq_u32_e32 vcc, 0, v4
	s_cbranch_vccnz .LBB6_33
; %bb.34:                               ;   in Loop: Header=BB6_19 Depth=1
	v_mad_u64_u32 v[4:5], s[22:23], s25, 25, v[0:1]
	v_ashrrev_i32_e32 v5, 31, v4
	v_lshlrev_b64 v[4:5], 2, v[4:5]
	v_mov_b32_e32 v20, s21
	v_add_co_u32_e32 v4, vcc, s20, v4
	v_addc_co_u32_e32 v5, vcc, v20, v5, vcc
	buffer_wbinvl1_vol
	global_load_dword v4, v[4:5], off
	s_cmp_lt_i32 s27, 2
	v_mov_b32_e32 v21, 0
	s_waitcnt vmcnt(0)
	ds_write_b32 v16, v4
	s_waitcnt lgkmcnt(0)
	s_cbranch_scc1 .LBB6_41
; %bb.35:                               ;   in Loop: Header=BB6_19 Depth=1
	s_add_i32 s24, s27, -1
	s_mov_b32 s25, 0
	v_mov_b32_e32 v20, 0
	v_mov_b32_e32 v4, s25
	ds_read2_b32 v[4:5], v4 offset1:32
	s_and_b64 vcc, exec, s[2:3]
	s_cbranch_vccz .LBB6_37
.LBB6_36:                               ;   in Loop: Header=BB6_19 Depth=1
	s_waitcnt lgkmcnt(0)
	v_add_u32_e32 v22, v4, v12
	v_ashrrev_i32_e32 v23, 31, v22
	v_lshlrev_b64 v[24:25], 2, v[22:23]
	v_add_u32_e32 v26, v5, v13
	v_mov_b32_e32 v21, s21
	v_add_co_u32_e32 v24, vcc, s20, v24
	v_ashrrev_i32_e32 v27, 31, v26
	v_addc_co_u32_e32 v25, vcc, v21, v25, vcc
	v_lshlrev_b64 v[28:29], 2, v[26:27]
	v_add_u32_e32 v30, 5, v22
	v_add_co_u32_e32 v28, vcc, s20, v28
	v_ashrrev_i32_e32 v31, 31, v30
	v_addc_co_u32_e32 v29, vcc, v21, v29, vcc
	v_lshlrev_b64 v[30:31], 2, v[30:31]
	v_add_u32_e32 v32, 5, v26
	v_add_co_u32_e32 v30, vcc, s20, v30
	v_ashrrev_i32_e32 v33, 31, v32
	v_addc_co_u32_e32 v31, vcc, v21, v31, vcc
	v_lshlrev_b64 v[32:33], 2, v[32:33]
	v_add_u32_e32 v34, 10, v22
	v_add_co_u32_e32 v32, vcc, s20, v32
	v_ashrrev_i32_e32 v35, 31, v34
	v_addc_co_u32_e32 v33, vcc, v21, v33, vcc
	v_lshlrev_b64 v[34:35], 2, v[34:35]
	v_add_u32_e32 v36, 10, v26
	v_add_co_u32_e32 v34, vcc, s20, v34
	v_ashrrev_i32_e32 v37, 31, v36
	v_addc_co_u32_e32 v35, vcc, v21, v35, vcc
	v_lshlrev_b64 v[36:37], 2, v[36:37]
	v_add_u32_e32 v38, 15, v22
	v_add_co_u32_e32 v36, vcc, s20, v36
	v_ashrrev_i32_e32 v39, 31, v38
	v_addc_co_u32_e32 v37, vcc, v21, v37, vcc
	v_lshlrev_b64 v[38:39], 2, v[38:39]
	v_add_u32_e32 v40, 15, v26
	v_add_co_u32_e32 v38, vcc, s20, v38
	v_ashrrev_i32_e32 v41, 31, v40
	v_addc_co_u32_e32 v39, vcc, v21, v39, vcc
	v_lshlrev_b64 v[40:41], 2, v[40:41]
	v_add_u32_e32 v22, 20, v22
	v_add_co_u32_e32 v40, vcc, s20, v40
	v_ashrrev_i32_e32 v23, 31, v22
	v_addc_co_u32_e32 v41, vcc, v21, v41, vcc
	global_load_dword v27, v[24:25], off
	global_load_dword v42, v[28:29], off
	;; [unrolled: 1-line block ×8, first 2 shown]
	v_lshlrev_b64 v[22:23], 2, v[22:23]
	v_add_u32_e32 v24, 20, v26
	v_add_co_u32_e32 v22, vcc, s20, v22
	v_ashrrev_i32_e32 v25, 31, v24
	v_addc_co_u32_e32 v23, vcc, v21, v23, vcc
	v_lshlrev_b64 v[24:25], 2, v[24:25]
	v_add_co_u32_e32 v24, vcc, s20, v24
	v_addc_co_u32_e32 v25, vcc, v21, v25, vcc
	global_load_dword v26, v[22:23], off
	global_load_dword v28, v[24:25], off
	s_waitcnt vmcnt(8)
	v_fma_f32 v21, v27, v42, v20
	s_waitcnt vmcnt(6)
	v_fmac_f32_e32 v21, v43, v44
	s_waitcnt vmcnt(4)
	v_fmac_f32_e32 v21, v45, v46
	;; [unrolled: 2-line block ×4, first 2 shown]
	s_cbranch_execz .LBB6_38
	s_branch .LBB6_39
.LBB6_37:                               ;   in Loop: Header=BB6_19 Depth=1
                                        ; implicit-def: $vgpr21
.LBB6_38:                               ;   in Loop: Header=BB6_19 Depth=1
	s_waitcnt lgkmcnt(0)
	v_add_u32_e32 v22, v4, v9
	v_ashrrev_i32_e32 v23, 31, v22
	v_lshlrev_b64 v[22:23], 2, v[22:23]
	v_add_u32_e32 v4, v5, v15
	v_mov_b32_e32 v21, s21
	v_add_co_u32_e32 v30, vcc, s20, v22
	v_ashrrev_i32_e32 v5, 31, v4
	v_addc_co_u32_e32 v31, vcc, v21, v23, vcc
	v_lshlrev_b64 v[4:5], 2, v[4:5]
	global_load_dwordx4 v[22:25], v[30:31], off
	v_add_co_u32_e32 v4, vcc, s20, v4
	v_addc_co_u32_e32 v5, vcc, v21, v5, vcc
	global_load_dwordx4 v[26:29], v[4:5], off
	global_load_dword v21, v[30:31], off offset:16
	global_load_dword v32, v[4:5], off offset:16
	s_waitcnt vmcnt(2)
	v_fmac_f32_e32 v20, v22, v26
	v_fmac_f32_e32 v20, v23, v27
	v_fmac_f32_e32 v20, v24, v28
	v_fmac_f32_e32 v20, v25, v29
	s_waitcnt vmcnt(0)
	v_fmac_f32_e32 v20, v21, v32
	v_mov_b32_e32 v21, v20
.LBB6_39:                               ;   in Loop: Header=BB6_19 Depth=1
	s_add_i32 s24, s24, -1
	s_add_i32 s25, s25, 4
	s_cmp_eq_u32 s24, 0
	s_cbranch_scc1 .LBB6_41
; %bb.40:                               ;   in Loop: Header=BB6_19 Depth=1
	v_mov_b32_e32 v20, v21
	s_waitcnt lgkmcnt(0)
	v_mov_b32_e32 v4, s25
	ds_read2_b32 v[4:5], v4 offset1:32
	s_and_b64 vcc, exec, s[2:3]
	s_cbranch_vccz .LBB6_37
	s_branch .LBB6_36
.LBB6_41:                               ;   in Loop: Header=BB6_19 Depth=1
	ds_write_b32 v18, v21
	s_waitcnt lgkmcnt(0)
	ds_read_b32 v5, v8 offset:384
	ds_read_b32 v4, v10
	s_waitcnt lgkmcnt(1)
	v_cmp_neq_f32_e32 vcc, 0, v5
	s_or_b64 s[22:23], vcc, s[0:1]
	v_cndmask_b32_e32 v5, 1.0, v5, vcc
	s_xor_b64 s[24:25], s[22:23], -1
	s_and_saveexec_b64 s[22:23], s[24:25]
	s_cbranch_execz .LBB6_45
; %bb.42:                               ;   in Loop: Header=BB6_19 Depth=1
	v_mbcnt_lo_u32_b32 v5, exec_lo, 0
	v_mbcnt_hi_u32_b32 v5, exec_hi, v5
	v_cmp_eq_u32_e32 vcc, 0, v5
	s_and_saveexec_b64 s[24:25], vcc
	s_cbranch_execz .LBB6_44
; %bb.43:                               ;   in Loop: Header=BB6_19 Depth=1
	v_mov_b32_e32 v5, s5
	global_atomic_smin v8, v5, s[14:15]
.LBB6_44:                               ;   in Loop: Header=BB6_19 Depth=1
	s_or_b64 exec, exec, s[24:25]
	v_mov_b32_e32 v5, 1.0
.LBB6_45:                               ;   in Loop: Header=BB6_19 Depth=1
	s_or_b64 exec, exec, s[22:23]
	ds_read_b32 v20, v17
	s_waitcnt lgkmcnt(0)
	v_sub_f32_e32 v4, v4, v20
	v_div_scale_f32 v20, s[22:23], v5, v5, v4
	v_rcp_f32_e32 v21, v20
	v_div_scale_f32 v22, vcc, v4, v5, v4
	v_fma_f32 v23, -v20, v21, 1.0
	v_fmac_f32_e32 v21, v23, v21
	v_mul_f32_e32 v23, v22, v21
	v_fma_f32 v24, -v20, v23, v22
	v_fmac_f32_e32 v23, v24, v21
	v_fma_f32 v20, -v20, v23, v22
	v_div_fmas_f32 v20, v20, v21, v23
	v_div_fixup_f32 v4, v20, v5, v4
	ds_write_b32 v10, v4
	s_waitcnt lgkmcnt(0)
	ds_read_b32 v5, v19
	ds_read_b32 v20, v6
	s_waitcnt lgkmcnt(0)
	v_fmac_f32_e32 v20, v4, v5
	ds_write_b32 v6, v20
	s_waitcnt lgkmcnt(0)
	ds_read_b32 v5, v8 offset:412
	ds_read_b32 v4, v10 offset:4
	s_waitcnt lgkmcnt(1)
	v_cmp_neq_f32_e32 vcc, 0, v5
	s_or_b64 s[22:23], vcc, s[0:1]
	v_cndmask_b32_e32 v5, 1.0, v5, vcc
	s_xor_b64 s[24:25], s[22:23], -1
	s_and_saveexec_b64 s[22:23], s[24:25]
	s_cbranch_execz .LBB6_49
; %bb.46:                               ;   in Loop: Header=BB6_19 Depth=1
	v_mbcnt_lo_u32_b32 v5, exec_lo, 0
	v_mbcnt_hi_u32_b32 v5, exec_hi, v5
	v_cmp_eq_u32_e32 vcc, 0, v5
	s_and_saveexec_b64 s[24:25], vcc
	s_cbranch_execz .LBB6_48
; %bb.47:                               ;   in Loop: Header=BB6_19 Depth=1
	v_mov_b32_e32 v5, s5
	global_atomic_smin v8, v5, s[14:15]
.LBB6_48:                               ;   in Loop: Header=BB6_19 Depth=1
	s_or_b64 exec, exec, s[24:25]
	v_mov_b32_e32 v5, 1.0
.LBB6_49:                               ;   in Loop: Header=BB6_19 Depth=1
	s_or_b64 exec, exec, s[22:23]
	ds_read_b32 v20, v10
	ds_read_b32 v21, v8 offset:408
	ds_read_b32 v22, v17 offset:4
	s_waitcnt lgkmcnt(0)
	v_fmac_f32_e32 v22, v21, v20
	v_sub_f32_e32 v4, v4, v22
	v_div_scale_f32 v20, s[22:23], v5, v5, v4
	v_rcp_f32_e32 v21, v20
	v_div_scale_f32 v22, vcc, v4, v5, v4
	v_fma_f32 v23, -v20, v21, 1.0
	v_fmac_f32_e32 v21, v23, v21
	v_mul_f32_e32 v23, v22, v21
	v_fma_f32 v24, -v20, v23, v22
	v_fmac_f32_e32 v23, v24, v21
	v_fma_f32 v20, -v20, v23, v22
	v_div_fmas_f32 v20, v20, v21, v23
	v_div_fixup_f32 v4, v20, v5, v4
	ds_write_b32 v10, v4 offset:4
	s_waitcnt lgkmcnt(0)
	ds_read_b32 v5, v19 offset:4
	ds_read_b32 v20, v6
	s_waitcnt lgkmcnt(0)
	v_fmac_f32_e32 v20, v4, v5
	ds_write_b32 v6, v20
	s_waitcnt lgkmcnt(0)
	ds_read_b32 v5, v8 offset:440
	ds_read_b32 v4, v10 offset:8
	s_waitcnt lgkmcnt(1)
	v_cmp_neq_f32_e32 vcc, 0, v5
	s_or_b64 s[22:23], vcc, s[0:1]
	v_cndmask_b32_e32 v5, 1.0, v5, vcc
	s_xor_b64 s[24:25], s[22:23], -1
	s_and_saveexec_b64 s[22:23], s[24:25]
	s_cbranch_execz .LBB6_53
; %bb.50:                               ;   in Loop: Header=BB6_19 Depth=1
	v_mbcnt_lo_u32_b32 v5, exec_lo, 0
	v_mbcnt_hi_u32_b32 v5, exec_hi, v5
	v_cmp_eq_u32_e32 vcc, 0, v5
	s_and_saveexec_b64 s[24:25], vcc
	s_cbranch_execz .LBB6_52
; %bb.51:                               ;   in Loop: Header=BB6_19 Depth=1
	v_mov_b32_e32 v5, s5
	global_atomic_smin v8, v5, s[14:15]
.LBB6_52:                               ;   in Loop: Header=BB6_19 Depth=1
	s_or_b64 exec, exec, s[24:25]
	v_mov_b32_e32 v5, 1.0
.LBB6_53:                               ;   in Loop: Header=BB6_19 Depth=1
	s_or_b64 exec, exec, s[22:23]
	ds_read_b64 v[20:21], v10
	ds_read_b64 v[22:23], v8 offset:432
	ds_read_b32 v24, v17 offset:8
	s_waitcnt lgkmcnt(0)
	v_fmac_f32_e32 v24, v22, v20
	v_fmac_f32_e32 v24, v23, v21
	v_sub_f32_e32 v4, v4, v24
	v_div_scale_f32 v20, s[22:23], v5, v5, v4
	v_rcp_f32_e32 v21, v20
	v_div_scale_f32 v22, vcc, v4, v5, v4
	v_fma_f32 v23, -v20, v21, 1.0
	v_fmac_f32_e32 v21, v23, v21
	v_mul_f32_e32 v23, v22, v21
	v_fma_f32 v24, -v20, v23, v22
	v_fmac_f32_e32 v23, v24, v21
	v_fma_f32 v20, -v20, v23, v22
	v_div_fmas_f32 v20, v20, v21, v23
	v_div_fixup_f32 v4, v20, v5, v4
	ds_write_b32 v10, v4 offset:8
	s_waitcnt lgkmcnt(0)
	ds_read_b32 v5, v19 offset:8
	ds_read_b32 v20, v6
	s_waitcnt lgkmcnt(0)
	v_fmac_f32_e32 v20, v4, v5
	ds_write_b32 v6, v20
	s_waitcnt lgkmcnt(0)
	ds_read_b32 v5, v8 offset:468
	ds_read_b32 v4, v10 offset:12
	s_waitcnt lgkmcnt(1)
	v_cmp_neq_f32_e32 vcc, 0, v5
	s_or_b64 s[22:23], vcc, s[0:1]
	v_cndmask_b32_e32 v5, 1.0, v5, vcc
	s_xor_b64 s[24:25], s[22:23], -1
	s_and_saveexec_b64 s[22:23], s[24:25]
	s_cbranch_execz .LBB6_57
; %bb.54:                               ;   in Loop: Header=BB6_19 Depth=1
	v_mbcnt_lo_u32_b32 v5, exec_lo, 0
	v_mbcnt_hi_u32_b32 v5, exec_hi, v5
	v_cmp_eq_u32_e32 vcc, 0, v5
	s_and_saveexec_b64 s[24:25], vcc
	s_cbranch_execz .LBB6_56
; %bb.55:                               ;   in Loop: Header=BB6_19 Depth=1
	v_mov_b32_e32 v5, s5
	global_atomic_smin v8, v5, s[14:15]
.LBB6_56:                               ;   in Loop: Header=BB6_19 Depth=1
	s_or_b64 exec, exec, s[24:25]
	v_mov_b32_e32 v5, 1.0
.LBB6_57:                               ;   in Loop: Header=BB6_19 Depth=1
	s_or_b64 exec, exec, s[22:23]
	ds_read_b64 v[20:21], v8 offset:456
	ds_read_b32 v24, v17 offset:12
	ds_read_b64 v[22:23], v10
	ds_read_b32 v25, v10 offset:8
	ds_read_b32 v26, v8 offset:464
	s_waitcnt lgkmcnt(2)
	v_fmac_f32_e32 v24, v20, v22
	v_fmac_f32_e32 v24, v21, v23
	s_waitcnt lgkmcnt(0)
	v_fmac_f32_e32 v24, v26, v25
	v_sub_f32_e32 v4, v4, v24
	v_div_scale_f32 v20, s[22:23], v5, v5, v4
	v_rcp_f32_e32 v21, v20
	v_div_scale_f32 v22, vcc, v4, v5, v4
	v_fma_f32 v23, -v20, v21, 1.0
	v_fmac_f32_e32 v21, v23, v21
	v_mul_f32_e32 v23, v22, v21
	v_fma_f32 v24, -v20, v23, v22
	v_fmac_f32_e32 v23, v24, v21
	v_fma_f32 v20, -v20, v23, v22
	v_div_fmas_f32 v20, v20, v21, v23
	v_div_fixup_f32 v4, v20, v5, v4
	ds_write_b32 v10, v4 offset:12
	s_waitcnt lgkmcnt(0)
	ds_read_b32 v5, v19 offset:12
	ds_read_b32 v20, v6
	s_waitcnt lgkmcnt(0)
	v_fmac_f32_e32 v20, v4, v5
	ds_write_b32 v6, v20
	s_waitcnt lgkmcnt(0)
	ds_read_b32 v5, v8 offset:496
	ds_read_b32 v4, v10 offset:16
	s_waitcnt lgkmcnt(1)
	v_cmp_neq_f32_e32 vcc, 0, v5
	s_or_b64 s[22:23], vcc, s[0:1]
	v_cndmask_b32_e32 v5, 1.0, v5, vcc
	s_xor_b64 s[24:25], s[22:23], -1
	s_and_saveexec_b64 s[22:23], s[24:25]
	s_cbranch_execz .LBB6_17
; %bb.58:                               ;   in Loop: Header=BB6_19 Depth=1
	v_mbcnt_lo_u32_b32 v5, exec_lo, 0
	v_mbcnt_hi_u32_b32 v5, exec_hi, v5
	v_cmp_eq_u32_e32 vcc, 0, v5
	s_and_saveexec_b64 s[24:25], vcc
	s_cbranch_execz .LBB6_16
; %bb.59:                               ;   in Loop: Header=BB6_19 Depth=1
	v_mov_b32_e32 v5, s5
	global_atomic_smin v8, v5, s[14:15]
	s_branch .LBB6_16
.LBB6_60:
	s_cmp_lg_u32 s33, 0
	s_cselect_b64 s[4:5], -1, 0
	s_cmp_eq_u32 s33, 0
	v_mov_b32_e32 v0, v14
	s_cbranch_scc1 .LBB6_62
; %bb.61:
	v_mad_u32_u24 v0, v12, 5, v13
.LBB6_62:
	s_mul_i32 s30, s30, 25
	v_add_u32_e32 v2, s30, v0
	v_ashrrev_i32_e32 v3, 31, v2
	v_lshlrev_b64 v[2:3], 2, v[2:3]
	v_mov_b32_e32 v0, s21
	v_add_co_u32_e32 v2, vcc, s20, v2
	v_addc_co_u32_e32 v3, vcc, v0, v3, vcc
	global_load_dword v0, v[2:3], off
	v_cmp_ne_u32_e32 vcc, 0, v13
	v_cmp_eq_u32_e64 s[0:1], 0, v13
	s_waitcnt vmcnt(0)
	ds_write_b32 v7, v0 offset:640
	s_waitcnt lgkmcnt(0)
	s_and_saveexec_b64 s[8:9], s[0:1]
	s_cbranch_execz .LBB6_64
; %bb.63:
	v_mov_b32_e32 v0, 0
	ds_read2_b32 v[2:3], v0 offset0:160 offset1:192
	s_mov_b32 s2, 0xf800000
	s_waitcnt lgkmcnt(0)
	v_sub_f32_e32 v2, v2, v3
	v_cmp_gt_f32_e64 s[0:1], 0, v2
	v_cndmask_b32_e64 v2, v2, -v2, s[0:1]
	v_mul_f32_e32 v3, 0x4f800000, v2
	v_cmp_gt_f32_e64 s[0:1], s2, v2
	v_cndmask_b32_e64 v2, v2, v3, s[0:1]
	v_sqrt_f32_e32 v3, v2
	v_add_u32_e32 v4, -1, v3
	v_add_u32_e32 v5, 1, v3
	v_fma_f32 v8, -v4, v3, v2
	v_fma_f32 v9, -v5, v3, v2
	v_cmp_ge_f32_e64 s[2:3], 0, v8
	v_cndmask_b32_e64 v3, v3, v4, s[2:3]
	v_cmp_lt_f32_e64 s[2:3], 0, v9
	v_cndmask_b32_e64 v3, v3, v5, s[2:3]
	v_mul_f32_e32 v4, 0x37800000, v3
	v_cndmask_b32_e64 v3, v3, v4, s[0:1]
	v_mov_b32_e32 v4, 0x260
	v_cmp_class_f32_e64 s[0:1], v2, v4
	v_cndmask_b32_e64 v2, v3, v2, s[0:1]
	ds_write_b32 v0, v2 offset:640
.LBB6_64:
	s_or_b64 exec, exec, s[8:9]
	v_mov_b32_e32 v0, 0
	s_waitcnt lgkmcnt(0)
	ds_read_b32 v2, v0 offset:640
	v_or_b32_e32 v0, v12, v13
	v_cmp_ne_u32_e64 s[0:1], 0, v0
	s_add_i32 s18, s12, s13
	s_waitcnt lgkmcnt(0)
	v_cmp_neq_f32_e64 s[2:3], 0, v2
	v_cndmask_b32_e64 v2, 1.0, v2, s[2:3]
	s_or_b64 s[2:3], s[2:3], s[0:1]
	s_xor_b64 s[2:3], s[2:3], -1
	s_and_saveexec_b64 s[8:9], s[2:3]
	s_cbranch_execz .LBB6_68
; %bb.65:
	v_mbcnt_lo_u32_b32 v2, exec_lo, 0
	v_mbcnt_hi_u32_b32 v2, exec_hi, v2
	v_cmp_eq_u32_e64 s[2:3], 0, v2
	s_and_saveexec_b64 s[16:17], s[2:3]
	s_cbranch_execz .LBB6_67
; %bb.66:
	v_mov_b32_e32 v2, 0
	v_mov_b32_e32 v3, s18
	global_atomic_smin v2, v3, s[14:15]
.LBB6_67:
	s_or_b64 exec, exec, s[16:17]
	v_mov_b32_e32 v2, 1.0
.LBB6_68:
	s_or_b64 exec, exec, s[8:9]
	s_and_saveexec_b64 s[2:3], vcc
	s_cbranch_execz .LBB6_70
; %bb.69:
	v_mul_u32_u24_e32 v3, 24, v13
	ds_read2_b32 v[4:5], v3 offset0:160 offset1:192
	v_mul_u32_u24_e32 v9, 24, v12
	s_waitcnt lgkmcnt(0)
	v_sub_f32_e32 v4, v4, v5
	v_div_scale_f32 v5, s[8:9], v2, v2, v4
	v_rcp_f32_e32 v8, v5
	v_div_scale_f32 v10, vcc, v4, v2, v4
	v_fma_f32 v11, -v5, v8, 1.0
	v_fmac_f32_e32 v8, v11, v8
	v_mul_f32_e32 v11, v10, v8
	v_fma_f32 v15, -v5, v11, v10
	v_fmac_f32_e32 v11, v15, v8
	v_fma_f32 v5, -v5, v11, v10
	v_div_fmas_f32 v5, v5, v8, v11
	v_div_fixup_f32 v2, v5, v2, v4
	ds_write_b32 v3, v2 offset:640
	s_waitcnt lgkmcnt(0)
	ds_read_b32 v3, v9 offset:640
	ds_read_b32 v4, v6
	s_waitcnt lgkmcnt(0)
	v_fmac_f32_e32 v4, v2, v3
	ds_write_b32 v6, v4
.LBB6_70:
	s_or_b64 exec, exec, s[2:3]
	v_cmp_eq_u32_e32 vcc, 1, v13
	s_waitcnt lgkmcnt(0)
	s_and_saveexec_b64 s[8:9], vcc
	s_cbranch_execz .LBB6_72
; %bb.71:
	v_mov_b32_e32 v4, 0
	ds_read2_b32 v[2:3], v4 offset0:167 offset1:199
	s_mov_b32 s2, 0xf800000
	s_waitcnt lgkmcnt(0)
	v_sub_f32_e32 v2, v2, v3
	v_cmp_gt_f32_e32 vcc, 0, v2
	v_cndmask_b32_e64 v2, v2, -v2, vcc
	v_mul_f32_e32 v3, 0x4f800000, v2
	v_cmp_gt_f32_e32 vcc, s2, v2
	v_cndmask_b32_e32 v2, v2, v3, vcc
	v_sqrt_f32_e32 v3, v2
	v_add_u32_e32 v5, -1, v3
	v_add_u32_e32 v8, 1, v3
	v_fma_f32 v9, -v5, v3, v2
	v_fma_f32 v10, -v8, v3, v2
	v_cmp_ge_f32_e64 s[2:3], 0, v9
	v_cndmask_b32_e64 v3, v3, v5, s[2:3]
	v_cmp_lt_f32_e64 s[2:3], 0, v10
	v_cndmask_b32_e64 v3, v3, v8, s[2:3]
	v_mul_f32_e32 v5, 0x37800000, v3
	v_cndmask_b32_e32 v3, v3, v5, vcc
	v_mov_b32_e32 v5, 0x260
	v_cmp_class_f32_e32 vcc, v2, v5
	v_cndmask_b32_e32 v2, v3, v2, vcc
	ds_write_b32 v4, v2 offset:668
.LBB6_72:
	s_or_b64 exec, exec, s[8:9]
	v_mov_b32_e32 v2, 0
	s_waitcnt lgkmcnt(0)
	ds_read_b32 v2, v2 offset:668
	s_waitcnt lgkmcnt(0)
	v_cmp_neq_f32_e32 vcc, 0, v2
	s_or_b64 s[2:3], vcc, s[0:1]
	v_cndmask_b32_e32 v2, 1.0, v2, vcc
	s_xor_b64 s[8:9], s[2:3], -1
	s_and_saveexec_b64 s[2:3], s[8:9]
	s_cbranch_execz .LBB6_76
; %bb.73:
	v_mbcnt_lo_u32_b32 v2, exec_lo, 0
	v_mbcnt_hi_u32_b32 v2, exec_hi, v2
	v_cmp_eq_u32_e32 vcc, 0, v2
	s_and_saveexec_b64 s[8:9], vcc
	s_cbranch_execz .LBB6_75
; %bb.74:
	v_mov_b32_e32 v2, 0
	v_mov_b32_e32 v3, s18
	global_atomic_smin v2, v3, s[14:15]
.LBB6_75:
	s_or_b64 exec, exec, s[8:9]
	v_mov_b32_e32 v2, 1.0
.LBB6_76:
	s_or_b64 exec, exec, s[2:3]
	v_cmp_lt_u32_e32 vcc, 1, v13
	s_and_saveexec_b64 s[2:3], vcc
	s_cbranch_execz .LBB6_78
; %bb.77:
	v_mul_u32_u24_e32 v3, 24, v13
	ds_read2_b32 v[4:5], v3 offset0:161 offset1:193
	v_mul_u32_u24_e32 v9, 24, v12
	s_waitcnt lgkmcnt(0)
	v_sub_f32_e32 v4, v4, v5
	v_div_scale_f32 v5, s[8:9], v2, v2, v4
	v_rcp_f32_e32 v8, v5
	v_div_scale_f32 v10, vcc, v4, v2, v4
	v_fma_f32 v11, -v5, v8, 1.0
	v_fmac_f32_e32 v8, v11, v8
	v_mul_f32_e32 v11, v10, v8
	v_fma_f32 v15, -v5, v11, v10
	v_fmac_f32_e32 v11, v15, v8
	v_fma_f32 v5, -v5, v11, v10
	v_div_fmas_f32 v5, v5, v8, v11
	v_div_fixup_f32 v2, v5, v2, v4
	ds_write_b32 v3, v2 offset:644
	s_waitcnt lgkmcnt(0)
	ds_read_b32 v3, v9 offset:644
	ds_read_b32 v4, v6
	s_waitcnt lgkmcnt(0)
	v_fmac_f32_e32 v4, v2, v3
	ds_write_b32 v6, v4
.LBB6_78:
	s_or_b64 exec, exec, s[2:3]
	v_cmp_eq_u32_e32 vcc, 2, v13
	s_waitcnt lgkmcnt(0)
	s_and_saveexec_b64 s[8:9], vcc
	s_cbranch_execz .LBB6_80
; %bb.79:
	v_mov_b32_e32 v4, 0
	ds_read2_b32 v[2:3], v4 offset0:174 offset1:206
	s_mov_b32 s2, 0xf800000
	s_waitcnt lgkmcnt(0)
	v_sub_f32_e32 v2, v2, v3
	v_cmp_gt_f32_e32 vcc, 0, v2
	v_cndmask_b32_e64 v2, v2, -v2, vcc
	v_mul_f32_e32 v3, 0x4f800000, v2
	v_cmp_gt_f32_e32 vcc, s2, v2
	v_cndmask_b32_e32 v2, v2, v3, vcc
	v_sqrt_f32_e32 v3, v2
	v_add_u32_e32 v5, -1, v3
	v_add_u32_e32 v8, 1, v3
	v_fma_f32 v9, -v5, v3, v2
	v_fma_f32 v10, -v8, v3, v2
	v_cmp_ge_f32_e64 s[2:3], 0, v9
	v_cndmask_b32_e64 v3, v3, v5, s[2:3]
	v_cmp_lt_f32_e64 s[2:3], 0, v10
	v_cndmask_b32_e64 v3, v3, v8, s[2:3]
	v_mul_f32_e32 v5, 0x37800000, v3
	v_cndmask_b32_e32 v3, v3, v5, vcc
	v_mov_b32_e32 v5, 0x260
	v_cmp_class_f32_e32 vcc, v2, v5
	v_cndmask_b32_e32 v2, v3, v2, vcc
	ds_write_b32 v4, v2 offset:696
.LBB6_80:
	s_or_b64 exec, exec, s[8:9]
	v_mov_b32_e32 v2, 0
	s_waitcnt lgkmcnt(0)
	ds_read_b32 v2, v2 offset:696
	s_waitcnt lgkmcnt(0)
	v_cmp_neq_f32_e32 vcc, 0, v2
	s_or_b64 s[2:3], vcc, s[0:1]
	v_cndmask_b32_e32 v2, 1.0, v2, vcc
	s_xor_b64 s[8:9], s[2:3], -1
	s_and_saveexec_b64 s[2:3], s[8:9]
	s_cbranch_execz .LBB6_84
; %bb.81:
	v_mbcnt_lo_u32_b32 v2, exec_lo, 0
	v_mbcnt_hi_u32_b32 v2, exec_hi, v2
	v_cmp_eq_u32_e32 vcc, 0, v2
	s_and_saveexec_b64 s[8:9], vcc
	s_cbranch_execz .LBB6_83
; %bb.82:
	v_mov_b32_e32 v2, 0
	v_mov_b32_e32 v3, s18
	global_atomic_smin v2, v3, s[14:15]
.LBB6_83:
	s_or_b64 exec, exec, s[8:9]
	v_mov_b32_e32 v2, 1.0
.LBB6_84:
	s_or_b64 exec, exec, s[2:3]
	v_cmp_lt_u32_e32 vcc, 2, v13
	s_and_saveexec_b64 s[2:3], vcc
	s_cbranch_execz .LBB6_86
; %bb.85:
	v_mul_u32_u24_e32 v3, 24, v13
	ds_read2_b32 v[4:5], v3 offset0:162 offset1:194
	v_mul_u32_u24_e32 v9, 24, v12
	s_waitcnt lgkmcnt(0)
	v_sub_f32_e32 v4, v4, v5
	v_div_scale_f32 v5, s[8:9], v2, v2, v4
	v_rcp_f32_e32 v8, v5
	v_div_scale_f32 v10, vcc, v4, v2, v4
	v_fma_f32 v11, -v5, v8, 1.0
	v_fmac_f32_e32 v8, v11, v8
	v_mul_f32_e32 v11, v10, v8
	v_fma_f32 v15, -v5, v11, v10
	v_fmac_f32_e32 v11, v15, v8
	v_fma_f32 v5, -v5, v11, v10
	v_div_fmas_f32 v5, v5, v8, v11
	v_div_fixup_f32 v2, v5, v2, v4
	ds_write_b32 v3, v2 offset:648
	s_waitcnt lgkmcnt(0)
	ds_read_b32 v3, v9 offset:648
	ds_read_b32 v4, v6
	s_waitcnt lgkmcnt(0)
	v_fmac_f32_e32 v4, v2, v3
	ds_write_b32 v6, v4
.LBB6_86:
	s_or_b64 exec, exec, s[2:3]
	v_cmp_eq_u32_e32 vcc, 3, v13
	s_waitcnt lgkmcnt(0)
	s_and_saveexec_b64 s[8:9], vcc
	s_cbranch_execz .LBB6_88
; %bb.87:
	v_mov_b32_e32 v4, 0
	ds_read2_b32 v[2:3], v4 offset0:181 offset1:213
	s_mov_b32 s2, 0xf800000
	s_waitcnt lgkmcnt(0)
	v_sub_f32_e32 v2, v2, v3
	v_cmp_gt_f32_e32 vcc, 0, v2
	v_cndmask_b32_e64 v2, v2, -v2, vcc
	v_mul_f32_e32 v3, 0x4f800000, v2
	v_cmp_gt_f32_e32 vcc, s2, v2
	v_cndmask_b32_e32 v2, v2, v3, vcc
	v_sqrt_f32_e32 v3, v2
	v_add_u32_e32 v5, -1, v3
	v_add_u32_e32 v8, 1, v3
	v_fma_f32 v9, -v5, v3, v2
	v_fma_f32 v10, -v8, v3, v2
	v_cmp_ge_f32_e64 s[2:3], 0, v9
	v_cndmask_b32_e64 v3, v3, v5, s[2:3]
	v_cmp_lt_f32_e64 s[2:3], 0, v10
	v_cndmask_b32_e64 v3, v3, v8, s[2:3]
	v_mul_f32_e32 v5, 0x37800000, v3
	v_cndmask_b32_e32 v3, v3, v5, vcc
	v_mov_b32_e32 v5, 0x260
	v_cmp_class_f32_e32 vcc, v2, v5
	v_cndmask_b32_e32 v2, v3, v2, vcc
	ds_write_b32 v4, v2 offset:724
.LBB6_88:
	s_or_b64 exec, exec, s[8:9]
	v_mov_b32_e32 v2, 0
	s_waitcnt lgkmcnt(0)
	ds_read_b32 v2, v2 offset:724
	s_waitcnt lgkmcnt(0)
	v_cmp_neq_f32_e32 vcc, 0, v2
	s_or_b64 s[2:3], vcc, s[0:1]
	v_cndmask_b32_e32 v2, 1.0, v2, vcc
	s_xor_b64 s[8:9], s[2:3], -1
	s_and_saveexec_b64 s[2:3], s[8:9]
	s_cbranch_execz .LBB6_92
; %bb.89:
	v_mbcnt_lo_u32_b32 v2, exec_lo, 0
	v_mbcnt_hi_u32_b32 v2, exec_hi, v2
	v_cmp_eq_u32_e32 vcc, 0, v2
	s_and_saveexec_b64 s[8:9], vcc
	s_cbranch_execz .LBB6_91
; %bb.90:
	v_mov_b32_e32 v2, 0
	v_mov_b32_e32 v3, s18
	global_atomic_smin v2, v3, s[14:15]
.LBB6_91:
	s_or_b64 exec, exec, s[8:9]
	v_mov_b32_e32 v2, 1.0
.LBB6_92:
	s_or_b64 exec, exec, s[2:3]
	v_cmp_lt_u32_e32 vcc, 3, v13
	s_and_saveexec_b64 s[2:3], vcc
	s_cbranch_execz .LBB6_94
; %bb.93:
	v_mul_u32_u24_e32 v3, 24, v13
	ds_read2_b32 v[4:5], v3 offset0:163 offset1:195
	v_mul_u32_u24_e32 v9, 24, v12
	s_waitcnt lgkmcnt(0)
	v_sub_f32_e32 v4, v4, v5
	v_div_scale_f32 v5, s[8:9], v2, v2, v4
	v_rcp_f32_e32 v8, v5
	v_div_scale_f32 v10, vcc, v4, v2, v4
	v_fma_f32 v11, -v5, v8, 1.0
	v_fmac_f32_e32 v8, v11, v8
	v_mul_f32_e32 v11, v10, v8
	v_fma_f32 v15, -v5, v11, v10
	v_fmac_f32_e32 v11, v15, v8
	v_fma_f32 v5, -v5, v11, v10
	v_div_fmas_f32 v5, v5, v8, v11
	v_div_fixup_f32 v2, v5, v2, v4
	ds_write_b32 v3, v2 offset:652
	s_waitcnt lgkmcnt(0)
	ds_read_b32 v3, v9 offset:652
	ds_read_b32 v4, v6
	s_waitcnt lgkmcnt(0)
	v_fmac_f32_e32 v4, v2, v3
	ds_write_b32 v6, v4
.LBB6_94:
	s_or_b64 exec, exec, s[2:3]
	v_cmp_eq_u32_e32 vcc, 4, v13
	s_waitcnt lgkmcnt(0)
	s_and_saveexec_b64 s[8:9], vcc
	s_cbranch_execz .LBB6_96
; %bb.95:
	v_mov_b32_e32 v4, 0
	ds_read2_b32 v[2:3], v4 offset0:188 offset1:220
	s_mov_b32 s2, 0xf800000
	s_waitcnt lgkmcnt(0)
	v_sub_f32_e32 v2, v2, v3
	v_cmp_gt_f32_e32 vcc, 0, v2
	v_cndmask_b32_e64 v2, v2, -v2, vcc
	v_mul_f32_e32 v3, 0x4f800000, v2
	v_cmp_gt_f32_e32 vcc, s2, v2
	v_cndmask_b32_e32 v2, v2, v3, vcc
	v_sqrt_f32_e32 v3, v2
	v_add_u32_e32 v5, -1, v3
	v_add_u32_e32 v8, 1, v3
	v_fma_f32 v9, -v5, v3, v2
	v_fma_f32 v10, -v8, v3, v2
	v_cmp_ge_f32_e64 s[2:3], 0, v9
	v_cndmask_b32_e64 v3, v3, v5, s[2:3]
	v_cmp_lt_f32_e64 s[2:3], 0, v10
	v_cndmask_b32_e64 v3, v3, v8, s[2:3]
	v_mul_f32_e32 v5, 0x37800000, v3
	v_cndmask_b32_e32 v3, v3, v5, vcc
	v_mov_b32_e32 v5, 0x260
	v_cmp_class_f32_e32 vcc, v2, v5
	v_cndmask_b32_e32 v2, v3, v2, vcc
	ds_write_b32 v4, v2 offset:752
.LBB6_96:
	s_or_b64 exec, exec, s[8:9]
	v_mov_b32_e32 v2, 0
	s_waitcnt lgkmcnt(0)
	ds_read_b32 v2, v2 offset:752
	s_waitcnt lgkmcnt(0)
	v_cmp_neq_f32_e32 vcc, 0, v2
	s_or_b64 s[0:1], vcc, s[0:1]
	v_cndmask_b32_e32 v2, 1.0, v2, vcc
	s_xor_b64 s[2:3], s[0:1], -1
	s_and_saveexec_b64 s[0:1], s[2:3]
	s_cbranch_execz .LBB6_100
; %bb.97:
	v_mbcnt_lo_u32_b32 v2, exec_lo, 0
	v_mbcnt_hi_u32_b32 v2, exec_hi, v2
	v_cmp_eq_u32_e32 vcc, 0, v2
	s_and_saveexec_b64 s[2:3], vcc
	s_cbranch_execz .LBB6_99
; %bb.98:
	v_mov_b32_e32 v2, 0
	v_mov_b32_e32 v3, s18
	global_atomic_smin v2, v3, s[14:15]
.LBB6_99:
	s_or_b64 exec, exec, s[2:3]
	v_mov_b32_e32 v2, 1.0
.LBB6_100:
	s_or_b64 exec, exec, s[0:1]
	v_add_u32_e32 v3, 0x280, v7
	v_cmp_lt_u32_e32 vcc, 4, v13
	s_and_saveexec_b64 s[0:1], vcc
	s_cbranch_execz .LBB6_102
; %bb.101:
	v_mul_u32_u24_e32 v7, 24, v13
	ds_read2_b32 v[4:5], v7 offset0:164 offset1:196
	v_mul_u32_u24_e32 v9, 24, v12
	s_waitcnt lgkmcnt(0)
	v_sub_f32_e32 v4, v4, v5
	v_div_scale_f32 v5, s[2:3], v2, v2, v4
	v_rcp_f32_e32 v8, v5
	v_div_scale_f32 v10, vcc, v4, v2, v4
	v_fma_f32 v11, -v5, v8, 1.0
	v_fmac_f32_e32 v8, v11, v8
	v_mul_f32_e32 v11, v10, v8
	v_fma_f32 v15, -v5, v11, v10
	v_fmac_f32_e32 v11, v15, v8
	v_fma_f32 v5, -v5, v11, v10
	v_div_fmas_f32 v5, v5, v8, v11
	v_div_fixup_f32 v2, v5, v2, v4
	ds_write_b32 v7, v2 offset:656
	s_waitcnt lgkmcnt(0)
	ds_read_b32 v4, v9 offset:656
	ds_read_b32 v5, v6
	s_waitcnt lgkmcnt(0)
	v_fmac_f32_e32 v5, v2, v4
	ds_write_b32 v6, v5
.LBB6_102:
	s_or_b64 exec, exec, s[0:1]
	s_waitcnt lgkmcnt(0)
	ds_read_b32 v2, v3
	s_andn2_b64 vcc, exec, s[4:5]
	s_cbranch_vccnz .LBB6_104
; %bb.103:
	v_mov_b32_e32 v14, v1
.LBB6_104:
	v_add_u32_e32 v4, s30, v14
	v_ashrrev_i32_e32 v5, 31, v4
	v_lshlrev_b64 v[4:5], 2, v[4:5]
	v_mov_b32_e32 v1, s21
	v_add_co_u32_e32 v4, vcc, s20, v4
	v_addc_co_u32_e32 v5, vcc, v1, v5, vcc
	s_waitcnt lgkmcnt(0)
	global_store_dword v[4:5], v2, off
	v_cmp_eq_u32_e64 s[0:1], 0, v0
.LBB6_105:
	s_and_saveexec_b64 s[2:3], s[0:1]
	s_cbranch_execnz .LBB6_113
.LBB6_106:
	s_endpgm
.LBB6_107:
	s_mov_b64 s[0:1], 0
	s_cbranch_execz .LBB6_105
; %bb.108:
	v_or_b32_e32 v0, v12, v13
	v_cmp_eq_u32_e32 vcc, 0, v0
	s_and_saveexec_b64 s[2:3], vcc
	s_cbranch_execz .LBB6_112
; %bb.109:
	v_mbcnt_lo_u32_b32 v0, exec_lo, 0
	v_mbcnt_hi_u32_b32 v0, exec_hi, v0
	v_cmp_eq_u32_e32 vcc, 0, v0
	s_and_saveexec_b64 s[4:5], vcc
	s_cbranch_execz .LBB6_111
; %bb.110:
	s_add_i32 s8, s12, s13
	v_mov_b32_e32 v0, 0
	v_mov_b32_e32 v1, s8
	global_atomic_smin v0, v1, s[14:15]
.LBB6_111:
	s_or_b64 exec, exec, s[4:5]
	s_or_b64 s[0:1], s[0:1], exec
.LBB6_112:
	s_or_b64 exec, exec, s[2:3]
	s_and_saveexec_b64 s[2:3], s[0:1]
	s_cbranch_execz .LBB6_106
.LBB6_113:
	s_add_u32 s0, s10, s6
	s_addc_u32 s1, s11, s7
	v_mov_b32_e32 v0, 0
	v_mov_b32_e32 v1, 1
	s_waitcnt vmcnt(0)
	global_store_dword v0, v1, s[0:1]
	s_endpgm
	.section	.rodata,"a",@progbits
	.p2align	6, 0x0
	.amdhsa_kernel _ZN9rocsparseL26bsric0_2_8_unrolled_kernelILi25ELi32ELi5EfEEv20rocsparse_direction_iiPKiS3_PT2_S3_PiS3_S6_21rocsparse_index_base_
		.amdhsa_group_segment_fixed_size 888
		.amdhsa_private_segment_fixed_size 0
		.amdhsa_kernarg_size 76
		.amdhsa_user_sgpr_count 6
		.amdhsa_user_sgpr_private_segment_buffer 1
		.amdhsa_user_sgpr_dispatch_ptr 0
		.amdhsa_user_sgpr_queue_ptr 0
		.amdhsa_user_sgpr_kernarg_segment_ptr 1
		.amdhsa_user_sgpr_dispatch_id 0
		.amdhsa_user_sgpr_flat_scratch_init 0
		.amdhsa_user_sgpr_kernarg_preload_length 0
		.amdhsa_user_sgpr_kernarg_preload_offset 0
		.amdhsa_user_sgpr_private_segment_size 0
		.amdhsa_uses_dynamic_stack 0
		.amdhsa_system_sgpr_private_segment_wavefront_offset 0
		.amdhsa_system_sgpr_workgroup_id_x 1
		.amdhsa_system_sgpr_workgroup_id_y 0
		.amdhsa_system_sgpr_workgroup_id_z 0
		.amdhsa_system_sgpr_workgroup_info 0
		.amdhsa_system_vgpr_workitem_id 1
		.amdhsa_next_free_vgpr 72
		.amdhsa_next_free_sgpr 40
		.amdhsa_accum_offset 72
		.amdhsa_reserve_vcc 1
		.amdhsa_reserve_flat_scratch 0
		.amdhsa_float_round_mode_32 0
		.amdhsa_float_round_mode_16_64 0
		.amdhsa_float_denorm_mode_32 3
		.amdhsa_float_denorm_mode_16_64 3
		.amdhsa_dx10_clamp 1
		.amdhsa_ieee_mode 1
		.amdhsa_fp16_overflow 0
		.amdhsa_tg_split 0
		.amdhsa_exception_fp_ieee_invalid_op 0
		.amdhsa_exception_fp_denorm_src 0
		.amdhsa_exception_fp_ieee_div_zero 0
		.amdhsa_exception_fp_ieee_overflow 0
		.amdhsa_exception_fp_ieee_underflow 0
		.amdhsa_exception_fp_ieee_inexact 0
		.amdhsa_exception_int_div_zero 0
	.end_amdhsa_kernel
	.section	.text._ZN9rocsparseL26bsric0_2_8_unrolled_kernelILi25ELi32ELi5EfEEv20rocsparse_direction_iiPKiS3_PT2_S3_PiS3_S6_21rocsparse_index_base_,"axG",@progbits,_ZN9rocsparseL26bsric0_2_8_unrolled_kernelILi25ELi32ELi5EfEEv20rocsparse_direction_iiPKiS3_PT2_S3_PiS3_S6_21rocsparse_index_base_,comdat
.Lfunc_end6:
	.size	_ZN9rocsparseL26bsric0_2_8_unrolled_kernelILi25ELi32ELi5EfEEv20rocsparse_direction_iiPKiS3_PT2_S3_PiS3_S6_21rocsparse_index_base_, .Lfunc_end6-_ZN9rocsparseL26bsric0_2_8_unrolled_kernelILi25ELi32ELi5EfEEv20rocsparse_direction_iiPKiS3_PT2_S3_PiS3_S6_21rocsparse_index_base_
                                        ; -- End function
	.section	.AMDGPU.csdata,"",@progbits
; Kernel info:
; codeLenInByte = 6744
; NumSgprs: 44
; NumVgprs: 72
; NumAgprs: 0
; TotalNumVgprs: 72
; ScratchSize: 0
; MemoryBound: 0
; FloatMode: 240
; IeeeMode: 1
; LDSByteSize: 888 bytes/workgroup (compile time only)
; SGPRBlocks: 5
; VGPRBlocks: 8
; NumSGPRsForWavesPerEU: 44
; NumVGPRsForWavesPerEU: 72
; AccumOffset: 72
; Occupancy: 7
; WaveLimiterHint : 1
; COMPUTE_PGM_RSRC2:SCRATCH_EN: 0
; COMPUTE_PGM_RSRC2:USER_SGPR: 6
; COMPUTE_PGM_RSRC2:TRAP_HANDLER: 0
; COMPUTE_PGM_RSRC2:TGID_X_EN: 1
; COMPUTE_PGM_RSRC2:TGID_Y_EN: 0
; COMPUTE_PGM_RSRC2:TGID_Z_EN: 0
; COMPUTE_PGM_RSRC2:TIDIG_COMP_CNT: 1
; COMPUTE_PGM_RSRC3_GFX90A:ACCUM_OFFSET: 17
; COMPUTE_PGM_RSRC3_GFX90A:TG_SPLIT: 0
	.section	.text._ZN9rocsparseL26bsric0_2_8_unrolled_kernelILi36ELi32ELi6EfEEv20rocsparse_direction_iiPKiS3_PT2_S3_PiS3_S6_21rocsparse_index_base_,"axG",@progbits,_ZN9rocsparseL26bsric0_2_8_unrolled_kernelILi36ELi32ELi6EfEEv20rocsparse_direction_iiPKiS3_PT2_S3_PiS3_S6_21rocsparse_index_base_,comdat
	.globl	_ZN9rocsparseL26bsric0_2_8_unrolled_kernelILi36ELi32ELi6EfEEv20rocsparse_direction_iiPKiS3_PT2_S3_PiS3_S6_21rocsparse_index_base_ ; -- Begin function _ZN9rocsparseL26bsric0_2_8_unrolled_kernelILi36ELi32ELi6EfEEv20rocsparse_direction_iiPKiS3_PT2_S3_PiS3_S6_21rocsparse_index_base_
	.p2align	8
	.type	_ZN9rocsparseL26bsric0_2_8_unrolled_kernelILi36ELi32ELi6EfEEv20rocsparse_direction_iiPKiS3_PT2_S3_PiS3_S6_21rocsparse_index_base_,@function
_ZN9rocsparseL26bsric0_2_8_unrolled_kernelILi36ELi32ELi6EfEEv20rocsparse_direction_iiPKiS3_PT2_S3_PiS3_S6_21rocsparse_index_base_: ; @_ZN9rocsparseL26bsric0_2_8_unrolled_kernelILi36ELi32ELi6EfEEv20rocsparse_direction_iiPKiS3_PT2_S3_PiS3_S6_21rocsparse_index_base_
; %bb.0:
	s_load_dwordx8 s[8:15], s[4:5], 0x28
	s_mov_b32 s7, 0
	s_lshl_b64 s[0:1], s[6:7], 2
	v_and_b32_e32 v12, 0x3ff, v0
	v_bfe_u32 v13, v0, 10, 10
	s_waitcnt lgkmcnt(0)
	s_add_u32 s0, s12, s0
	s_addc_u32 s1, s13, s1
	s_load_dword s12, s[0:1], 0x0
	s_waitcnt lgkmcnt(0)
	s_ashr_i32 s13, s12, 31
	s_lshl_b64 s[6:7], s[12:13], 2
	s_add_u32 s0, s8, s6
	s_addc_u32 s1, s9, s7
	s_load_dword s30, s[0:1], 0x0
	s_load_dword s13, s[4:5], 0x48
	s_waitcnt lgkmcnt(0)
	s_cmp_lg_u32 s30, -1
	s_cbranch_scc0 .LBB7_119
; %bb.1:
	s_load_dwordx4 s[16:19], s[4:5], 0x10
	s_load_dwordx2 s[20:21], s[4:5], 0x20
	v_mad_u32_u24 v14, v13, 6, v12
	v_mul_u32_u24_e32 v15, 6, v13
	s_waitcnt lgkmcnt(0)
	s_add_u32 s0, s16, s6
	s_addc_u32 s1, s17, s7
	s_load_dword s26, s[0:1], 0x0
	s_waitcnt lgkmcnt(0)
	s_sub_i32 s31, s26, s13
	v_add_u32_e32 v0, s31, v14
	v_cmp_ge_i32_e32 vcc, s30, v0
	s_and_saveexec_b64 s[0:1], vcc
	s_cbranch_execz .LBB7_14
; %bb.2:
	v_add_u32_e32 v1, s26, v12
	v_add_u32_e32 v2, v1, v15
	v_subrev_u32_e32 v2, s13, v2
	v_add_u32_e32 v2, 36, v2
	s_add_i32 s2, s30, 1
	v_max_i32_e32 v2, s2, v2
	v_add_u32_e32 v2, s13, v2
	v_sub_u32_e32 v1, v2, v1
	v_subrev_u32_e32 v1, 36, v1
	v_cmp_ne_u32_e32 vcc, v1, v15
	v_cndmask_b32_e64 v2, 0, 1, vcc
	v_or_b32_e32 v2, v15, v2
	v_sub_u32_e32 v1, v1, v2
	s_mov_b32 s2, 0x38e38e39
	v_mul_hi_u32 v1, v1, s2
	v_lshrrev_b32_e32 v1, 3, v1
	v_addc_co_u32_e32 v16, vcc, 0, v1, vcc
	v_cmp_ne_u32_e32 vcc, 0, v16
	s_mov_b64 s[22:23], -1
	s_and_saveexec_b64 s[2:3], vcc
	s_cbranch_execz .LBB7_11
; %bb.3:
	v_add_u32_e32 v2, -1, v16
	v_add_u32_e32 v1, 36, v0
	v_lshrrev_b32_e32 v2, 1, v2
	v_add_u32_e32 v17, 1, v2
	v_cmp_lt_u32_e32 vcc, 14, v16
	v_pk_mov_b32 v[2:3], v[0:1], v[0:1] op_sel:[0,1]
	s_and_saveexec_b64 s[22:23], vcc
	s_cbranch_execz .LBB7_7
; %bb.4:
	v_and_b32_e32 v18, -8, v17
	s_mov_b64 s[24:25], 0
	v_mov_b32_e32 v19, s19
	v_pk_mov_b32 v[2:3], v[0:1], v[0:1] op_sel:[0,1]
.LBB7_5:                                ; =>This Inner Loop Header: Depth=1
	v_ashrrev_i32_e32 v23, 31, v2
	v_mov_b32_e32 v22, v2
	v_lshlrev_b64 v[22:23], 2, v[22:23]
	v_ashrrev_i32_e32 v21, 31, v3
	v_mov_b32_e32 v20, v3
	v_add_co_u32_e32 v22, vcc, s18, v22
	v_add_u32_e32 v4, 0x48, v2
	v_lshlrev_b64 v[20:21], 2, v[20:21]
	v_addc_co_u32_e32 v23, vcc, v19, v23, vcc
	v_ashrrev_i32_e32 v5, 31, v4
	v_add_co_u32_e32 v20, vcc, s18, v20
	v_add_u32_e32 v6, 0x48, v3
	v_addc_co_u32_e32 v21, vcc, v19, v21, vcc
	v_lshlrev_b64 v[42:43], 2, v[4:5]
	v_ashrrev_i32_e32 v7, 31, v6
	v_add_co_u32_e32 v42, vcc, s18, v42
	v_add_u32_e32 v8, 0x90, v2
	v_lshlrev_b64 v[44:45], 2, v[6:7]
	v_addc_co_u32_e32 v43, vcc, v19, v43, vcc
	v_ashrrev_i32_e32 v9, 31, v8
	v_add_co_u32_e32 v44, vcc, s18, v44
	v_add_u32_e32 v10, 0x90, v3
	v_lshlrev_b64 v[46:47], 2, v[8:9]
	v_addc_co_u32_e32 v45, vcc, v19, v45, vcc
	;; [unrolled: 5-line block ×11, first 2 shown]
	v_ashrrev_i32_e32 v41, 31, v40
	v_add_co_u32_e32 v64, vcc, s18, v64
	v_addc_co_u32_e32 v65, vcc, v19, v65, vcc
	v_lshlrev_b64 v[66:67], 2, v[40:41]
	v_add_u32_e32 v68, 0x1f8, v3
	v_add_co_u32_e32 v66, vcc, s18, v66
	v_ashrrev_i32_e32 v69, 31, v68
	v_addc_co_u32_e32 v67, vcc, v19, v67, vcc
	v_lshlrev_b64 v[70:71], 2, v[68:69]
	v_add_co_u32_e32 v70, vcc, s18, v70
	v_addc_co_u32_e32 v71, vcc, v19, v71, vcc
	global_load_dword v1, v[20:21], off
	global_load_dword v5, v[22:23], off
	;; [unrolled: 1-line block ×15, first 2 shown]
                                        ; kill: killed $vgpr46 killed $vgpr47
                                        ; kill: killed $vgpr70 killed $vgpr71
                                        ; kill: killed $vgpr42 killed $vgpr43
                                        ; kill: killed $vgpr64 killed $vgpr65
                                        ; kill: killed $vgpr62 killed $vgpr63
                                        ; kill: killed $vgpr60 killed $vgpr61
                                        ; kill: killed $vgpr20 killed $vgpr21
                                        ; kill: killed $vgpr56 killed $vgpr57
                                        ; kill: killed $vgpr58 killed $vgpr59
                                        ; kill: killed $vgpr22 killed $vgpr23
                                        ; kill: killed $vgpr52 killed $vgpr53
                                        ; kill: killed $vgpr54 killed $vgpr55
                                        ; kill: killed $vgpr48 killed $vgpr49
                                        ; kill: killed $vgpr50 killed $vgpr51
                                        ; kill: killed $vgpr44 killed $vgpr45
	global_load_dword v20, v[66:67], off
	v_subrev_u32_e32 v22, s31, v2
	v_add_u32_e32 v18, -8, v18
	v_subrev_u32_e32 v21, s31, v3
	v_lshlrev_b32_e32 v22, 2, v22
	v_subrev_u32_e32 v4, s31, v4
	v_cmp_eq_u32_e32 vcc, 0, v18
	v_add_u32_e32 v3, 0x240, v3
	v_add_u32_e32 v2, 0x240, v2
	v_lshlrev_b32_e32 v21, 2, v21
	v_subrev_u32_e32 v6, s31, v6
	v_subrev_u32_e32 v10, s31, v10
	;; [unrolled: 1-line block ×13, first 2 shown]
	v_lshlrev_b32_e32 v4, 2, v4
	s_or_b64 s[24:25], vcc, s[24:25]
	v_lshlrev_b32_e32 v6, 2, v6
	v_lshlrev_b32_e32 v8, 2, v8
	;; [unrolled: 1-line block ×13, first 2 shown]
	s_waitcnt vmcnt(15)
	v_subrev_u32_e32 v1, s13, v1
	s_waitcnt vmcnt(14)
	v_subrev_u32_e32 v5, s13, v5
	ds_write_b32 v22, v5 offset:960
	ds_write_b32 v21, v1 offset:960
	s_waitcnt vmcnt(12)
	v_subrev_u32_e32 v5, s13, v9
	v_subrev_u32_e32 v1, s13, v7
	s_waitcnt vmcnt(11)
	v_subrev_u32_e32 v7, s13, v11
	s_waitcnt vmcnt(10)
	v_subrev_u32_e32 v9, s13, v25
	s_waitcnt vmcnt(9)
	v_subrev_u32_e32 v11, s13, v27
	s_waitcnt vmcnt(8)
	v_subrev_u32_e32 v21, s13, v29
	s_waitcnt vmcnt(7)
	v_subrev_u32_e32 v22, s13, v31
	s_waitcnt vmcnt(6)
	v_subrev_u32_e32 v25, s13, v33
	s_waitcnt vmcnt(5)
	v_subrev_u32_e32 v27, s13, v35
	s_waitcnt vmcnt(4)
	v_subrev_u32_e32 v29, s13, v37
	s_waitcnt vmcnt(3)
	v_subrev_u32_e32 v31, s13, v39
	s_waitcnt vmcnt(2)
	v_subrev_u32_e32 v33, s13, v41
	s_waitcnt vmcnt(1)
	v_subrev_u32_e32 v35, s13, v69
	s_waitcnt vmcnt(0)
	v_subrev_u32_e32 v20, s13, v20
	ds_write_b32 v4, v5 offset:960
	ds_write_b32 v6, v1 offset:960
	;; [unrolled: 1-line block ×14, first 2 shown]
	s_andn2_b64 exec, exec, s[24:25]
	s_cbranch_execnz .LBB7_5
; %bb.6:
	s_or_b64 exec, exec, s[24:25]
.LBB7_7:
	s_or_b64 exec, exec, s[22:23]
	v_and_b32_e32 v1, 7, v17
	v_cmp_ne_u32_e32 vcc, 0, v1
	s_and_saveexec_b64 s[22:23], vcc
	s_cbranch_execz .LBB7_10
; %bb.8:
	v_sub_u32_e32 v1, 0, v1
	s_mov_b64 s[24:25], 0
	v_mov_b32_e32 v4, s19
.LBB7_9:                                ; =>This Inner Loop Header: Depth=1
	v_ashrrev_i32_e32 v9, 31, v2
	v_mov_b32_e32 v8, v2
	v_lshlrev_b64 v[8:9], 2, v[8:9]
	v_ashrrev_i32_e32 v7, 31, v3
	v_mov_b32_e32 v6, v3
	v_add_co_u32_e32 v8, vcc, s18, v8
	v_lshlrev_b64 v[6:7], 2, v[6:7]
	v_addc_co_u32_e32 v9, vcc, v4, v9, vcc
	v_add_co_u32_e32 v6, vcc, s18, v6
	v_addc_co_u32_e32 v7, vcc, v4, v7, vcc
	global_load_dword v5, v[6:7], off
	global_load_dword v10, v[8:9], off
	v_subrev_u32_e32 v7, s31, v2
	v_add_co_u32_e32 v1, vcc, 1, v1
	v_subrev_u32_e32 v6, s31, v3
	v_add_u32_e32 v3, 0x48, v3
	v_add_u32_e32 v2, 0x48, v2
	v_lshlrev_b32_e32 v7, 2, v7
	s_or_b64 s[24:25], vcc, s[24:25]
	v_lshlrev_b32_e32 v6, 2, v6
	s_waitcnt vmcnt(1)
	v_subrev_u32_e32 v5, s13, v5
	s_waitcnt vmcnt(0)
	v_subrev_u32_e32 v8, s13, v10
	ds_write_b32 v7, v8 offset:960
	ds_write_b32 v6, v5 offset:960
	s_andn2_b64 exec, exec, s[24:25]
	s_cbranch_execnz .LBB7_9
.LBB7_10:
	s_or_b64 exec, exec, s[22:23]
	v_add_u32_e32 v2, 1, v16
	v_and_b32_e32 v3, 0x1ffffffe, v2
	v_mad_u64_u32 v[0:1], s[22:23], v3, 36, v[0:1]
	v_cmp_ne_u32_e32 vcc, v2, v3
	s_orn2_b64 s[22:23], vcc, exec
.LBB7_11:
	s_or_b64 exec, exec, s[2:3]
	s_and_b64 exec, exec, s[22:23]
	s_cbranch_execz .LBB7_14
; %bb.12:
	v_add_u32_e32 v1, s13, v0
	v_subrev_u32_e32 v1, s26, v1
	v_mov_b32_e32 v2, 0x3c0
	v_lshl_add_u32 v4, v1, 2, v2
	v_ashrrev_i32_e32 v1, 31, v0
	v_lshlrev_b64 v[2:3], 2, v[0:1]
	v_mov_b32_e32 v1, s19
	v_add_co_u32_e32 v2, vcc, s18, v2
	v_addc_co_u32_e32 v3, vcc, v1, v3, vcc
	s_mov_b64 s[2:3], 0
.LBB7_13:                               ; =>This Inner Loop Header: Depth=1
	global_load_dword v1, v[2:3], off
	v_add_co_u32_e32 v2, vcc, 0x90, v2
	v_add_u32_e32 v0, 36, v0
	v_addc_co_u32_e32 v3, vcc, 0, v3, vcc
	v_cmp_lt_i32_e32 vcc, s30, v0
	s_or_b64 s[2:3], vcc, s[2:3]
	s_waitcnt vmcnt(0)
	v_subrev_u32_e32 v1, s13, v1
	ds_write_b32 v4, v1
	v_add_u32_e32 v4, 0x90, v4
	s_andn2_b64 exec, exec, s[2:3]
	s_cbranch_execnz .LBB7_13
.LBB7_14:
	s_or_b64 exec, exec, s[0:1]
	s_load_dword s33, s[4:5], 0x0
	v_lshlrev_b32_e32 v0, 2, v12
	v_mad_u32_u24 v7, v13, 28, v0
	v_add_u32_e32 v6, 0x210, v7
	v_mov_b32_e32 v8, 0
	s_cmp_ge_i32 s31, s30
	v_mad_u32_u24 v1, v12, 6, v13
	ds_write_b32 v7, v8 offset:528
	s_waitcnt lgkmcnt(0)
	s_cbranch_scc1 .LBB7_64
; %bb.15:
	v_mov_b32_e32 v3, 0x160
	v_mov_b32_e32 v4, 0xb0
	s_cmp_eq_u32 s33, 0
	v_mad_u32_u24 v10, v13, 28, v3
	v_mad_u32_u24 v16, v13, 28, v4
	;; [unrolled: 1-line block ×3, first 2 shown]
	s_cselect_b64 vcc, -1, 0
	s_cmp_lg_u32 s33, 0
	v_add_u32_e32 v11, v10, v0
	v_add_u32_e32 v17, v16, v0
	v_or_b32_e32 v0, v12, v13
	s_cselect_b64 s[2:3], -1, 0
	v_mul_u32_u24_e32 v9, 6, v12
	v_cmp_ne_u32_e64 s[0:1], 0, v0
	v_mad_u32_u24 v18, v12, 28, v3
	v_cndmask_b32_e32 v0, v2, v14, vcc
	s_mov_b32 s4, s31
	s_branch .LBB7_19
.LBB7_16:                               ;   in Loop: Header=BB7_19 Depth=1
	s_or_b64 exec, exec, s[24:25]
	v_mov_b32_e32 v5, 1.0
.LBB7_17:                               ;   in Loop: Header=BB7_19 Depth=1
	s_or_b64 exec, exec, s[22:23]
	ds_read2_b32 v[20:21], v8 offset0:35 offset1:36
	ds_read2_b32 v[22:23], v10 offset1:1
	ds_read_b32 v19, v16 offset:20
	ds_read2_b32 v[24:25], v8 offset0:37 offset1:38
	ds_read2_b32 v[26:27], v10 offset0:2 offset1:3
	ds_read_b32 v28, v10 offset:16
	ds_read_b32 v29, v8 offset:156
	s_waitcnt lgkmcnt(4)
	v_fmac_f32_e32 v19, v20, v22
	v_fmac_f32_e32 v19, v21, v23
	s_waitcnt lgkmcnt(2)
	v_fmac_f32_e32 v19, v24, v26
	v_fmac_f32_e32 v19, v25, v27
	s_waitcnt lgkmcnt(0)
	v_fmac_f32_e32 v19, v29, v28
	v_sub_f32_e32 v4, v4, v19
	v_div_scale_f32 v19, s[22:23], v5, v5, v4
	v_rcp_f32_e32 v20, v19
	s_add_i32 s4, s4, 1
	s_cmp_ge_i32 s4, s30
	s_cselect_b64 s[26:27], -1, 0
	v_fma_f32 v21, -v19, v20, 1.0
	v_fmac_f32_e32 v20, v21, v20
	v_div_scale_f32 v21, vcc, v4, v5, v4
	v_mul_f32_e32 v22, v21, v20
	v_fma_f32 v23, -v19, v22, v21
	v_fmac_f32_e32 v22, v23, v20
	v_fma_f32 v19, -v19, v22, v21
	v_div_fmas_f32 v19, v19, v20, v22
	v_div_fixup_f32 v4, v19, v5, v4
	ds_write_b32 v10, v4 offset:20
	s_waitcnt lgkmcnt(0)
	ds_read_b32 v5, v18 offset:20
	ds_read_b32 v19, v6
	s_waitcnt lgkmcnt(0)
	v_fmac_f32_e32 v19, v4, v5
	ds_write_b32 v6, v19
	s_waitcnt lgkmcnt(0)
	ds_read_b32 v4, v11
	s_waitcnt lgkmcnt(0)
	global_store_dword v[2:3], v4, off
	s_waitcnt vmcnt(0)
	buffer_wbinvl1_vol
.LBB7_18:                               ;   in Loop: Header=BB7_19 Depth=1
	s_and_b64 vcc, exec, s[26:27]
	s_cbranch_vccnz .LBB7_64
.LBB7_19:                               ; =>This Loop Header: Depth=1
                                        ;     Child Loop BB7_22 Depth 2
                                        ;     Child Loop BB7_33 Depth 2
	s_ashr_i32 s5, s4, 31
	s_lshl_b64 s[22:23], s[4:5], 2
	s_add_u32 s22, s18, s22
	s_addc_u32 s23, s19, s23
	s_load_dword s5, s[22:23], 0x0
	s_waitcnt lgkmcnt(0)
	s_sub_i32 s24, s5, s13
	s_ashr_i32 s25, s24, 31
	s_lshl_b64 s[22:23], s[24:25], 2
	s_add_u32 s26, s8, s22
	s_addc_u32 s27, s9, s23
	s_load_dword s25, s[26:27], 0x0
	s_mov_b64 s[26:27], -1
	s_waitcnt lgkmcnt(0)
	s_cmp_eq_u32 s25, -1
	s_cbranch_scc1 .LBB7_18
; %bb.20:                               ;   in Loop: Header=BB7_19 Depth=1
	v_mad_u64_u32 v[2:3], s[26:27], s4, 36, v[0:1]
	v_ashrrev_i32_e32 v3, 31, v2
	v_lshlrev_b64 v[2:3], 2, v[2:3]
	v_mov_b32_e32 v4, s21
	v_add_co_u32_e32 v2, vcc, s20, v2
	v_addc_co_u32_e32 v3, vcc, v4, v3, vcc
	global_load_dword v4, v[2:3], off
	s_add_u32 s26, s16, s22
	s_addc_u32 s27, s17, s23
	s_load_dword s26, s[26:27], 0x0
	ds_read_b32 v5, v8 offset:960
	s_mov_b32 s27, 0
	s_waitcnt lgkmcnt(0)
	s_sub_i32 s26, s26, s13
	s_cmp_le_i32 s26, s25
	v_cmp_ge_i32_e32 vcc, s24, v5
	s_cselect_b64 s[28:29], -1, 0
	s_and_b64 s[28:29], s[28:29], vcc
	s_andn2_b64 vcc, exec, s[28:29]
	s_waitcnt vmcnt(0)
	ds_write_b32 v11, v4
	s_cbranch_vccnz .LBB7_32
; %bb.21:                               ;   in Loop: Header=BB7_19 Depth=1
	s_mov_b32 s34, 0
	s_mov_b32 s35, 0
.LBB7_22:                               ;   Parent Loop BB7_19 Depth=1
                                        ; =>  This Inner Loop Header: Depth=2
	s_ashr_i32 s27, s26, 31
	s_lshl_b64 s[28:29], s[26:27], 2
	s_add_u32 s28, s18, s28
	s_addc_u32 s29, s19, s29
	s_load_dword s27, s[28:29], 0x0
	s_lshl_b32 s28, s35, 2
	v_mov_b32_e32 v4, s28
	ds_read_b32 v4, v4 offset:960
	s_mov_b64 s[28:29], -1
	s_waitcnt lgkmcnt(0)
	s_sub_i32 s39, s27, s13
                                        ; implicit-def: $sgpr27
                                        ; implicit-def: $sgpr38
                                        ; implicit-def: $sgpr37
	v_cmp_ge_i32_e32 vcc, s39, v4
	v_readfirstlane_b32 s36, v4
	s_cbranch_vccz .LBB7_28
; %bb.23:                               ;   in Loop: Header=BB7_22 Depth=2
	s_cmp_le_i32 s39, s36
                                        ; implicit-def: $sgpr27
                                        ; implicit-def: $sgpr38
                                        ; implicit-def: $sgpr37
	s_cbranch_scc0 .LBB7_25
; %bb.24:                               ;   in Loop: Header=BB7_22 Depth=2
	s_add_i32 s27, s35, s31
	s_mul_i32 s27, s27, 36
	s_lshl_b32 s28, s34, 2
	v_mov_b32_e32 v5, s27
	s_mul_i32 s27, s26, 36
	v_mov_b32_e32 v4, s28
	v_mov_b32_e32 v19, s27
	ds_write2_b32 v4, v19, v5 offset0:176 offset1:208
	s_add_i32 s37, s35, 1
	s_add_i32 s38, s26, 1
	;; [unrolled: 1-line block ×3, first 2 shown]
	s_mov_b64 s[28:29], 0
.LBB7_25:                               ;   in Loop: Header=BB7_22 Depth=2
	s_andn2_b64 vcc, exec, s[28:29]
	s_cbranch_vccnz .LBB7_27
; %bb.26:                               ;   in Loop: Header=BB7_22 Depth=2
	s_add_i32 s37, s35, 1
	s_mov_b32 s27, s34
	s_mov_b32 s38, s26
.LBB7_27:                               ;   in Loop: Header=BB7_22 Depth=2
	s_mov_b64 s[28:29], 0
.LBB7_28:                               ;   in Loop: Header=BB7_22 Depth=2
	s_andn2_b64 vcc, exec, s[28:29]
	s_cbranch_vccnz .LBB7_30
; %bb.29:                               ;   in Loop: Header=BB7_22 Depth=2
	s_add_i32 s38, s26, 1
	s_mov_b32 s37, s35
	s_mov_b32 s27, s34
.LBB7_30:                               ;   in Loop: Header=BB7_22 Depth=2
	s_cmp_le_i32 s38, s25
	s_cselect_b64 s[28:29], -1, 0
	s_cmp_le_i32 s36, s24
	s_cselect_b64 s[34:35], -1, 0
	s_and_b64 s[28:29], s[28:29], s[34:35]
	s_and_b64 vcc, exec, s[28:29]
	s_cbranch_vccz .LBB7_32
; %bb.31:                               ;   in Loop: Header=BB7_22 Depth=2
	s_mov_b32 s34, s27
	s_mov_b32 s26, s38
	;; [unrolled: 1-line block ×3, first 2 shown]
	s_branch .LBB7_22
.LBB7_32:                               ;   in Loop: Header=BB7_19 Depth=1
	s_add_u32 s22, s10, s22
	s_addc_u32 s23, s11, s23
	s_waitcnt lgkmcnt(0)
.LBB7_33:                               ;   Parent Loop BB7_19 Depth=1
                                        ; =>  This Inner Loop Header: Depth=2
	global_load_dword v4, v8, s[22:23] glc
	s_waitcnt vmcnt(0)
	v_cmp_eq_u32_e32 vcc, 0, v4
	s_cbranch_vccnz .LBB7_33
; %bb.34:                               ;   in Loop: Header=BB7_19 Depth=1
	v_mad_u64_u32 v[4:5], s[22:23], s25, 36, v[0:1]
	v_ashrrev_i32_e32 v5, 31, v4
	v_lshlrev_b64 v[4:5], 2, v[4:5]
	v_mov_b32_e32 v19, s21
	v_add_co_u32_e32 v4, vcc, s20, v4
	v_addc_co_u32_e32 v5, vcc, v19, v5, vcc
	buffer_wbinvl1_vol
	global_load_dword v4, v[4:5], off
	s_cmp_lt_i32 s27, 2
	v_mov_b32_e32 v20, 0
	s_waitcnt vmcnt(0)
	ds_write_b32 v7, v4
	s_waitcnt lgkmcnt(0)
	s_cbranch_scc1 .LBB7_41
; %bb.35:                               ;   in Loop: Header=BB7_19 Depth=1
	s_add_i32 s24, s27, -1
	s_movk_i32 s25, 0x2c0
	v_mov_b32_e32 v19, 0
	v_mov_b32_e32 v4, s25
	ds_read2_b32 v[4:5], v4 offset1:32
	s_and_b64 vcc, exec, s[2:3]
	s_cbranch_vccz .LBB7_37
.LBB7_36:                               ;   in Loop: Header=BB7_19 Depth=1
	s_waitcnt lgkmcnt(0)
	v_add_u32_e32 v20, v4, v12
	v_ashrrev_i32_e32 v21, 31, v20
	v_lshlrev_b64 v[22:23], 2, v[20:21]
	v_add_u32_e32 v24, v5, v13
	v_mov_b32_e32 v40, s21
	v_add_co_u32_e32 v22, vcc, s20, v22
	v_ashrrev_i32_e32 v25, 31, v24
	v_addc_co_u32_e32 v23, vcc, v40, v23, vcc
	v_lshlrev_b64 v[26:27], 2, v[24:25]
	v_add_u32_e32 v28, 6, v20
	v_add_co_u32_e32 v26, vcc, s20, v26
	v_ashrrev_i32_e32 v29, 31, v28
	v_addc_co_u32_e32 v27, vcc, v40, v27, vcc
	v_lshlrev_b64 v[28:29], 2, v[28:29]
	v_add_u32_e32 v30, 6, v24
	;; [unrolled: 5-line block ×6, first 2 shown]
	v_add_co_u32_e32 v36, vcc, s20, v36
	v_ashrrev_i32_e32 v39, 31, v38
	v_addc_co_u32_e32 v37, vcc, v40, v37, vcc
	v_lshlrev_b64 v[38:39], 2, v[38:39]
	v_add_co_u32_e32 v38, vcc, s20, v38
	v_addc_co_u32_e32 v39, vcc, v40, v39, vcc
	global_load_dword v41, v[22:23], off
	global_load_dword v42, v[26:27], off
	;; [unrolled: 1-line block ×8, first 2 shown]
	v_add_u32_e32 v22, 24, v20
	v_ashrrev_i32_e32 v23, 31, v22
	v_lshlrev_b64 v[22:23], 2, v[22:23]
	v_add_u32_e32 v26, 24, v24
	v_add_co_u32_e32 v22, vcc, s20, v22
	v_ashrrev_i32_e32 v27, 31, v26
	v_addc_co_u32_e32 v23, vcc, v40, v23, vcc
	v_lshlrev_b64 v[26:27], 2, v[26:27]
	v_add_u32_e32 v20, 30, v20
	v_add_co_u32_e32 v26, vcc, s20, v26
	v_ashrrev_i32_e32 v21, 31, v20
	v_addc_co_u32_e32 v27, vcc, v40, v27, vcc
	;; [unrolled: 5-line block ×3, first 2 shown]
	v_lshlrev_b64 v[24:25], 2, v[24:25]
	v_add_co_u32_e32 v24, vcc, s20, v24
	v_addc_co_u32_e32 v25, vcc, v40, v25, vcc
	global_load_dword v28, v[22:23], off
	global_load_dword v29, v[26:27], off
	;; [unrolled: 1-line block ×4, first 2 shown]
	s_waitcnt vmcnt(10)
	v_fma_f32 v20, v41, v42, v19
	s_waitcnt vmcnt(8)
	v_fmac_f32_e32 v20, v43, v44
	s_waitcnt vmcnt(6)
	v_fmac_f32_e32 v20, v45, v46
	;; [unrolled: 2-line block ×5, first 2 shown]
	s_cbranch_execz .LBB7_38
	s_branch .LBB7_39
.LBB7_37:                               ;   in Loop: Header=BB7_19 Depth=1
                                        ; implicit-def: $vgpr20
.LBB7_38:                               ;   in Loop: Header=BB7_19 Depth=1
	s_waitcnt lgkmcnt(0)
	v_add_u32_e32 v20, v4, v9
	v_ashrrev_i32_e32 v21, 31, v20
	v_lshlrev_b64 v[20:21], 2, v[20:21]
	v_add_u32_e32 v4, v5, v15
	v_mov_b32_e32 v24, s21
	v_add_co_u32_e32 v28, vcc, s20, v20
	v_ashrrev_i32_e32 v5, 31, v4
	v_addc_co_u32_e32 v29, vcc, v24, v21, vcc
	v_lshlrev_b64 v[4:5], 2, v[4:5]
	global_load_dwordx4 v[20:23], v[28:29], off
	v_add_co_u32_e32 v4, vcc, s20, v4
	v_addc_co_u32_e32 v5, vcc, v24, v5, vcc
	global_load_dwordx4 v[24:27], v[4:5], off
	global_load_dwordx2 v[30:31], v[28:29], off offset:16
	global_load_dwordx2 v[32:33], v[4:5], off offset:16
	s_waitcnt vmcnt(2)
	v_fmac_f32_e32 v19, v20, v24
	v_fmac_f32_e32 v19, v21, v25
	;; [unrolled: 1-line block ×4, first 2 shown]
	s_waitcnt vmcnt(0)
	v_fmac_f32_e32 v19, v30, v32
	v_fmac_f32_e32 v19, v31, v33
	v_mov_b32_e32 v20, v19
.LBB7_39:                               ;   in Loop: Header=BB7_19 Depth=1
	s_add_i32 s24, s24, -1
	s_add_i32 s25, s25, 4
	s_cmp_eq_u32 s24, 0
	s_cbranch_scc1 .LBB7_41
; %bb.40:                               ;   in Loop: Header=BB7_19 Depth=1
	v_mov_b32_e32 v19, v20
	s_waitcnt lgkmcnt(0)
	v_mov_b32_e32 v4, s25
	ds_read2_b32 v[4:5], v4 offset1:32
	s_and_b64 vcc, exec, s[2:3]
	s_cbranch_vccz .LBB7_37
	s_branch .LBB7_36
.LBB7_41:                               ;   in Loop: Header=BB7_19 Depth=1
	ds_write_b32 v17, v20
	s_waitcnt lgkmcnt(0)
	ds_read_b32 v5, v8
	ds_read_b32 v4, v10
	s_waitcnt lgkmcnt(1)
	v_cmp_neq_f32_e32 vcc, 0, v5
	s_or_b64 s[22:23], vcc, s[0:1]
	v_cndmask_b32_e32 v5, 1.0, v5, vcc
	s_xor_b64 s[24:25], s[22:23], -1
	s_and_saveexec_b64 s[22:23], s[24:25]
	s_cbranch_execz .LBB7_45
; %bb.42:                               ;   in Loop: Header=BB7_19 Depth=1
	v_mbcnt_lo_u32_b32 v5, exec_lo, 0
	v_mbcnt_hi_u32_b32 v5, exec_hi, v5
	v_cmp_eq_u32_e32 vcc, 0, v5
	s_and_saveexec_b64 s[24:25], vcc
	s_cbranch_execz .LBB7_44
; %bb.43:                               ;   in Loop: Header=BB7_19 Depth=1
	v_mov_b32_e32 v5, s5
	global_atomic_smin v8, v5, s[14:15]
.LBB7_44:                               ;   in Loop: Header=BB7_19 Depth=1
	s_or_b64 exec, exec, s[24:25]
	v_mov_b32_e32 v5, 1.0
.LBB7_45:                               ;   in Loop: Header=BB7_19 Depth=1
	s_or_b64 exec, exec, s[22:23]
	ds_read_b32 v19, v16
	s_waitcnt lgkmcnt(0)
	v_sub_f32_e32 v4, v4, v19
	v_div_scale_f32 v19, s[22:23], v5, v5, v4
	v_rcp_f32_e32 v20, v19
	v_div_scale_f32 v21, vcc, v4, v5, v4
	v_fma_f32 v22, -v19, v20, 1.0
	v_fmac_f32_e32 v20, v22, v20
	v_mul_f32_e32 v22, v21, v20
	v_fma_f32 v23, -v19, v22, v21
	v_fmac_f32_e32 v22, v23, v20
	v_fma_f32 v19, -v19, v22, v21
	v_div_fmas_f32 v19, v19, v20, v22
	v_div_fixup_f32 v4, v19, v5, v4
	ds_write_b32 v10, v4
	s_waitcnt lgkmcnt(0)
	ds_read_b32 v5, v18
	ds_read_b32 v19, v6
	s_waitcnt lgkmcnt(0)
	v_fmac_f32_e32 v19, v4, v5
	ds_write_b32 v6, v19
	s_waitcnt lgkmcnt(0)
	ds_read_b32 v5, v8 offset:32
	ds_read_b32 v4, v10 offset:4
	s_waitcnt lgkmcnt(1)
	v_cmp_neq_f32_e32 vcc, 0, v5
	s_or_b64 s[22:23], vcc, s[0:1]
	v_cndmask_b32_e32 v5, 1.0, v5, vcc
	s_xor_b64 s[24:25], s[22:23], -1
	s_and_saveexec_b64 s[22:23], s[24:25]
	s_cbranch_execz .LBB7_49
; %bb.46:                               ;   in Loop: Header=BB7_19 Depth=1
	v_mbcnt_lo_u32_b32 v5, exec_lo, 0
	v_mbcnt_hi_u32_b32 v5, exec_hi, v5
	v_cmp_eq_u32_e32 vcc, 0, v5
	s_and_saveexec_b64 s[24:25], vcc
	s_cbranch_execz .LBB7_48
; %bb.47:                               ;   in Loop: Header=BB7_19 Depth=1
	v_mov_b32_e32 v5, s5
	global_atomic_smin v8, v5, s[14:15]
.LBB7_48:                               ;   in Loop: Header=BB7_19 Depth=1
	s_or_b64 exec, exec, s[24:25]
	v_mov_b32_e32 v5, 1.0
.LBB7_49:                               ;   in Loop: Header=BB7_19 Depth=1
	s_or_b64 exec, exec, s[22:23]
	ds_read_b32 v19, v10
	ds_read_b32 v20, v8 offset:28
	ds_read_b32 v21, v16 offset:4
	s_waitcnt lgkmcnt(0)
	v_fmac_f32_e32 v21, v20, v19
	v_sub_f32_e32 v4, v4, v21
	v_div_scale_f32 v19, s[22:23], v5, v5, v4
	v_rcp_f32_e32 v20, v19
	v_div_scale_f32 v21, vcc, v4, v5, v4
	v_fma_f32 v22, -v19, v20, 1.0
	v_fmac_f32_e32 v20, v22, v20
	v_mul_f32_e32 v22, v21, v20
	v_fma_f32 v23, -v19, v22, v21
	v_fmac_f32_e32 v22, v23, v20
	v_fma_f32 v19, -v19, v22, v21
	v_div_fmas_f32 v19, v19, v20, v22
	v_div_fixup_f32 v4, v19, v5, v4
	ds_write_b32 v10, v4 offset:4
	s_waitcnt lgkmcnt(0)
	ds_read_b32 v5, v18 offset:4
	ds_read_b32 v19, v6
	s_waitcnt lgkmcnt(0)
	v_fmac_f32_e32 v19, v4, v5
	ds_write_b32 v6, v19
	s_waitcnt lgkmcnt(0)
	ds_read_b32 v5, v8 offset:64
	ds_read_b32 v4, v10 offset:8
	s_waitcnt lgkmcnt(1)
	v_cmp_neq_f32_e32 vcc, 0, v5
	s_or_b64 s[22:23], vcc, s[0:1]
	v_cndmask_b32_e32 v5, 1.0, v5, vcc
	s_xor_b64 s[24:25], s[22:23], -1
	s_and_saveexec_b64 s[22:23], s[24:25]
	s_cbranch_execz .LBB7_53
; %bb.50:                               ;   in Loop: Header=BB7_19 Depth=1
	v_mbcnt_lo_u32_b32 v5, exec_lo, 0
	v_mbcnt_hi_u32_b32 v5, exec_hi, v5
	v_cmp_eq_u32_e32 vcc, 0, v5
	s_and_saveexec_b64 s[24:25], vcc
	s_cbranch_execz .LBB7_52
; %bb.51:                               ;   in Loop: Header=BB7_19 Depth=1
	v_mov_b32_e32 v5, s5
	global_atomic_smin v8, v5, s[14:15]
.LBB7_52:                               ;   in Loop: Header=BB7_19 Depth=1
	s_or_b64 exec, exec, s[24:25]
	v_mov_b32_e32 v5, 1.0
.LBB7_53:                               ;   in Loop: Header=BB7_19 Depth=1
	s_or_b64 exec, exec, s[22:23]
	ds_read2_b32 v[20:21], v10 offset1:1
	ds_read_b64 v[22:23], v8 offset:56
	ds_read_b32 v19, v16 offset:8
	s_waitcnt lgkmcnt(0)
	v_fmac_f32_e32 v19, v22, v20
	v_fmac_f32_e32 v19, v23, v21
	v_sub_f32_e32 v4, v4, v19
	v_div_scale_f32 v19, s[22:23], v5, v5, v4
	v_rcp_f32_e32 v20, v19
	v_div_scale_f32 v21, vcc, v4, v5, v4
	v_fma_f32 v22, -v19, v20, 1.0
	v_fmac_f32_e32 v20, v22, v20
	v_mul_f32_e32 v22, v21, v20
	v_fma_f32 v23, -v19, v22, v21
	v_fmac_f32_e32 v22, v23, v20
	v_fma_f32 v19, -v19, v22, v21
	v_div_fmas_f32 v19, v19, v20, v22
	v_div_fixup_f32 v4, v19, v5, v4
	ds_write_b32 v10, v4 offset:8
	s_waitcnt lgkmcnt(0)
	ds_read_b32 v5, v18 offset:8
	ds_read_b32 v19, v6
	s_waitcnt lgkmcnt(0)
	v_fmac_f32_e32 v19, v4, v5
	ds_write_b32 v6, v19
	s_waitcnt lgkmcnt(0)
	ds_read_b32 v5, v8 offset:96
	ds_read_b32 v4, v10 offset:12
	s_waitcnt lgkmcnt(1)
	v_cmp_neq_f32_e32 vcc, 0, v5
	s_or_b64 s[22:23], vcc, s[0:1]
	v_cndmask_b32_e32 v5, 1.0, v5, vcc
	s_xor_b64 s[24:25], s[22:23], -1
	s_and_saveexec_b64 s[22:23], s[24:25]
	s_cbranch_execz .LBB7_57
; %bb.54:                               ;   in Loop: Header=BB7_19 Depth=1
	v_mbcnt_lo_u32_b32 v5, exec_lo, 0
	v_mbcnt_hi_u32_b32 v5, exec_hi, v5
	v_cmp_eq_u32_e32 vcc, 0, v5
	s_and_saveexec_b64 s[24:25], vcc
	s_cbranch_execz .LBB7_56
; %bb.55:                               ;   in Loop: Header=BB7_19 Depth=1
	v_mov_b32_e32 v5, s5
	global_atomic_smin v8, v5, s[14:15]
.LBB7_56:                               ;   in Loop: Header=BB7_19 Depth=1
	s_or_b64 exec, exec, s[24:25]
	v_mov_b32_e32 v5, 1.0
.LBB7_57:                               ;   in Loop: Header=BB7_19 Depth=1
	s_or_b64 exec, exec, s[22:23]
	ds_read2_b32 v[20:21], v8 offset0:21 offset1:22
	ds_read_b32 v19, v16 offset:12
	ds_read2_b32 v[22:23], v10 offset1:1
	ds_read_b32 v24, v10 offset:8
	ds_read_b32 v25, v8 offset:92
	s_waitcnt lgkmcnt(2)
	v_fmac_f32_e32 v19, v20, v22
	v_fmac_f32_e32 v19, v21, v23
	s_waitcnt lgkmcnt(0)
	v_fmac_f32_e32 v19, v25, v24
	v_sub_f32_e32 v4, v4, v19
	v_div_scale_f32 v19, s[22:23], v5, v5, v4
	v_rcp_f32_e32 v20, v19
	v_div_scale_f32 v21, vcc, v4, v5, v4
	v_fma_f32 v22, -v19, v20, 1.0
	v_fmac_f32_e32 v20, v22, v20
	v_mul_f32_e32 v22, v21, v20
	v_fma_f32 v23, -v19, v22, v21
	v_fmac_f32_e32 v22, v23, v20
	v_fma_f32 v19, -v19, v22, v21
	v_div_fmas_f32 v19, v19, v20, v22
	v_div_fixup_f32 v4, v19, v5, v4
	ds_write_b32 v10, v4 offset:12
	s_waitcnt lgkmcnt(0)
	ds_read_b32 v5, v18 offset:12
	ds_read_b32 v19, v6
	s_waitcnt lgkmcnt(0)
	v_fmac_f32_e32 v19, v4, v5
	ds_write_b32 v6, v19
	s_waitcnt lgkmcnt(0)
	ds_read_b32 v5, v8 offset:128
	ds_read_b32 v4, v10 offset:16
	s_waitcnt lgkmcnt(1)
	v_cmp_neq_f32_e32 vcc, 0, v5
	s_or_b64 s[22:23], vcc, s[0:1]
	v_cndmask_b32_e32 v5, 1.0, v5, vcc
	s_xor_b64 s[24:25], s[22:23], -1
	s_and_saveexec_b64 s[22:23], s[24:25]
	s_cbranch_execz .LBB7_61
; %bb.58:                               ;   in Loop: Header=BB7_19 Depth=1
	v_mbcnt_lo_u32_b32 v5, exec_lo, 0
	v_mbcnt_hi_u32_b32 v5, exec_hi, v5
	v_cmp_eq_u32_e32 vcc, 0, v5
	s_and_saveexec_b64 s[24:25], vcc
	s_cbranch_execz .LBB7_60
; %bb.59:                               ;   in Loop: Header=BB7_19 Depth=1
	v_mov_b32_e32 v5, s5
	global_atomic_smin v8, v5, s[14:15]
.LBB7_60:                               ;   in Loop: Header=BB7_19 Depth=1
	s_or_b64 exec, exec, s[24:25]
	v_mov_b32_e32 v5, 1.0
.LBB7_61:                               ;   in Loop: Header=BB7_19 Depth=1
	s_or_b64 exec, exec, s[22:23]
	ds_read_b128 v[20:23], v8 offset:112
	ds_read_b32 v19, v16 offset:16
	ds_read2_b32 v[24:25], v10 offset1:1
	ds_read2_b32 v[26:27], v10 offset0:2 offset1:3
	s_waitcnt lgkmcnt(1)
	v_fmac_f32_e32 v19, v20, v24
	v_fmac_f32_e32 v19, v21, v25
	s_waitcnt lgkmcnt(0)
	v_fmac_f32_e32 v19, v22, v26
	v_fmac_f32_e32 v19, v23, v27
	v_sub_f32_e32 v4, v4, v19
	v_div_scale_f32 v19, s[22:23], v5, v5, v4
	v_rcp_f32_e32 v20, v19
	v_div_scale_f32 v21, vcc, v4, v5, v4
	v_fma_f32 v22, -v19, v20, 1.0
	v_fmac_f32_e32 v20, v22, v20
	v_mul_f32_e32 v22, v21, v20
	v_fma_f32 v23, -v19, v22, v21
	v_fmac_f32_e32 v22, v23, v20
	v_fma_f32 v19, -v19, v22, v21
	v_div_fmas_f32 v19, v19, v20, v22
	v_div_fixup_f32 v4, v19, v5, v4
	ds_write_b32 v10, v4 offset:16
	s_waitcnt lgkmcnt(0)
	ds_read_b32 v5, v18 offset:16
	ds_read_b32 v19, v6
	s_waitcnt lgkmcnt(0)
	v_fmac_f32_e32 v19, v4, v5
	ds_write_b32 v6, v19
	s_waitcnt lgkmcnt(0)
	ds_read_b32 v5, v8 offset:160
	ds_read_b32 v4, v10 offset:20
	s_waitcnt lgkmcnt(1)
	v_cmp_neq_f32_e32 vcc, 0, v5
	s_or_b64 s[22:23], vcc, s[0:1]
	v_cndmask_b32_e32 v5, 1.0, v5, vcc
	s_xor_b64 s[24:25], s[22:23], -1
	s_and_saveexec_b64 s[22:23], s[24:25]
	s_cbranch_execz .LBB7_17
; %bb.62:                               ;   in Loop: Header=BB7_19 Depth=1
	v_mbcnt_lo_u32_b32 v5, exec_lo, 0
	v_mbcnt_hi_u32_b32 v5, exec_hi, v5
	v_cmp_eq_u32_e32 vcc, 0, v5
	s_and_saveexec_b64 s[24:25], vcc
	s_cbranch_execz .LBB7_16
; %bb.63:                               ;   in Loop: Header=BB7_19 Depth=1
	v_mov_b32_e32 v5, s5
	global_atomic_smin v8, v5, s[14:15]
	s_branch .LBB7_16
.LBB7_64:
	s_cmp_lg_u32 s33, 0
	s_cselect_b64 s[4:5], -1, 0
	s_cmp_eq_u32 s33, 0
	v_mov_b32_e32 v0, v14
	s_cbranch_scc1 .LBB7_66
; %bb.65:
	v_mad_u32_u24 v0, v12, 6, v13
.LBB7_66:
	s_mul_i32 s30, s30, 36
	v_add_u32_e32 v2, s30, v0
	v_ashrrev_i32_e32 v3, 31, v2
	v_lshlrev_b64 v[2:3], 2, v[2:3]
	v_mov_b32_e32 v0, s21
	v_add_co_u32_e32 v2, vcc, s20, v2
	v_addc_co_u32_e32 v3, vcc, v0, v3, vcc
	global_load_dword v0, v[2:3], off
	v_cmp_ne_u32_e32 vcc, 0, v13
	v_cmp_eq_u32_e64 s[0:1], 0, v13
	s_waitcnt vmcnt(0)
	ds_write_b32 v7, v0 offset:352
	s_waitcnt lgkmcnt(0)
	s_and_saveexec_b64 s[8:9], s[0:1]
	s_cbranch_execz .LBB7_68
; %bb.67:
	v_mov_b32_e32 v0, 0
	ds_read2_b32 v[2:3], v0 offset0:88 offset1:132
	s_mov_b32 s2, 0xf800000
	s_waitcnt lgkmcnt(0)
	v_sub_f32_e32 v2, v2, v3
	v_cmp_gt_f32_e64 s[0:1], 0, v2
	v_cndmask_b32_e64 v2, v2, -v2, s[0:1]
	v_mul_f32_e32 v3, 0x4f800000, v2
	v_cmp_gt_f32_e64 s[0:1], s2, v2
	v_cndmask_b32_e64 v2, v2, v3, s[0:1]
	v_sqrt_f32_e32 v3, v2
	v_add_u32_e32 v4, -1, v3
	v_add_u32_e32 v5, 1, v3
	v_fma_f32 v8, -v4, v3, v2
	v_fma_f32 v9, -v5, v3, v2
	v_cmp_ge_f32_e64 s[2:3], 0, v8
	v_cndmask_b32_e64 v3, v3, v4, s[2:3]
	v_cmp_lt_f32_e64 s[2:3], 0, v9
	v_cndmask_b32_e64 v3, v3, v5, s[2:3]
	v_mul_f32_e32 v4, 0x37800000, v3
	v_cndmask_b32_e64 v3, v3, v4, s[0:1]
	v_mov_b32_e32 v4, 0x260
	v_cmp_class_f32_e64 s[0:1], v2, v4
	v_cndmask_b32_e64 v2, v3, v2, s[0:1]
	ds_write_b32 v0, v2 offset:352
.LBB7_68:
	s_or_b64 exec, exec, s[8:9]
	v_mov_b32_e32 v0, 0
	s_waitcnt lgkmcnt(0)
	ds_read_b32 v2, v0 offset:352
	v_or_b32_e32 v0, v12, v13
	v_cmp_ne_u32_e64 s[0:1], 0, v0
	s_add_i32 s18, s12, s13
	s_waitcnt lgkmcnt(0)
	v_cmp_neq_f32_e64 s[2:3], 0, v2
	v_cndmask_b32_e64 v2, 1.0, v2, s[2:3]
	s_or_b64 s[2:3], s[2:3], s[0:1]
	s_xor_b64 s[2:3], s[2:3], -1
	s_and_saveexec_b64 s[8:9], s[2:3]
	s_cbranch_execz .LBB7_72
; %bb.69:
	v_mbcnt_lo_u32_b32 v2, exec_lo, 0
	v_mbcnt_hi_u32_b32 v2, exec_hi, v2
	v_cmp_eq_u32_e64 s[2:3], 0, v2
	s_and_saveexec_b64 s[16:17], s[2:3]
	s_cbranch_execz .LBB7_71
; %bb.70:
	v_mov_b32_e32 v2, 0
	v_mov_b32_e32 v3, s18
	global_atomic_smin v2, v3, s[14:15]
.LBB7_71:
	s_or_b64 exec, exec, s[16:17]
	v_mov_b32_e32 v2, 1.0
.LBB7_72:
	s_or_b64 exec, exec, s[8:9]
	s_and_saveexec_b64 s[2:3], vcc
	s_cbranch_execz .LBB7_74
; %bb.73:
	v_mul_u32_u24_e32 v3, 28, v13
	ds_read2_b32 v[4:5], v3 offset0:88 offset1:132
	v_mul_u32_u24_e32 v9, 28, v12
	s_waitcnt lgkmcnt(0)
	v_sub_f32_e32 v4, v4, v5
	v_div_scale_f32 v5, s[8:9], v2, v2, v4
	v_rcp_f32_e32 v8, v5
	v_div_scale_f32 v10, vcc, v4, v2, v4
	v_fma_f32 v11, -v5, v8, 1.0
	v_fmac_f32_e32 v8, v11, v8
	v_mul_f32_e32 v11, v10, v8
	v_fma_f32 v15, -v5, v11, v10
	v_fmac_f32_e32 v11, v15, v8
	v_fma_f32 v5, -v5, v11, v10
	v_div_fmas_f32 v5, v5, v8, v11
	v_div_fixup_f32 v2, v5, v2, v4
	ds_write_b32 v3, v2 offset:352
	s_waitcnt lgkmcnt(0)
	ds_read_b32 v3, v9 offset:352
	ds_read_b32 v4, v6
	s_waitcnt lgkmcnt(0)
	v_fmac_f32_e32 v4, v2, v3
	ds_write_b32 v6, v4
.LBB7_74:
	s_or_b64 exec, exec, s[2:3]
	v_cmp_eq_u32_e32 vcc, 1, v13
	s_waitcnt lgkmcnt(0)
	s_and_saveexec_b64 s[8:9], vcc
	s_cbranch_execz .LBB7_76
; %bb.75:
	v_mov_b32_e32 v4, 0
	ds_read2_b32 v[2:3], v4 offset0:96 offset1:140
	s_mov_b32 s2, 0xf800000
	s_waitcnt lgkmcnt(0)
	v_sub_f32_e32 v2, v2, v3
	v_cmp_gt_f32_e32 vcc, 0, v2
	v_cndmask_b32_e64 v2, v2, -v2, vcc
	v_mul_f32_e32 v3, 0x4f800000, v2
	v_cmp_gt_f32_e32 vcc, s2, v2
	v_cndmask_b32_e32 v2, v2, v3, vcc
	v_sqrt_f32_e32 v3, v2
	v_add_u32_e32 v5, -1, v3
	v_add_u32_e32 v8, 1, v3
	v_fma_f32 v9, -v5, v3, v2
	v_fma_f32 v10, -v8, v3, v2
	v_cmp_ge_f32_e64 s[2:3], 0, v9
	v_cndmask_b32_e64 v3, v3, v5, s[2:3]
	v_cmp_lt_f32_e64 s[2:3], 0, v10
	v_cndmask_b32_e64 v3, v3, v8, s[2:3]
	v_mul_f32_e32 v5, 0x37800000, v3
	v_cndmask_b32_e32 v3, v3, v5, vcc
	v_mov_b32_e32 v5, 0x260
	v_cmp_class_f32_e32 vcc, v2, v5
	v_cndmask_b32_e32 v2, v3, v2, vcc
	ds_write_b32 v4, v2 offset:384
.LBB7_76:
	s_or_b64 exec, exec, s[8:9]
	v_mov_b32_e32 v2, 0
	s_waitcnt lgkmcnt(0)
	ds_read_b32 v2, v2 offset:384
	s_waitcnt lgkmcnt(0)
	v_cmp_neq_f32_e32 vcc, 0, v2
	s_or_b64 s[2:3], vcc, s[0:1]
	v_cndmask_b32_e32 v2, 1.0, v2, vcc
	s_xor_b64 s[8:9], s[2:3], -1
	s_and_saveexec_b64 s[2:3], s[8:9]
	s_cbranch_execz .LBB7_80
; %bb.77:
	v_mbcnt_lo_u32_b32 v2, exec_lo, 0
	v_mbcnt_hi_u32_b32 v2, exec_hi, v2
	v_cmp_eq_u32_e32 vcc, 0, v2
	s_and_saveexec_b64 s[8:9], vcc
	s_cbranch_execz .LBB7_79
; %bb.78:
	v_mov_b32_e32 v2, 0
	v_mov_b32_e32 v3, s18
	global_atomic_smin v2, v3, s[14:15]
.LBB7_79:
	s_or_b64 exec, exec, s[8:9]
	v_mov_b32_e32 v2, 1.0
.LBB7_80:
	s_or_b64 exec, exec, s[2:3]
	v_cmp_lt_u32_e32 vcc, 1, v13
	s_and_saveexec_b64 s[2:3], vcc
	s_cbranch_execz .LBB7_82
; %bb.81:
	v_mul_u32_u24_e32 v3, 28, v13
	ds_read2_b32 v[4:5], v3 offset0:89 offset1:133
	v_mul_u32_u24_e32 v9, 28, v12
	s_waitcnt lgkmcnt(0)
	v_sub_f32_e32 v4, v4, v5
	v_div_scale_f32 v5, s[8:9], v2, v2, v4
	v_rcp_f32_e32 v8, v5
	v_div_scale_f32 v10, vcc, v4, v2, v4
	v_fma_f32 v11, -v5, v8, 1.0
	v_fmac_f32_e32 v8, v11, v8
	v_mul_f32_e32 v11, v10, v8
	v_fma_f32 v15, -v5, v11, v10
	v_fmac_f32_e32 v11, v15, v8
	v_fma_f32 v5, -v5, v11, v10
	v_div_fmas_f32 v5, v5, v8, v11
	v_div_fixup_f32 v2, v5, v2, v4
	ds_write_b32 v3, v2 offset:356
	s_waitcnt lgkmcnt(0)
	ds_read_b32 v3, v9 offset:356
	ds_read_b32 v4, v6
	s_waitcnt lgkmcnt(0)
	v_fmac_f32_e32 v4, v2, v3
	ds_write_b32 v6, v4
.LBB7_82:
	s_or_b64 exec, exec, s[2:3]
	v_cmp_eq_u32_e32 vcc, 2, v13
	s_waitcnt lgkmcnt(0)
	s_and_saveexec_b64 s[8:9], vcc
	s_cbranch_execz .LBB7_84
; %bb.83:
	v_mov_b32_e32 v4, 0
	ds_read2_b32 v[2:3], v4 offset0:104 offset1:148
	s_mov_b32 s2, 0xf800000
	s_waitcnt lgkmcnt(0)
	v_sub_f32_e32 v2, v2, v3
	v_cmp_gt_f32_e32 vcc, 0, v2
	v_cndmask_b32_e64 v2, v2, -v2, vcc
	v_mul_f32_e32 v3, 0x4f800000, v2
	v_cmp_gt_f32_e32 vcc, s2, v2
	v_cndmask_b32_e32 v2, v2, v3, vcc
	v_sqrt_f32_e32 v3, v2
	v_add_u32_e32 v5, -1, v3
	v_add_u32_e32 v8, 1, v3
	v_fma_f32 v9, -v5, v3, v2
	v_fma_f32 v10, -v8, v3, v2
	v_cmp_ge_f32_e64 s[2:3], 0, v9
	v_cndmask_b32_e64 v3, v3, v5, s[2:3]
	v_cmp_lt_f32_e64 s[2:3], 0, v10
	v_cndmask_b32_e64 v3, v3, v8, s[2:3]
	v_mul_f32_e32 v5, 0x37800000, v3
	v_cndmask_b32_e32 v3, v3, v5, vcc
	v_mov_b32_e32 v5, 0x260
	v_cmp_class_f32_e32 vcc, v2, v5
	v_cndmask_b32_e32 v2, v3, v2, vcc
	ds_write_b32 v4, v2 offset:416
.LBB7_84:
	s_or_b64 exec, exec, s[8:9]
	v_mov_b32_e32 v2, 0
	s_waitcnt lgkmcnt(0)
	ds_read_b32 v2, v2 offset:416
	s_waitcnt lgkmcnt(0)
	v_cmp_neq_f32_e32 vcc, 0, v2
	s_or_b64 s[2:3], vcc, s[0:1]
	v_cndmask_b32_e32 v2, 1.0, v2, vcc
	s_xor_b64 s[8:9], s[2:3], -1
	s_and_saveexec_b64 s[2:3], s[8:9]
	s_cbranch_execz .LBB7_88
; %bb.85:
	v_mbcnt_lo_u32_b32 v2, exec_lo, 0
	v_mbcnt_hi_u32_b32 v2, exec_hi, v2
	v_cmp_eq_u32_e32 vcc, 0, v2
	s_and_saveexec_b64 s[8:9], vcc
	s_cbranch_execz .LBB7_87
; %bb.86:
	v_mov_b32_e32 v2, 0
	v_mov_b32_e32 v3, s18
	global_atomic_smin v2, v3, s[14:15]
.LBB7_87:
	s_or_b64 exec, exec, s[8:9]
	v_mov_b32_e32 v2, 1.0
.LBB7_88:
	s_or_b64 exec, exec, s[2:3]
	v_cmp_lt_u32_e32 vcc, 2, v13
	s_and_saveexec_b64 s[2:3], vcc
	s_cbranch_execz .LBB7_90
; %bb.89:
	v_mul_u32_u24_e32 v3, 28, v13
	ds_read2_b32 v[4:5], v3 offset0:90 offset1:134
	v_mul_u32_u24_e32 v9, 28, v12
	s_waitcnt lgkmcnt(0)
	v_sub_f32_e32 v4, v4, v5
	v_div_scale_f32 v5, s[8:9], v2, v2, v4
	v_rcp_f32_e32 v8, v5
	v_div_scale_f32 v10, vcc, v4, v2, v4
	v_fma_f32 v11, -v5, v8, 1.0
	v_fmac_f32_e32 v8, v11, v8
	v_mul_f32_e32 v11, v10, v8
	v_fma_f32 v15, -v5, v11, v10
	v_fmac_f32_e32 v11, v15, v8
	v_fma_f32 v5, -v5, v11, v10
	v_div_fmas_f32 v5, v5, v8, v11
	v_div_fixup_f32 v2, v5, v2, v4
	ds_write_b32 v3, v2 offset:360
	s_waitcnt lgkmcnt(0)
	ds_read_b32 v3, v9 offset:360
	ds_read_b32 v4, v6
	s_waitcnt lgkmcnt(0)
	v_fmac_f32_e32 v4, v2, v3
	ds_write_b32 v6, v4
.LBB7_90:
	s_or_b64 exec, exec, s[2:3]
	v_cmp_eq_u32_e32 vcc, 3, v13
	s_waitcnt lgkmcnt(0)
	s_and_saveexec_b64 s[8:9], vcc
	s_cbranch_execz .LBB7_92
; %bb.91:
	v_mov_b32_e32 v4, 0
	ds_read2_b32 v[2:3], v4 offset0:112 offset1:156
	s_mov_b32 s2, 0xf800000
	s_waitcnt lgkmcnt(0)
	v_sub_f32_e32 v2, v2, v3
	v_cmp_gt_f32_e32 vcc, 0, v2
	v_cndmask_b32_e64 v2, v2, -v2, vcc
	v_mul_f32_e32 v3, 0x4f800000, v2
	v_cmp_gt_f32_e32 vcc, s2, v2
	v_cndmask_b32_e32 v2, v2, v3, vcc
	v_sqrt_f32_e32 v3, v2
	v_add_u32_e32 v5, -1, v3
	v_add_u32_e32 v8, 1, v3
	v_fma_f32 v9, -v5, v3, v2
	v_fma_f32 v10, -v8, v3, v2
	v_cmp_ge_f32_e64 s[2:3], 0, v9
	v_cndmask_b32_e64 v3, v3, v5, s[2:3]
	v_cmp_lt_f32_e64 s[2:3], 0, v10
	v_cndmask_b32_e64 v3, v3, v8, s[2:3]
	v_mul_f32_e32 v5, 0x37800000, v3
	v_cndmask_b32_e32 v3, v3, v5, vcc
	v_mov_b32_e32 v5, 0x260
	v_cmp_class_f32_e32 vcc, v2, v5
	v_cndmask_b32_e32 v2, v3, v2, vcc
	ds_write_b32 v4, v2 offset:448
.LBB7_92:
	s_or_b64 exec, exec, s[8:9]
	v_mov_b32_e32 v2, 0
	s_waitcnt lgkmcnt(0)
	ds_read_b32 v2, v2 offset:448
	s_waitcnt lgkmcnt(0)
	v_cmp_neq_f32_e32 vcc, 0, v2
	s_or_b64 s[2:3], vcc, s[0:1]
	v_cndmask_b32_e32 v2, 1.0, v2, vcc
	s_xor_b64 s[8:9], s[2:3], -1
	s_and_saveexec_b64 s[2:3], s[8:9]
	s_cbranch_execz .LBB7_96
; %bb.93:
	v_mbcnt_lo_u32_b32 v2, exec_lo, 0
	v_mbcnt_hi_u32_b32 v2, exec_hi, v2
	v_cmp_eq_u32_e32 vcc, 0, v2
	s_and_saveexec_b64 s[8:9], vcc
	s_cbranch_execz .LBB7_95
; %bb.94:
	v_mov_b32_e32 v2, 0
	v_mov_b32_e32 v3, s18
	global_atomic_smin v2, v3, s[14:15]
.LBB7_95:
	s_or_b64 exec, exec, s[8:9]
	v_mov_b32_e32 v2, 1.0
.LBB7_96:
	s_or_b64 exec, exec, s[2:3]
	v_cmp_lt_u32_e32 vcc, 3, v13
	s_and_saveexec_b64 s[2:3], vcc
	s_cbranch_execz .LBB7_98
; %bb.97:
	v_mul_u32_u24_e32 v3, 28, v13
	ds_read2_b32 v[4:5], v3 offset0:91 offset1:135
	v_mul_u32_u24_e32 v9, 28, v12
	s_waitcnt lgkmcnt(0)
	v_sub_f32_e32 v4, v4, v5
	v_div_scale_f32 v5, s[8:9], v2, v2, v4
	v_rcp_f32_e32 v8, v5
	v_div_scale_f32 v10, vcc, v4, v2, v4
	v_fma_f32 v11, -v5, v8, 1.0
	v_fmac_f32_e32 v8, v11, v8
	v_mul_f32_e32 v11, v10, v8
	v_fma_f32 v15, -v5, v11, v10
	v_fmac_f32_e32 v11, v15, v8
	v_fma_f32 v5, -v5, v11, v10
	v_div_fmas_f32 v5, v5, v8, v11
	v_div_fixup_f32 v2, v5, v2, v4
	ds_write_b32 v3, v2 offset:364
	s_waitcnt lgkmcnt(0)
	ds_read_b32 v3, v9 offset:364
	ds_read_b32 v4, v6
	s_waitcnt lgkmcnt(0)
	v_fmac_f32_e32 v4, v2, v3
	ds_write_b32 v6, v4
.LBB7_98:
	s_or_b64 exec, exec, s[2:3]
	v_cmp_eq_u32_e32 vcc, 4, v13
	s_waitcnt lgkmcnt(0)
	s_and_saveexec_b64 s[8:9], vcc
	s_cbranch_execz .LBB7_100
; %bb.99:
	v_mov_b32_e32 v4, 0
	ds_read2_b32 v[2:3], v4 offset0:120 offset1:164
	s_mov_b32 s2, 0xf800000
	s_waitcnt lgkmcnt(0)
	v_sub_f32_e32 v2, v2, v3
	v_cmp_gt_f32_e32 vcc, 0, v2
	v_cndmask_b32_e64 v2, v2, -v2, vcc
	v_mul_f32_e32 v3, 0x4f800000, v2
	v_cmp_gt_f32_e32 vcc, s2, v2
	v_cndmask_b32_e32 v2, v2, v3, vcc
	v_sqrt_f32_e32 v3, v2
	v_add_u32_e32 v5, -1, v3
	v_add_u32_e32 v8, 1, v3
	v_fma_f32 v9, -v5, v3, v2
	v_fma_f32 v10, -v8, v3, v2
	v_cmp_ge_f32_e64 s[2:3], 0, v9
	v_cndmask_b32_e64 v3, v3, v5, s[2:3]
	v_cmp_lt_f32_e64 s[2:3], 0, v10
	v_cndmask_b32_e64 v3, v3, v8, s[2:3]
	v_mul_f32_e32 v5, 0x37800000, v3
	v_cndmask_b32_e32 v3, v3, v5, vcc
	v_mov_b32_e32 v5, 0x260
	v_cmp_class_f32_e32 vcc, v2, v5
	v_cndmask_b32_e32 v2, v3, v2, vcc
	ds_write_b32 v4, v2 offset:480
.LBB7_100:
	s_or_b64 exec, exec, s[8:9]
	v_mov_b32_e32 v2, 0
	s_waitcnt lgkmcnt(0)
	ds_read_b32 v2, v2 offset:480
	s_waitcnt lgkmcnt(0)
	v_cmp_neq_f32_e32 vcc, 0, v2
	s_or_b64 s[2:3], vcc, s[0:1]
	v_cndmask_b32_e32 v2, 1.0, v2, vcc
	s_xor_b64 s[8:9], s[2:3], -1
	s_and_saveexec_b64 s[2:3], s[8:9]
	s_cbranch_execz .LBB7_104
; %bb.101:
	v_mbcnt_lo_u32_b32 v2, exec_lo, 0
	v_mbcnt_hi_u32_b32 v2, exec_hi, v2
	v_cmp_eq_u32_e32 vcc, 0, v2
	s_and_saveexec_b64 s[8:9], vcc
	s_cbranch_execz .LBB7_103
; %bb.102:
	v_mov_b32_e32 v2, 0
	v_mov_b32_e32 v3, s18
	global_atomic_smin v2, v3, s[14:15]
.LBB7_103:
	s_or_b64 exec, exec, s[8:9]
	v_mov_b32_e32 v2, 1.0
.LBB7_104:
	s_or_b64 exec, exec, s[2:3]
	v_cmp_lt_u32_e32 vcc, 4, v13
	s_and_saveexec_b64 s[2:3], vcc
	s_cbranch_execz .LBB7_106
; %bb.105:
	v_mul_u32_u24_e32 v3, 28, v13
	ds_read2_b32 v[4:5], v3 offset0:92 offset1:136
	v_mul_u32_u24_e32 v9, 28, v12
	s_waitcnt lgkmcnt(0)
	v_sub_f32_e32 v4, v4, v5
	v_div_scale_f32 v5, s[8:9], v2, v2, v4
	v_rcp_f32_e32 v8, v5
	v_div_scale_f32 v10, vcc, v4, v2, v4
	v_fma_f32 v11, -v5, v8, 1.0
	v_fmac_f32_e32 v8, v11, v8
	v_mul_f32_e32 v11, v10, v8
	v_fma_f32 v15, -v5, v11, v10
	v_fmac_f32_e32 v11, v15, v8
	v_fma_f32 v5, -v5, v11, v10
	v_div_fmas_f32 v5, v5, v8, v11
	v_div_fixup_f32 v2, v5, v2, v4
	ds_write_b32 v3, v2 offset:368
	s_waitcnt lgkmcnt(0)
	ds_read_b32 v3, v9 offset:368
	ds_read_b32 v4, v6
	s_waitcnt lgkmcnt(0)
	v_fmac_f32_e32 v4, v2, v3
	ds_write_b32 v6, v4
.LBB7_106:
	s_or_b64 exec, exec, s[2:3]
	v_cmp_eq_u32_e32 vcc, 5, v13
	s_waitcnt lgkmcnt(0)
	s_and_saveexec_b64 s[8:9], vcc
	s_cbranch_execz .LBB7_108
; %bb.107:
	v_mov_b32_e32 v4, 0
	ds_read2_b32 v[2:3], v4 offset0:128 offset1:172
	s_mov_b32 s2, 0xf800000
	s_waitcnt lgkmcnt(0)
	v_sub_f32_e32 v2, v2, v3
	v_cmp_gt_f32_e32 vcc, 0, v2
	v_cndmask_b32_e64 v2, v2, -v2, vcc
	v_mul_f32_e32 v3, 0x4f800000, v2
	v_cmp_gt_f32_e32 vcc, s2, v2
	v_cndmask_b32_e32 v2, v2, v3, vcc
	v_sqrt_f32_e32 v3, v2
	v_add_u32_e32 v5, -1, v3
	v_add_u32_e32 v8, 1, v3
	v_fma_f32 v9, -v5, v3, v2
	v_fma_f32 v10, -v8, v3, v2
	v_cmp_ge_f32_e64 s[2:3], 0, v9
	v_cndmask_b32_e64 v3, v3, v5, s[2:3]
	v_cmp_lt_f32_e64 s[2:3], 0, v10
	v_cndmask_b32_e64 v3, v3, v8, s[2:3]
	v_mul_f32_e32 v5, 0x37800000, v3
	v_cndmask_b32_e32 v3, v3, v5, vcc
	v_mov_b32_e32 v5, 0x260
	v_cmp_class_f32_e32 vcc, v2, v5
	v_cndmask_b32_e32 v2, v3, v2, vcc
	ds_write_b32 v4, v2 offset:512
.LBB7_108:
	s_or_b64 exec, exec, s[8:9]
	v_mov_b32_e32 v2, 0
	s_waitcnt lgkmcnt(0)
	ds_read_b32 v2, v2 offset:512
	s_waitcnt lgkmcnt(0)
	v_cmp_neq_f32_e32 vcc, 0, v2
	s_or_b64 s[0:1], vcc, s[0:1]
	v_cndmask_b32_e32 v2, 1.0, v2, vcc
	s_xor_b64 s[2:3], s[0:1], -1
	s_and_saveexec_b64 s[0:1], s[2:3]
	s_cbranch_execz .LBB7_112
; %bb.109:
	v_mbcnt_lo_u32_b32 v2, exec_lo, 0
	v_mbcnt_hi_u32_b32 v2, exec_hi, v2
	v_cmp_eq_u32_e32 vcc, 0, v2
	s_and_saveexec_b64 s[2:3], vcc
	s_cbranch_execz .LBB7_111
; %bb.110:
	v_mov_b32_e32 v2, 0
	v_mov_b32_e32 v3, s18
	global_atomic_smin v2, v3, s[14:15]
.LBB7_111:
	s_or_b64 exec, exec, s[2:3]
	v_mov_b32_e32 v2, 1.0
.LBB7_112:
	s_or_b64 exec, exec, s[0:1]
	v_add_u32_e32 v3, 0x160, v7
	v_cmp_lt_u32_e32 vcc, 5, v13
	s_and_saveexec_b64 s[0:1], vcc
	s_cbranch_execz .LBB7_114
; %bb.113:
	v_mul_u32_u24_e32 v7, 28, v13
	ds_read2_b32 v[4:5], v7 offset0:93 offset1:137
	v_mul_u32_u24_e32 v9, 28, v12
	s_waitcnt lgkmcnt(0)
	v_sub_f32_e32 v4, v4, v5
	v_div_scale_f32 v5, s[2:3], v2, v2, v4
	v_rcp_f32_e32 v8, v5
	v_div_scale_f32 v10, vcc, v4, v2, v4
	v_fma_f32 v11, -v5, v8, 1.0
	v_fmac_f32_e32 v8, v11, v8
	v_mul_f32_e32 v11, v10, v8
	v_fma_f32 v15, -v5, v11, v10
	v_fmac_f32_e32 v11, v15, v8
	v_fma_f32 v5, -v5, v11, v10
	v_div_fmas_f32 v5, v5, v8, v11
	v_div_fixup_f32 v2, v5, v2, v4
	ds_write_b32 v7, v2 offset:372
	s_waitcnt lgkmcnt(0)
	ds_read_b32 v4, v9 offset:372
	ds_read_b32 v5, v6
	s_waitcnt lgkmcnt(0)
	v_fmac_f32_e32 v5, v2, v4
	ds_write_b32 v6, v5
.LBB7_114:
	s_or_b64 exec, exec, s[0:1]
	s_waitcnt lgkmcnt(0)
	ds_read_b32 v2, v3
	s_andn2_b64 vcc, exec, s[4:5]
	s_cbranch_vccnz .LBB7_116
; %bb.115:
	v_mov_b32_e32 v14, v1
.LBB7_116:
	v_add_u32_e32 v4, s30, v14
	v_ashrrev_i32_e32 v5, 31, v4
	v_lshlrev_b64 v[4:5], 2, v[4:5]
	v_mov_b32_e32 v1, s21
	v_add_co_u32_e32 v4, vcc, s20, v4
	v_addc_co_u32_e32 v5, vcc, v1, v5, vcc
	s_waitcnt lgkmcnt(0)
	global_store_dword v[4:5], v2, off
	v_cmp_eq_u32_e64 s[0:1], 0, v0
.LBB7_117:
	s_and_saveexec_b64 s[2:3], s[0:1]
	s_cbranch_execnz .LBB7_125
.LBB7_118:
	s_endpgm
.LBB7_119:
	s_mov_b64 s[0:1], 0
	s_cbranch_execz .LBB7_117
; %bb.120:
	v_or_b32_e32 v0, v12, v13
	v_cmp_eq_u32_e32 vcc, 0, v0
	s_and_saveexec_b64 s[2:3], vcc
	s_cbranch_execz .LBB7_124
; %bb.121:
	v_mbcnt_lo_u32_b32 v0, exec_lo, 0
	v_mbcnt_hi_u32_b32 v0, exec_hi, v0
	v_cmp_eq_u32_e32 vcc, 0, v0
	s_and_saveexec_b64 s[4:5], vcc
	s_cbranch_execz .LBB7_123
; %bb.122:
	s_add_i32 s8, s12, s13
	v_mov_b32_e32 v0, 0
	v_mov_b32_e32 v1, s8
	global_atomic_smin v0, v1, s[14:15]
.LBB7_123:
	s_or_b64 exec, exec, s[4:5]
	s_or_b64 s[0:1], s[0:1], exec
.LBB7_124:
	s_or_b64 exec, exec, s[2:3]
	s_and_saveexec_b64 s[2:3], s[0:1]
	s_cbranch_execz .LBB7_118
.LBB7_125:
	s_add_u32 s0, s10, s6
	s_addc_u32 s1, s11, s7
	v_mov_b32_e32 v0, 0
	v_mov_b32_e32 v1, 1
	s_waitcnt vmcnt(0)
	global_store_dword v0, v1, s[0:1]
	s_endpgm
	.section	.rodata,"a",@progbits
	.p2align	6, 0x0
	.amdhsa_kernel _ZN9rocsparseL26bsric0_2_8_unrolled_kernelILi36ELi32ELi6EfEEv20rocsparse_direction_iiPKiS3_PT2_S3_PiS3_S6_21rocsparse_index_base_
		.amdhsa_group_segment_fixed_size 1088
		.amdhsa_private_segment_fixed_size 0
		.amdhsa_kernarg_size 76
		.amdhsa_user_sgpr_count 6
		.amdhsa_user_sgpr_private_segment_buffer 1
		.amdhsa_user_sgpr_dispatch_ptr 0
		.amdhsa_user_sgpr_queue_ptr 0
		.amdhsa_user_sgpr_kernarg_segment_ptr 1
		.amdhsa_user_sgpr_dispatch_id 0
		.amdhsa_user_sgpr_flat_scratch_init 0
		.amdhsa_user_sgpr_kernarg_preload_length 0
		.amdhsa_user_sgpr_kernarg_preload_offset 0
		.amdhsa_user_sgpr_private_segment_size 0
		.amdhsa_uses_dynamic_stack 0
		.amdhsa_system_sgpr_private_segment_wavefront_offset 0
		.amdhsa_system_sgpr_workgroup_id_x 1
		.amdhsa_system_sgpr_workgroup_id_y 0
		.amdhsa_system_sgpr_workgroup_id_z 0
		.amdhsa_system_sgpr_workgroup_info 0
		.amdhsa_system_vgpr_workitem_id 1
		.amdhsa_next_free_vgpr 72
		.amdhsa_next_free_sgpr 40
		.amdhsa_accum_offset 72
		.amdhsa_reserve_vcc 1
		.amdhsa_reserve_flat_scratch 0
		.amdhsa_float_round_mode_32 0
		.amdhsa_float_round_mode_16_64 0
		.amdhsa_float_denorm_mode_32 3
		.amdhsa_float_denorm_mode_16_64 3
		.amdhsa_dx10_clamp 1
		.amdhsa_ieee_mode 1
		.amdhsa_fp16_overflow 0
		.amdhsa_tg_split 0
		.amdhsa_exception_fp_ieee_invalid_op 0
		.amdhsa_exception_fp_denorm_src 0
		.amdhsa_exception_fp_ieee_div_zero 0
		.amdhsa_exception_fp_ieee_overflow 0
		.amdhsa_exception_fp_ieee_underflow 0
		.amdhsa_exception_fp_ieee_inexact 0
		.amdhsa_exception_int_div_zero 0
	.end_amdhsa_kernel
	.section	.text._ZN9rocsparseL26bsric0_2_8_unrolled_kernelILi36ELi32ELi6EfEEv20rocsparse_direction_iiPKiS3_PT2_S3_PiS3_S6_21rocsparse_index_base_,"axG",@progbits,_ZN9rocsparseL26bsric0_2_8_unrolled_kernelILi36ELi32ELi6EfEEv20rocsparse_direction_iiPKiS3_PT2_S3_PiS3_S6_21rocsparse_index_base_,comdat
.Lfunc_end7:
	.size	_ZN9rocsparseL26bsric0_2_8_unrolled_kernelILi36ELi32ELi6EfEEv20rocsparse_direction_iiPKiS3_PT2_S3_PiS3_S6_21rocsparse_index_base_, .Lfunc_end7-_ZN9rocsparseL26bsric0_2_8_unrolled_kernelILi36ELi32ELi6EfEEv20rocsparse_direction_iiPKiS3_PT2_S3_PiS3_S6_21rocsparse_index_base_
                                        ; -- End function
	.section	.AMDGPU.csdata,"",@progbits
; Kernel info:
; codeLenInByte = 7572
; NumSgprs: 44
; NumVgprs: 72
; NumAgprs: 0
; TotalNumVgprs: 72
; ScratchSize: 0
; MemoryBound: 0
; FloatMode: 240
; IeeeMode: 1
; LDSByteSize: 1088 bytes/workgroup (compile time only)
; SGPRBlocks: 5
; VGPRBlocks: 8
; NumSGPRsForWavesPerEU: 44
; NumVGPRsForWavesPerEU: 72
; AccumOffset: 72
; Occupancy: 7
; WaveLimiterHint : 1
; COMPUTE_PGM_RSRC2:SCRATCH_EN: 0
; COMPUTE_PGM_RSRC2:USER_SGPR: 6
; COMPUTE_PGM_RSRC2:TRAP_HANDLER: 0
; COMPUTE_PGM_RSRC2:TGID_X_EN: 1
; COMPUTE_PGM_RSRC2:TGID_Y_EN: 0
; COMPUTE_PGM_RSRC2:TGID_Z_EN: 0
; COMPUTE_PGM_RSRC2:TIDIG_COMP_CNT: 1
; COMPUTE_PGM_RSRC3_GFX90A:ACCUM_OFFSET: 17
; COMPUTE_PGM_RSRC3_GFX90A:TG_SPLIT: 0
	.section	.text._ZN9rocsparseL26bsric0_2_8_unrolled_kernelILi49ELi32ELi7EfEEv20rocsparse_direction_iiPKiS3_PT2_S3_PiS3_S6_21rocsparse_index_base_,"axG",@progbits,_ZN9rocsparseL26bsric0_2_8_unrolled_kernelILi49ELi32ELi7EfEEv20rocsparse_direction_iiPKiS3_PT2_S3_PiS3_S6_21rocsparse_index_base_,comdat
	.globl	_ZN9rocsparseL26bsric0_2_8_unrolled_kernelILi49ELi32ELi7EfEEv20rocsparse_direction_iiPKiS3_PT2_S3_PiS3_S6_21rocsparse_index_base_ ; -- Begin function _ZN9rocsparseL26bsric0_2_8_unrolled_kernelILi49ELi32ELi7EfEEv20rocsparse_direction_iiPKiS3_PT2_S3_PiS3_S6_21rocsparse_index_base_
	.p2align	8
	.type	_ZN9rocsparseL26bsric0_2_8_unrolled_kernelILi49ELi32ELi7EfEEv20rocsparse_direction_iiPKiS3_PT2_S3_PiS3_S6_21rocsparse_index_base_,@function
_ZN9rocsparseL26bsric0_2_8_unrolled_kernelILi49ELi32ELi7EfEEv20rocsparse_direction_iiPKiS3_PT2_S3_PiS3_S6_21rocsparse_index_base_: ; @_ZN9rocsparseL26bsric0_2_8_unrolled_kernelILi49ELi32ELi7EfEEv20rocsparse_direction_iiPKiS3_PT2_S3_PiS3_S6_21rocsparse_index_base_
; %bb.0:
	s_load_dwordx8 s[8:15], s[4:5], 0x28
	s_mov_b32 s7, 0
	s_lshl_b64 s[0:1], s[6:7], 2
	v_and_b32_e32 v12, 0x3ff, v0
	v_bfe_u32 v13, v0, 10, 10
	s_waitcnt lgkmcnt(0)
	s_add_u32 s0, s12, s0
	s_addc_u32 s1, s13, s1
	s_load_dword s12, s[0:1], 0x0
	s_waitcnt lgkmcnt(0)
	s_ashr_i32 s13, s12, 31
	s_lshl_b64 s[6:7], s[12:13], 2
	s_add_u32 s0, s8, s6
	s_addc_u32 s1, s9, s7
	s_load_dword s30, s[0:1], 0x0
	s_load_dword s13, s[4:5], 0x48
	s_waitcnt lgkmcnt(0)
	s_cmp_lg_u32 s30, -1
	s_cbranch_scc0 .LBB8_131
; %bb.1:
	s_load_dwordx4 s[16:19], s[4:5], 0x10
	s_load_dwordx2 s[20:21], s[4:5], 0x20
	v_mad_u32_u24 v14, v13, 7, v12
	v_mul_u32_u24_e32 v15, 7, v13
	s_waitcnt lgkmcnt(0)
	s_add_u32 s0, s16, s6
	s_addc_u32 s1, s17, s7
	s_load_dword s26, s[0:1], 0x0
	s_waitcnt lgkmcnt(0)
	s_sub_i32 s31, s26, s13
	v_add_u32_e32 v0, s31, v14
	v_cmp_ge_i32_e32 vcc, s30, v0
	s_and_saveexec_b64 s[2:3], vcc
	s_cbranch_execz .LBB8_14
; %bb.2:
	v_add_u32_e32 v1, s26, v12
	v_add_u32_e32 v2, v1, v15
	v_subrev_u32_e32 v2, s13, v2
	v_add_u32_e32 v2, 49, v2
	s_add_i32 s0, s30, 1
	v_max_i32_e32 v2, s0, v2
	v_add_u32_e32 v2, s13, v2
	v_sub_u32_e32 v1, v2, v1
	v_subrev_u32_e32 v1, 49, v1
	v_cmp_ne_u32_e32 vcc, v1, v15
	v_addc_co_u32_e64 v2, s[0:1], 0, v15, vcc
	v_sub_u32_e32 v1, v1, v2
	s_mov_b32 s0, 0x5397829d
	v_mul_hi_u32 v1, v1, s0
	v_lshrrev_b32_e32 v1, 4, v1
	v_addc_co_u32_e32 v16, vcc, 0, v1, vcc
	v_cmp_ne_u32_e32 vcc, 0, v16
	s_mov_b64 s[22:23], -1
	s_and_saveexec_b64 s[0:1], vcc
	s_cbranch_execz .LBB8_11
; %bb.3:
	v_add_u32_e32 v2, -1, v16
	v_add_u32_e32 v1, 49, v0
	v_lshrrev_b32_e32 v2, 1, v2
	v_add_u32_e32 v17, 1, v2
	v_cmp_lt_u32_e32 vcc, 14, v16
	v_pk_mov_b32 v[2:3], v[0:1], v[0:1] op_sel:[0,1]
	s_and_saveexec_b64 s[22:23], vcc
	s_cbranch_execz .LBB8_7
; %bb.4:
	v_and_b32_e32 v18, -8, v17
	s_mov_b64 s[24:25], 0
	v_mov_b32_e32 v19, s19
	v_pk_mov_b32 v[2:3], v[0:1], v[0:1] op_sel:[0,1]
.LBB8_5:                                ; =>This Inner Loop Header: Depth=1
	v_ashrrev_i32_e32 v23, 31, v2
	v_mov_b32_e32 v22, v2
	v_lshlrev_b64 v[22:23], 2, v[22:23]
	v_ashrrev_i32_e32 v21, 31, v3
	v_mov_b32_e32 v20, v3
	v_add_co_u32_e32 v22, vcc, s18, v22
	v_add_u32_e32 v4, 0x62, v2
	v_lshlrev_b64 v[20:21], 2, v[20:21]
	v_addc_co_u32_e32 v23, vcc, v19, v23, vcc
	v_ashrrev_i32_e32 v5, 31, v4
	v_add_co_u32_e32 v20, vcc, s18, v20
	v_add_u32_e32 v6, 0x62, v3
	v_addc_co_u32_e32 v21, vcc, v19, v21, vcc
	v_lshlrev_b64 v[42:43], 2, v[4:5]
	v_ashrrev_i32_e32 v7, 31, v6
	v_add_co_u32_e32 v42, vcc, s18, v42
	v_add_u32_e32 v8, 0xc4, v2
	v_lshlrev_b64 v[44:45], 2, v[6:7]
	v_addc_co_u32_e32 v43, vcc, v19, v43, vcc
	v_ashrrev_i32_e32 v9, 31, v8
	v_add_co_u32_e32 v44, vcc, s18, v44
	v_add_u32_e32 v10, 0xc4, v3
	v_lshlrev_b64 v[46:47], 2, v[8:9]
	v_addc_co_u32_e32 v45, vcc, v19, v45, vcc
	;; [unrolled: 5-line block ×11, first 2 shown]
	v_ashrrev_i32_e32 v41, 31, v40
	v_add_co_u32_e32 v64, vcc, s18, v64
	v_addc_co_u32_e32 v65, vcc, v19, v65, vcc
	v_lshlrev_b64 v[66:67], 2, v[40:41]
	v_add_u32_e32 v68, 0x2ae, v3
	v_add_co_u32_e32 v66, vcc, s18, v66
	v_ashrrev_i32_e32 v69, 31, v68
	v_addc_co_u32_e32 v67, vcc, v19, v67, vcc
	v_lshlrev_b64 v[70:71], 2, v[68:69]
	v_add_co_u32_e32 v70, vcc, s18, v70
	v_addc_co_u32_e32 v71, vcc, v19, v71, vcc
	global_load_dword v1, v[20:21], off
	global_load_dword v5, v[22:23], off
	;; [unrolled: 1-line block ×15, first 2 shown]
                                        ; kill: killed $vgpr44 killed $vgpr45
                                        ; kill: killed $vgpr46 killed $vgpr47
                                        ; kill: killed $vgpr70 killed $vgpr71
                                        ; kill: killed $vgpr42 killed $vgpr43
                                        ; kill: killed $vgpr64 killed $vgpr65
                                        ; kill: killed $vgpr62 killed $vgpr63
                                        ; kill: killed $vgpr60 killed $vgpr61
                                        ; kill: killed $vgpr20 killed $vgpr21
                                        ; kill: killed $vgpr56 killed $vgpr57
                                        ; kill: killed $vgpr58 killed $vgpr59
                                        ; kill: killed $vgpr22 killed $vgpr23
                                        ; kill: killed $vgpr52 killed $vgpr53
                                        ; kill: killed $vgpr54 killed $vgpr55
                                        ; kill: killed $vgpr48 killed $vgpr49
                                        ; kill: killed $vgpr50 killed $vgpr51
	global_load_dword v20, v[66:67], off
	v_subrev_u32_e32 v22, s31, v2
	v_add_u32_e32 v18, -8, v18
	v_subrev_u32_e32 v21, s31, v3
	v_lshlrev_b32_e32 v22, 2, v22
	v_subrev_u32_e32 v4, s31, v4
	v_cmp_eq_u32_e32 vcc, 0, v18
	v_add_u32_e32 v3, 0x310, v3
	v_add_u32_e32 v2, 0x310, v2
	v_lshlrev_b32_e32 v21, 2, v21
	v_subrev_u32_e32 v6, s31, v6
	v_subrev_u32_e32 v10, s31, v10
	;; [unrolled: 1-line block ×13, first 2 shown]
	v_lshlrev_b32_e32 v4, 2, v4
	s_or_b64 s[24:25], vcc, s[24:25]
	v_lshlrev_b32_e32 v6, 2, v6
	v_lshlrev_b32_e32 v8, 2, v8
	;; [unrolled: 1-line block ×13, first 2 shown]
	s_waitcnt vmcnt(15)
	v_subrev_u32_e32 v1, s13, v1
	s_waitcnt vmcnt(14)
	v_subrev_u32_e32 v5, s13, v5
	ds_write_b32 v22, v5 offset:1152
	ds_write_b32 v21, v1 offset:1152
	s_waitcnt vmcnt(12)
	v_subrev_u32_e32 v5, s13, v9
	v_subrev_u32_e32 v1, s13, v7
	s_waitcnt vmcnt(11)
	v_subrev_u32_e32 v7, s13, v11
	s_waitcnt vmcnt(10)
	;; [unrolled: 2-line block ×12, first 2 shown]
	v_subrev_u32_e32 v20, s13, v20
	ds_write_b32 v4, v5 offset:1152
	ds_write_b32 v6, v1 offset:1152
	;; [unrolled: 1-line block ×14, first 2 shown]
	s_andn2_b64 exec, exec, s[24:25]
	s_cbranch_execnz .LBB8_5
; %bb.6:
	s_or_b64 exec, exec, s[24:25]
.LBB8_7:
	s_or_b64 exec, exec, s[22:23]
	v_and_b32_e32 v1, 7, v17
	v_cmp_ne_u32_e32 vcc, 0, v1
	s_and_saveexec_b64 s[22:23], vcc
	s_cbranch_execz .LBB8_10
; %bb.8:
	v_sub_u32_e32 v1, 0, v1
	s_mov_b64 s[24:25], 0
	v_mov_b32_e32 v4, s19
.LBB8_9:                                ; =>This Inner Loop Header: Depth=1
	v_ashrrev_i32_e32 v9, 31, v2
	v_mov_b32_e32 v8, v2
	v_lshlrev_b64 v[8:9], 2, v[8:9]
	v_ashrrev_i32_e32 v7, 31, v3
	v_mov_b32_e32 v6, v3
	v_add_co_u32_e32 v8, vcc, s18, v8
	v_lshlrev_b64 v[6:7], 2, v[6:7]
	v_addc_co_u32_e32 v9, vcc, v4, v9, vcc
	v_add_co_u32_e32 v6, vcc, s18, v6
	v_addc_co_u32_e32 v7, vcc, v4, v7, vcc
	global_load_dword v5, v[6:7], off
	global_load_dword v10, v[8:9], off
	v_subrev_u32_e32 v7, s31, v2
	v_add_co_u32_e32 v1, vcc, 1, v1
	v_subrev_u32_e32 v6, s31, v3
	v_add_u32_e32 v3, 0x62, v3
	v_add_u32_e32 v2, 0x62, v2
	v_lshlrev_b32_e32 v7, 2, v7
	s_or_b64 s[24:25], vcc, s[24:25]
	v_lshlrev_b32_e32 v6, 2, v6
	s_waitcnt vmcnt(1)
	v_subrev_u32_e32 v5, s13, v5
	s_waitcnt vmcnt(0)
	v_subrev_u32_e32 v8, s13, v10
	ds_write_b32 v7, v8 offset:1152
	ds_write_b32 v6, v5 offset:1152
	s_andn2_b64 exec, exec, s[24:25]
	s_cbranch_execnz .LBB8_9
.LBB8_10:
	s_or_b64 exec, exec, s[22:23]
	v_add_u32_e32 v2, 1, v16
	v_and_b32_e32 v3, 0x1ffffffe, v2
	v_mad_u64_u32 v[0:1], s[22:23], v3, 49, v[0:1]
	v_cmp_ne_u32_e32 vcc, v2, v3
	s_orn2_b64 s[22:23], vcc, exec
.LBB8_11:
	s_or_b64 exec, exec, s[0:1]
	s_and_b64 exec, exec, s[22:23]
	s_cbranch_execz .LBB8_14
; %bb.12:
	v_add_u32_e32 v1, s13, v0
	v_subrev_u32_e32 v1, s26, v1
	v_mov_b32_e32 v2, 0x480
	v_lshl_add_u32 v4, v1, 2, v2
	v_ashrrev_i32_e32 v1, 31, v0
	v_lshlrev_b64 v[2:3], 2, v[0:1]
	v_mov_b32_e32 v1, s19
	v_add_co_u32_e32 v2, vcc, s18, v2
	v_addc_co_u32_e32 v3, vcc, v1, v3, vcc
	s_mov_b64 s[0:1], 0
.LBB8_13:                               ; =>This Inner Loop Header: Depth=1
	global_load_dword v1, v[2:3], off
	v_add_co_u32_e32 v2, vcc, 0xc4, v2
	v_add_u32_e32 v0, 49, v0
	v_addc_co_u32_e32 v3, vcc, 0, v3, vcc
	v_cmp_lt_i32_e32 vcc, s30, v0
	s_or_b64 s[0:1], vcc, s[0:1]
	s_waitcnt vmcnt(0)
	v_subrev_u32_e32 v1, s13, v1
	ds_write_b32 v4, v1
	v_add_u32_e32 v4, 0xc4, v4
	s_andn2_b64 exec, exec, s[0:1]
	s_cbranch_execnz .LBB8_13
.LBB8_14:
	s_or_b64 exec, exec, s[2:3]
	s_load_dword s33, s[4:5], 0x0
	v_lshlrev_b32_e32 v0, 2, v12
	v_lshl_add_u32 v7, v13, 5, v0
	v_add_u32_e32 v6, 0x2a0, v7
	v_mov_b32_e32 v8, 0
	s_cmp_ge_i32 s31, s30
	v_mad_u32_u24 v1, v12, 7, v13
	ds_write_b32 v7, v8 offset:672
	s_waitcnt lgkmcnt(0)
	s_cbranch_scc1 .LBB8_68
; %bb.15:
	v_lshlrev_b32_e32 v3, 5, v13
	v_add_u32_e32 v10, 0x1c0, v3
	v_add_u32_e32 v17, 0xe0, v3
	s_cmp_eq_u32 s33, 0
	v_add_u32_e32 v11, v10, v0
	v_add_u32_e32 v16, v3, v0
	;; [unrolled: 1-line block ×3, first 2 shown]
	v_or_b32_e32 v0, v12, v13
	v_mad_u32_u24 v2, v12, 7, v13
	s_cselect_b64 vcc, -1, 0
	s_cmp_lg_u32 s33, 0
	v_cmp_ne_u32_e64 s[0:1], 0, v0
	v_mov_b32_e32 v0, 0x1c0
	s_cselect_b64 s[2:3], -1, 0
	v_mul_u32_u24_e32 v9, 7, v12
	v_lshl_add_u32 v19, v12, 5, v0
	v_cndmask_b32_e32 v0, v2, v14, vcc
	s_mov_b32 s4, s31
	s_branch .LBB8_19
.LBB8_16:                               ;   in Loop: Header=BB8_19 Depth=1
	s_or_b64 exec, exec, s[24:25]
	v_mov_b32_e32 v5, 1.0
.LBB8_17:                               ;   in Loop: Header=BB8_19 Depth=1
	s_or_b64 exec, exec, s[22:23]
	ds_read_b128 v[20:23], v8 offset:192
	ds_read_b32 v32, v17 offset:24
	ds_read_b128 v[24:27], v10
	ds_read_b64 v[28:29], v8 offset:208
	ds_read_b64 v[30:31], v10 offset:16
	s_add_i32 s4, s4, 1
	s_cmp_ge_i32 s4, s30
	s_waitcnt lgkmcnt(2)
	v_fmac_f32_e32 v32, v20, v24
	v_fmac_f32_e32 v32, v21, v25
	;; [unrolled: 1-line block ×4, first 2 shown]
	s_waitcnt lgkmcnt(0)
	v_fmac_f32_e32 v32, v28, v30
	v_fmac_f32_e32 v32, v29, v31
	v_sub_f32_e32 v4, v4, v32
	v_div_scale_f32 v20, s[22:23], v5, v5, v4
	v_rcp_f32_e32 v21, v20
	v_div_scale_f32 v22, vcc, v4, v5, v4
	s_cselect_b64 s[26:27], -1, 0
	v_fma_f32 v23, -v20, v21, 1.0
	v_fmac_f32_e32 v21, v23, v21
	v_mul_f32_e32 v23, v22, v21
	v_fma_f32 v24, -v20, v23, v22
	v_fmac_f32_e32 v23, v24, v21
	v_fma_f32 v20, -v20, v23, v22
	v_div_fmas_f32 v20, v20, v21, v23
	v_div_fixup_f32 v4, v20, v5, v4
	ds_write_b32 v10, v4 offset:24
	s_waitcnt lgkmcnt(0)
	ds_read_b32 v5, v19 offset:24
	ds_read_b32 v20, v6
	s_waitcnt lgkmcnt(0)
	v_fmac_f32_e32 v20, v4, v5
	ds_write_b32 v6, v20
	s_waitcnt lgkmcnt(0)
	ds_read_b32 v4, v11
	s_waitcnt lgkmcnt(0)
	global_store_dword v[2:3], v4, off
	s_waitcnt vmcnt(0)
	buffer_wbinvl1_vol
.LBB8_18:                               ;   in Loop: Header=BB8_19 Depth=1
	s_and_b64 vcc, exec, s[26:27]
	s_cbranch_vccnz .LBB8_68
.LBB8_19:                               ; =>This Loop Header: Depth=1
                                        ;     Child Loop BB8_22 Depth 2
                                        ;     Child Loop BB8_33 Depth 2
	s_ashr_i32 s5, s4, 31
	s_lshl_b64 s[22:23], s[4:5], 2
	s_add_u32 s22, s18, s22
	s_addc_u32 s23, s19, s23
	s_load_dword s5, s[22:23], 0x0
	s_waitcnt lgkmcnt(0)
	s_sub_i32 s24, s5, s13
	s_ashr_i32 s25, s24, 31
	s_lshl_b64 s[22:23], s[24:25], 2
	s_add_u32 s26, s8, s22
	s_addc_u32 s27, s9, s23
	s_load_dword s25, s[26:27], 0x0
	s_mov_b64 s[26:27], -1
	s_waitcnt lgkmcnt(0)
	s_cmp_eq_u32 s25, -1
	s_cbranch_scc1 .LBB8_18
; %bb.20:                               ;   in Loop: Header=BB8_19 Depth=1
	v_mad_u64_u32 v[2:3], s[26:27], s4, 49, v[0:1]
	v_ashrrev_i32_e32 v3, 31, v2
	v_lshlrev_b64 v[2:3], 2, v[2:3]
	v_mov_b32_e32 v4, s21
	v_add_co_u32_e32 v2, vcc, s20, v2
	v_addc_co_u32_e32 v3, vcc, v4, v3, vcc
	global_load_dword v4, v[2:3], off
	s_add_u32 s26, s16, s22
	s_addc_u32 s27, s17, s23
	s_load_dword s26, s[26:27], 0x0
	ds_read_b32 v5, v8 offset:1152
	s_mov_b32 s27, 0
	s_waitcnt lgkmcnt(0)
	s_sub_i32 s26, s26, s13
	s_cmp_le_i32 s26, s25
	v_cmp_ge_i32_e32 vcc, s24, v5
	s_cselect_b64 s[28:29], -1, 0
	s_and_b64 s[28:29], s[28:29], vcc
	s_andn2_b64 vcc, exec, s[28:29]
	s_waitcnt vmcnt(0)
	ds_write_b32 v11, v4
	s_cbranch_vccnz .LBB8_32
; %bb.21:                               ;   in Loop: Header=BB8_19 Depth=1
	s_mov_b32 s34, 0
	s_mov_b32 s35, 0
.LBB8_22:                               ;   Parent Loop BB8_19 Depth=1
                                        ; =>  This Inner Loop Header: Depth=2
	s_ashr_i32 s27, s26, 31
	s_lshl_b64 s[28:29], s[26:27], 2
	s_add_u32 s28, s18, s28
	s_addc_u32 s29, s19, s29
	s_load_dword s27, s[28:29], 0x0
	s_lshl_b32 s28, s35, 2
	v_mov_b32_e32 v4, s28
	ds_read_b32 v4, v4 offset:1152
	s_mov_b64 s[28:29], -1
	s_waitcnt lgkmcnt(0)
	s_sub_i32 s39, s27, s13
                                        ; implicit-def: $sgpr27
                                        ; implicit-def: $sgpr38
                                        ; implicit-def: $sgpr37
	v_cmp_ge_i32_e32 vcc, s39, v4
	v_readfirstlane_b32 s36, v4
	s_cbranch_vccz .LBB8_28
; %bb.23:                               ;   in Loop: Header=BB8_22 Depth=2
	s_cmp_le_i32 s39, s36
                                        ; implicit-def: $sgpr27
                                        ; implicit-def: $sgpr38
                                        ; implicit-def: $sgpr37
	s_cbranch_scc0 .LBB8_25
; %bb.24:                               ;   in Loop: Header=BB8_22 Depth=2
	s_add_i32 s27, s35, s31
	s_mul_i32 s27, s27, 49
	s_lshl_b32 s28, s34, 2
	v_mov_b32_e32 v4, s28
	v_mov_b32_e32 v5, s27
	s_mul_i32 s27, s26, 49
	v_mov_b32_e32 v20, s27
	v_add_u32_e32 v4, 0x200, v4
	ds_write2_b32 v4, v20, v5 offset0:96 offset1:128
	s_add_i32 s37, s35, 1
	s_add_i32 s38, s26, 1
	;; [unrolled: 1-line block ×3, first 2 shown]
	s_mov_b64 s[28:29], 0
.LBB8_25:                               ;   in Loop: Header=BB8_22 Depth=2
	s_andn2_b64 vcc, exec, s[28:29]
	s_cbranch_vccnz .LBB8_27
; %bb.26:                               ;   in Loop: Header=BB8_22 Depth=2
	s_add_i32 s37, s35, 1
	s_mov_b32 s27, s34
	s_mov_b32 s38, s26
.LBB8_27:                               ;   in Loop: Header=BB8_22 Depth=2
	s_mov_b64 s[28:29], 0
.LBB8_28:                               ;   in Loop: Header=BB8_22 Depth=2
	s_andn2_b64 vcc, exec, s[28:29]
	s_cbranch_vccnz .LBB8_30
; %bb.29:                               ;   in Loop: Header=BB8_22 Depth=2
	s_add_i32 s38, s26, 1
	s_mov_b32 s37, s35
	s_mov_b32 s27, s34
.LBB8_30:                               ;   in Loop: Header=BB8_22 Depth=2
	s_cmp_le_i32 s38, s25
	s_cselect_b64 s[28:29], -1, 0
	s_cmp_le_i32 s36, s24
	s_cselect_b64 s[34:35], -1, 0
	s_and_b64 s[28:29], s[28:29], s[34:35]
	s_and_b64 vcc, exec, s[28:29]
	s_cbranch_vccz .LBB8_32
; %bb.31:                               ;   in Loop: Header=BB8_22 Depth=2
	s_mov_b32 s34, s27
	s_mov_b32 s26, s38
	;; [unrolled: 1-line block ×3, first 2 shown]
	s_branch .LBB8_22
.LBB8_32:                               ;   in Loop: Header=BB8_19 Depth=1
	s_add_u32 s22, s10, s22
	s_addc_u32 s23, s11, s23
	s_waitcnt lgkmcnt(0)
.LBB8_33:                               ;   Parent Loop BB8_19 Depth=1
                                        ; =>  This Inner Loop Header: Depth=2
	global_load_dword v4, v8, s[22:23] glc
	s_waitcnt vmcnt(0)
	v_cmp_eq_u32_e32 vcc, 0, v4
	s_cbranch_vccnz .LBB8_33
; %bb.34:                               ;   in Loop: Header=BB8_19 Depth=1
	v_mad_u64_u32 v[4:5], s[22:23], s25, 49, v[0:1]
	v_ashrrev_i32_e32 v5, 31, v4
	v_lshlrev_b64 v[4:5], 2, v[4:5]
	v_mov_b32_e32 v20, s21
	v_add_co_u32_e32 v4, vcc, s20, v4
	v_addc_co_u32_e32 v5, vcc, v20, v5, vcc
	buffer_wbinvl1_vol
	global_load_dword v4, v[4:5], off
	s_cmp_lt_i32 s27, 2
	v_mov_b32_e32 v21, 0
	s_waitcnt vmcnt(0)
	ds_write_b32 v16, v4
	s_waitcnt lgkmcnt(0)
	s_cbranch_scc1 .LBB8_41
; %bb.35:                               ;   in Loop: Header=BB8_19 Depth=1
	s_add_i32 s24, s27, -1
	s_movk_i32 s25, 0x380
	v_mov_b32_e32 v20, 0
	v_mov_b32_e32 v4, s25
	ds_read2_b32 v[4:5], v4 offset1:32
	s_and_b64 vcc, exec, s[2:3]
	s_cbranch_vccz .LBB8_37
.LBB8_36:                               ;   in Loop: Header=BB8_19 Depth=1
	s_waitcnt lgkmcnt(0)
	v_add_u32_e32 v22, v4, v12
	v_ashrrev_i32_e32 v23, 31, v22
	v_lshlrev_b64 v[24:25], 2, v[22:23]
	v_add_u32_e32 v26, v5, v13
	v_mov_b32_e32 v21, s21
	v_add_co_u32_e32 v24, vcc, s20, v24
	v_ashrrev_i32_e32 v27, 31, v26
	v_addc_co_u32_e32 v25, vcc, v21, v25, vcc
	v_lshlrev_b64 v[28:29], 2, v[26:27]
	v_add_u32_e32 v30, 7, v22
	v_add_co_u32_e32 v28, vcc, s20, v28
	v_ashrrev_i32_e32 v31, 31, v30
	v_addc_co_u32_e32 v29, vcc, v21, v29, vcc
	v_lshlrev_b64 v[30:31], 2, v[30:31]
	v_add_u32_e32 v32, 7, v26
	;; [unrolled: 5-line block ×6, first 2 shown]
	v_add_co_u32_e32 v38, vcc, s20, v38
	v_ashrrev_i32_e32 v41, 31, v40
	v_addc_co_u32_e32 v39, vcc, v21, v39, vcc
	v_lshlrev_b64 v[40:41], 2, v[40:41]
	v_add_co_u32_e32 v40, vcc, s20, v40
	v_addc_co_u32_e32 v41, vcc, v21, v41, vcc
	global_load_dword v42, v[24:25], off
	global_load_dword v43, v[28:29], off
	global_load_dword v44, v[30:31], off
	global_load_dword v45, v[32:33], off
	global_load_dword v46, v[34:35], off
	global_load_dword v47, v[36:37], off
	global_load_dword v48, v[38:39], off
	global_load_dword v49, v[40:41], off
	v_add_u32_e32 v24, 28, v22
	v_ashrrev_i32_e32 v25, 31, v24
	v_lshlrev_b64 v[24:25], 2, v[24:25]
	v_add_u32_e32 v28, 28, v26
	v_add_co_u32_e32 v24, vcc, s20, v24
	v_ashrrev_i32_e32 v29, 31, v28
	v_addc_co_u32_e32 v25, vcc, v21, v25, vcc
	v_lshlrev_b64 v[28:29], 2, v[28:29]
	v_add_u32_e32 v30, 35, v22
	v_add_co_u32_e32 v28, vcc, s20, v28
	v_ashrrev_i32_e32 v31, 31, v30
	v_addc_co_u32_e32 v29, vcc, v21, v29, vcc
	;; [unrolled: 5-line block ×5, first 2 shown]
	v_lshlrev_b64 v[26:27], 2, v[26:27]
	v_add_co_u32_e32 v26, vcc, s20, v26
	v_addc_co_u32_e32 v27, vcc, v21, v27, vcc
	global_load_dword v34, v[24:25], off
	global_load_dword v35, v[28:29], off
	;; [unrolled: 1-line block ×6, first 2 shown]
	s_waitcnt vmcnt(12)
	v_fma_f32 v21, v42, v43, v20
	s_waitcnt vmcnt(10)
	v_fmac_f32_e32 v21, v44, v45
	s_waitcnt vmcnt(8)
	v_fmac_f32_e32 v21, v46, v47
	;; [unrolled: 2-line block ×6, first 2 shown]
	s_cbranch_execz .LBB8_38
	s_branch .LBB8_39
.LBB8_37:                               ;   in Loop: Header=BB8_19 Depth=1
                                        ; implicit-def: $vgpr21
.LBB8_38:                               ;   in Loop: Header=BB8_19 Depth=1
	s_waitcnt lgkmcnt(0)
	v_add_u32_e32 v22, v4, v9
	v_ashrrev_i32_e32 v23, 31, v22
	v_lshlrev_b64 v[22:23], 2, v[22:23]
	v_add_u32_e32 v4, v5, v15
	v_mov_b32_e32 v21, s21
	v_add_co_u32_e32 v38, vcc, s20, v22
	v_ashrrev_i32_e32 v5, 31, v4
	v_addc_co_u32_e32 v39, vcc, v21, v23, vcc
	v_lshlrev_b64 v[4:5], 2, v[4:5]
	global_load_dwordx4 v[22:25], v[38:39], off
	v_add_co_u32_e32 v4, vcc, s20, v4
	v_addc_co_u32_e32 v5, vcc, v21, v5, vcc
	global_load_dwordx4 v[26:29], v[4:5], off
	global_load_dwordx3 v[30:32], v[38:39], off offset:16
	global_load_dwordx3 v[34:36], v[4:5], off offset:16
	s_waitcnt vmcnt(2)
	v_fmac_f32_e32 v20, v22, v26
	v_fmac_f32_e32 v20, v23, v27
	;; [unrolled: 1-line block ×4, first 2 shown]
	s_waitcnt vmcnt(0)
	v_fmac_f32_e32 v20, v30, v34
	v_fmac_f32_e32 v20, v31, v35
	;; [unrolled: 1-line block ×3, first 2 shown]
	v_mov_b32_e32 v21, v20
.LBB8_39:                               ;   in Loop: Header=BB8_19 Depth=1
	s_add_i32 s24, s24, -1
	s_add_i32 s25, s25, 4
	s_cmp_eq_u32 s24, 0
	s_cbranch_scc1 .LBB8_41
; %bb.40:                               ;   in Loop: Header=BB8_19 Depth=1
	v_mov_b32_e32 v20, v21
	s_waitcnt lgkmcnt(0)
	v_mov_b32_e32 v4, s25
	ds_read2_b32 v[4:5], v4 offset1:32
	s_and_b64 vcc, exec, s[2:3]
	s_cbranch_vccz .LBB8_37
	s_branch .LBB8_36
.LBB8_41:                               ;   in Loop: Header=BB8_19 Depth=1
	ds_write_b32 v18, v21
	s_waitcnt lgkmcnt(0)
	ds_read_b32 v5, v8
	ds_read_b32 v4, v10
	s_waitcnt lgkmcnt(1)
	v_cmp_neq_f32_e32 vcc, 0, v5
	s_or_b64 s[22:23], vcc, s[0:1]
	v_cndmask_b32_e32 v5, 1.0, v5, vcc
	s_xor_b64 s[24:25], s[22:23], -1
	s_and_saveexec_b64 s[22:23], s[24:25]
	s_cbranch_execz .LBB8_45
; %bb.42:                               ;   in Loop: Header=BB8_19 Depth=1
	v_mbcnt_lo_u32_b32 v5, exec_lo, 0
	v_mbcnt_hi_u32_b32 v5, exec_hi, v5
	v_cmp_eq_u32_e32 vcc, 0, v5
	s_and_saveexec_b64 s[24:25], vcc
	s_cbranch_execz .LBB8_44
; %bb.43:                               ;   in Loop: Header=BB8_19 Depth=1
	v_mov_b32_e32 v5, s5
	global_atomic_smin v8, v5, s[14:15]
.LBB8_44:                               ;   in Loop: Header=BB8_19 Depth=1
	s_or_b64 exec, exec, s[24:25]
	v_mov_b32_e32 v5, 1.0
.LBB8_45:                               ;   in Loop: Header=BB8_19 Depth=1
	s_or_b64 exec, exec, s[22:23]
	ds_read_b32 v20, v17
	s_waitcnt lgkmcnt(0)
	v_sub_f32_e32 v4, v4, v20
	v_div_scale_f32 v20, s[22:23], v5, v5, v4
	v_rcp_f32_e32 v21, v20
	v_div_scale_f32 v22, vcc, v4, v5, v4
	v_fma_f32 v23, -v20, v21, 1.0
	v_fmac_f32_e32 v21, v23, v21
	v_mul_f32_e32 v23, v22, v21
	v_fma_f32 v24, -v20, v23, v22
	v_fmac_f32_e32 v23, v24, v21
	v_fma_f32 v20, -v20, v23, v22
	v_div_fmas_f32 v20, v20, v21, v23
	v_div_fixup_f32 v4, v20, v5, v4
	ds_write_b32 v10, v4
	s_waitcnt lgkmcnt(0)
	ds_read_b32 v5, v19
	ds_read_b32 v20, v6
	s_waitcnt lgkmcnt(0)
	v_fmac_f32_e32 v20, v4, v5
	ds_write_b32 v6, v20
	s_waitcnt lgkmcnt(0)
	ds_read_b32 v5, v8 offset:36
	ds_read_b32 v4, v10 offset:4
	s_waitcnt lgkmcnt(1)
	v_cmp_neq_f32_e32 vcc, 0, v5
	s_or_b64 s[22:23], vcc, s[0:1]
	v_cndmask_b32_e32 v5, 1.0, v5, vcc
	s_xor_b64 s[24:25], s[22:23], -1
	s_and_saveexec_b64 s[22:23], s[24:25]
	s_cbranch_execz .LBB8_49
; %bb.46:                               ;   in Loop: Header=BB8_19 Depth=1
	v_mbcnt_lo_u32_b32 v5, exec_lo, 0
	v_mbcnt_hi_u32_b32 v5, exec_hi, v5
	v_cmp_eq_u32_e32 vcc, 0, v5
	s_and_saveexec_b64 s[24:25], vcc
	s_cbranch_execz .LBB8_48
; %bb.47:                               ;   in Loop: Header=BB8_19 Depth=1
	v_mov_b32_e32 v5, s5
	global_atomic_smin v8, v5, s[14:15]
.LBB8_48:                               ;   in Loop: Header=BB8_19 Depth=1
	s_or_b64 exec, exec, s[24:25]
	v_mov_b32_e32 v5, 1.0
.LBB8_49:                               ;   in Loop: Header=BB8_19 Depth=1
	s_or_b64 exec, exec, s[22:23]
	ds_read_b32 v20, v10
	ds_read_b32 v21, v8 offset:32
	ds_read_b32 v22, v17 offset:4
	s_waitcnt lgkmcnt(0)
	v_fmac_f32_e32 v22, v21, v20
	v_sub_f32_e32 v4, v4, v22
	v_div_scale_f32 v20, s[22:23], v5, v5, v4
	v_rcp_f32_e32 v21, v20
	v_div_scale_f32 v22, vcc, v4, v5, v4
	v_fma_f32 v23, -v20, v21, 1.0
	v_fmac_f32_e32 v21, v23, v21
	v_mul_f32_e32 v23, v22, v21
	v_fma_f32 v24, -v20, v23, v22
	v_fmac_f32_e32 v23, v24, v21
	v_fma_f32 v20, -v20, v23, v22
	v_div_fmas_f32 v20, v20, v21, v23
	v_div_fixup_f32 v4, v20, v5, v4
	ds_write_b32 v10, v4 offset:4
	s_waitcnt lgkmcnt(0)
	ds_read_b32 v5, v19 offset:4
	ds_read_b32 v20, v6
	s_waitcnt lgkmcnt(0)
	v_fmac_f32_e32 v20, v4, v5
	ds_write_b32 v6, v20
	s_waitcnt lgkmcnt(0)
	ds_read_b32 v5, v8 offset:72
	ds_read_b32 v4, v10 offset:8
	s_waitcnt lgkmcnt(1)
	v_cmp_neq_f32_e32 vcc, 0, v5
	s_or_b64 s[22:23], vcc, s[0:1]
	v_cndmask_b32_e32 v5, 1.0, v5, vcc
	s_xor_b64 s[24:25], s[22:23], -1
	s_and_saveexec_b64 s[22:23], s[24:25]
	s_cbranch_execz .LBB8_53
; %bb.50:                               ;   in Loop: Header=BB8_19 Depth=1
	v_mbcnt_lo_u32_b32 v5, exec_lo, 0
	v_mbcnt_hi_u32_b32 v5, exec_hi, v5
	v_cmp_eq_u32_e32 vcc, 0, v5
	s_and_saveexec_b64 s[24:25], vcc
	s_cbranch_execz .LBB8_52
; %bb.51:                               ;   in Loop: Header=BB8_19 Depth=1
	v_mov_b32_e32 v5, s5
	global_atomic_smin v8, v5, s[14:15]
.LBB8_52:                               ;   in Loop: Header=BB8_19 Depth=1
	s_or_b64 exec, exec, s[24:25]
	v_mov_b32_e32 v5, 1.0
.LBB8_53:                               ;   in Loop: Header=BB8_19 Depth=1
	s_or_b64 exec, exec, s[22:23]
	ds_read_b64 v[20:21], v10
	ds_read_b64 v[22:23], v8 offset:64
	ds_read_b32 v24, v17 offset:8
	s_waitcnt lgkmcnt(0)
	v_fmac_f32_e32 v24, v22, v20
	v_fmac_f32_e32 v24, v23, v21
	v_sub_f32_e32 v4, v4, v24
	v_div_scale_f32 v20, s[22:23], v5, v5, v4
	v_rcp_f32_e32 v21, v20
	v_div_scale_f32 v22, vcc, v4, v5, v4
	v_fma_f32 v23, -v20, v21, 1.0
	v_fmac_f32_e32 v21, v23, v21
	v_mul_f32_e32 v23, v22, v21
	v_fma_f32 v24, -v20, v23, v22
	v_fmac_f32_e32 v23, v24, v21
	v_fma_f32 v20, -v20, v23, v22
	v_div_fmas_f32 v20, v20, v21, v23
	v_div_fixup_f32 v4, v20, v5, v4
	ds_write_b32 v10, v4 offset:8
	s_waitcnt lgkmcnt(0)
	ds_read_b32 v5, v19 offset:8
	ds_read_b32 v20, v6
	s_waitcnt lgkmcnt(0)
	v_fmac_f32_e32 v20, v4, v5
	ds_write_b32 v6, v20
	s_waitcnt lgkmcnt(0)
	ds_read_b32 v5, v8 offset:108
	ds_read_b32 v4, v10 offset:12
	s_waitcnt lgkmcnt(1)
	v_cmp_neq_f32_e32 vcc, 0, v5
	s_or_b64 s[22:23], vcc, s[0:1]
	v_cndmask_b32_e32 v5, 1.0, v5, vcc
	s_xor_b64 s[24:25], s[22:23], -1
	s_and_saveexec_b64 s[22:23], s[24:25]
	s_cbranch_execz .LBB8_57
; %bb.54:                               ;   in Loop: Header=BB8_19 Depth=1
	v_mbcnt_lo_u32_b32 v5, exec_lo, 0
	v_mbcnt_hi_u32_b32 v5, exec_hi, v5
	v_cmp_eq_u32_e32 vcc, 0, v5
	s_and_saveexec_b64 s[24:25], vcc
	s_cbranch_execz .LBB8_56
; %bb.55:                               ;   in Loop: Header=BB8_19 Depth=1
	v_mov_b32_e32 v5, s5
	global_atomic_smin v8, v5, s[14:15]
.LBB8_56:                               ;   in Loop: Header=BB8_19 Depth=1
	s_or_b64 exec, exec, s[24:25]
	v_mov_b32_e32 v5, 1.0
.LBB8_57:                               ;   in Loop: Header=BB8_19 Depth=1
	s_or_b64 exec, exec, s[22:23]
	ds_read_b96 v[20:22], v8 offset:96
	ds_read_b96 v[24:26], v10
	ds_read_b32 v23, v17 offset:12
	s_waitcnt lgkmcnt(0)
	v_fmac_f32_e32 v23, v20, v24
	v_fmac_f32_e32 v23, v21, v25
	;; [unrolled: 1-line block ×3, first 2 shown]
	v_sub_f32_e32 v4, v4, v23
	v_div_scale_f32 v20, s[22:23], v5, v5, v4
	v_rcp_f32_e32 v21, v20
	v_div_scale_f32 v22, vcc, v4, v5, v4
	v_fma_f32 v23, -v20, v21, 1.0
	v_fmac_f32_e32 v21, v23, v21
	v_mul_f32_e32 v23, v22, v21
	v_fma_f32 v24, -v20, v23, v22
	v_fmac_f32_e32 v23, v24, v21
	v_fma_f32 v20, -v20, v23, v22
	v_div_fmas_f32 v20, v20, v21, v23
	v_div_fixup_f32 v4, v20, v5, v4
	ds_write_b32 v10, v4 offset:12
	s_waitcnt lgkmcnt(0)
	ds_read_b32 v5, v19 offset:12
	ds_read_b32 v20, v6
	s_waitcnt lgkmcnt(0)
	v_fmac_f32_e32 v20, v4, v5
	ds_write_b32 v6, v20
	s_waitcnt lgkmcnt(0)
	ds_read_b32 v5, v8 offset:144
	ds_read_b32 v4, v10 offset:16
	s_waitcnt lgkmcnt(1)
	v_cmp_neq_f32_e32 vcc, 0, v5
	s_or_b64 s[22:23], vcc, s[0:1]
	v_cndmask_b32_e32 v5, 1.0, v5, vcc
	s_xor_b64 s[24:25], s[22:23], -1
	s_and_saveexec_b64 s[22:23], s[24:25]
	s_cbranch_execz .LBB8_61
; %bb.58:                               ;   in Loop: Header=BB8_19 Depth=1
	v_mbcnt_lo_u32_b32 v5, exec_lo, 0
	v_mbcnt_hi_u32_b32 v5, exec_hi, v5
	v_cmp_eq_u32_e32 vcc, 0, v5
	s_and_saveexec_b64 s[24:25], vcc
	s_cbranch_execz .LBB8_60
; %bb.59:                               ;   in Loop: Header=BB8_19 Depth=1
	v_mov_b32_e32 v5, s5
	global_atomic_smin v8, v5, s[14:15]
.LBB8_60:                               ;   in Loop: Header=BB8_19 Depth=1
	s_or_b64 exec, exec, s[24:25]
	v_mov_b32_e32 v5, 1.0
.LBB8_61:                               ;   in Loop: Header=BB8_19 Depth=1
	s_or_b64 exec, exec, s[22:23]
	ds_read_b128 v[20:23], v8 offset:128
	ds_read_b128 v[24:27], v10
	ds_read_b32 v28, v17 offset:16
	s_waitcnt lgkmcnt(0)
	v_fmac_f32_e32 v28, v20, v24
	v_fmac_f32_e32 v28, v21, v25
	;; [unrolled: 1-line block ×4, first 2 shown]
	v_sub_f32_e32 v4, v4, v28
	v_div_scale_f32 v20, s[22:23], v5, v5, v4
	v_rcp_f32_e32 v21, v20
	v_div_scale_f32 v22, vcc, v4, v5, v4
	v_fma_f32 v23, -v20, v21, 1.0
	v_fmac_f32_e32 v21, v23, v21
	v_mul_f32_e32 v23, v22, v21
	v_fma_f32 v24, -v20, v23, v22
	v_fmac_f32_e32 v23, v24, v21
	v_fma_f32 v20, -v20, v23, v22
	v_div_fmas_f32 v20, v20, v21, v23
	v_div_fixup_f32 v4, v20, v5, v4
	ds_write_b32 v10, v4 offset:16
	s_waitcnt lgkmcnt(0)
	ds_read_b32 v5, v19 offset:16
	ds_read_b32 v20, v6
	s_waitcnt lgkmcnt(0)
	v_fmac_f32_e32 v20, v4, v5
	ds_write_b32 v6, v20
	s_waitcnt lgkmcnt(0)
	ds_read_b32 v5, v8 offset:180
	ds_read_b32 v4, v10 offset:20
	s_waitcnt lgkmcnt(1)
	v_cmp_neq_f32_e32 vcc, 0, v5
	s_or_b64 s[22:23], vcc, s[0:1]
	v_cndmask_b32_e32 v5, 1.0, v5, vcc
	s_xor_b64 s[24:25], s[22:23], -1
	s_and_saveexec_b64 s[22:23], s[24:25]
	s_cbranch_execz .LBB8_65
; %bb.62:                               ;   in Loop: Header=BB8_19 Depth=1
	v_mbcnt_lo_u32_b32 v5, exec_lo, 0
	v_mbcnt_hi_u32_b32 v5, exec_hi, v5
	v_cmp_eq_u32_e32 vcc, 0, v5
	s_and_saveexec_b64 s[24:25], vcc
	s_cbranch_execz .LBB8_64
; %bb.63:                               ;   in Loop: Header=BB8_19 Depth=1
	v_mov_b32_e32 v5, s5
	global_atomic_smin v8, v5, s[14:15]
.LBB8_64:                               ;   in Loop: Header=BB8_19 Depth=1
	s_or_b64 exec, exec, s[24:25]
	v_mov_b32_e32 v5, 1.0
.LBB8_65:                               ;   in Loop: Header=BB8_19 Depth=1
	s_or_b64 exec, exec, s[22:23]
	ds_read_b128 v[20:23], v8 offset:160
	ds_read_b32 v28, v17 offset:20
	ds_read_b128 v[24:27], v10
	ds_read_b32 v29, v10 offset:16
	ds_read_b32 v30, v8 offset:176
	s_waitcnt lgkmcnt(2)
	v_fmac_f32_e32 v28, v20, v24
	v_fmac_f32_e32 v28, v21, v25
	;; [unrolled: 1-line block ×4, first 2 shown]
	s_waitcnt lgkmcnt(0)
	v_fmac_f32_e32 v28, v30, v29
	v_sub_f32_e32 v4, v4, v28
	v_div_scale_f32 v20, s[22:23], v5, v5, v4
	v_rcp_f32_e32 v21, v20
	v_div_scale_f32 v22, vcc, v4, v5, v4
	v_fma_f32 v23, -v20, v21, 1.0
	v_fmac_f32_e32 v21, v23, v21
	v_mul_f32_e32 v23, v22, v21
	v_fma_f32 v24, -v20, v23, v22
	v_fmac_f32_e32 v23, v24, v21
	v_fma_f32 v20, -v20, v23, v22
	v_div_fmas_f32 v20, v20, v21, v23
	v_div_fixup_f32 v4, v20, v5, v4
	ds_write_b32 v10, v4 offset:20
	s_waitcnt lgkmcnt(0)
	ds_read_b32 v5, v19 offset:20
	ds_read_b32 v20, v6
	s_waitcnt lgkmcnt(0)
	v_fmac_f32_e32 v20, v4, v5
	ds_write_b32 v6, v20
	s_waitcnt lgkmcnt(0)
	ds_read_b32 v5, v8 offset:216
	ds_read_b32 v4, v10 offset:24
	s_waitcnt lgkmcnt(1)
	v_cmp_neq_f32_e32 vcc, 0, v5
	s_or_b64 s[22:23], vcc, s[0:1]
	v_cndmask_b32_e32 v5, 1.0, v5, vcc
	s_xor_b64 s[24:25], s[22:23], -1
	s_and_saveexec_b64 s[22:23], s[24:25]
	s_cbranch_execz .LBB8_17
; %bb.66:                               ;   in Loop: Header=BB8_19 Depth=1
	v_mbcnt_lo_u32_b32 v5, exec_lo, 0
	v_mbcnt_hi_u32_b32 v5, exec_hi, v5
	v_cmp_eq_u32_e32 vcc, 0, v5
	s_and_saveexec_b64 s[24:25], vcc
	s_cbranch_execz .LBB8_16
; %bb.67:                               ;   in Loop: Header=BB8_19 Depth=1
	v_mov_b32_e32 v5, s5
	global_atomic_smin v8, v5, s[14:15]
	s_branch .LBB8_16
.LBB8_68:
	s_cmp_lg_u32 s33, 0
	s_cselect_b64 s[4:5], -1, 0
	s_cmp_eq_u32 s33, 0
	v_mov_b32_e32 v0, v14
	s_cbranch_scc1 .LBB8_70
; %bb.69:
	v_mad_u32_u24 v0, v12, 7, v13
.LBB8_70:
	s_mul_i32 s30, s30, 49
	v_add_u32_e32 v2, s30, v0
	v_ashrrev_i32_e32 v3, 31, v2
	v_lshlrev_b64 v[2:3], 2, v[2:3]
	v_mov_b32_e32 v0, s21
	v_add_co_u32_e32 v2, vcc, s20, v2
	v_addc_co_u32_e32 v3, vcc, v0, v3, vcc
	global_load_dword v0, v[2:3], off
	v_cmp_ne_u32_e32 vcc, 0, v13
	v_cmp_eq_u32_e64 s[0:1], 0, v13
	s_waitcnt vmcnt(0)
	ds_write_b32 v7, v0 offset:448
	s_waitcnt lgkmcnt(0)
	s_and_saveexec_b64 s[8:9], s[0:1]
	s_cbranch_execz .LBB8_72
; %bb.71:
	v_mov_b32_e32 v0, 0
	ds_read2_b32 v[2:3], v0 offset0:112 offset1:168
	s_mov_b32 s2, 0xf800000
	s_waitcnt lgkmcnt(0)
	v_sub_f32_e32 v2, v2, v3
	v_cmp_gt_f32_e64 s[0:1], 0, v2
	v_cndmask_b32_e64 v2, v2, -v2, s[0:1]
	v_mul_f32_e32 v3, 0x4f800000, v2
	v_cmp_gt_f32_e64 s[0:1], s2, v2
	v_cndmask_b32_e64 v2, v2, v3, s[0:1]
	v_sqrt_f32_e32 v3, v2
	v_add_u32_e32 v4, -1, v3
	v_add_u32_e32 v5, 1, v3
	v_fma_f32 v8, -v4, v3, v2
	v_fma_f32 v9, -v5, v3, v2
	v_cmp_ge_f32_e64 s[2:3], 0, v8
	v_cndmask_b32_e64 v3, v3, v4, s[2:3]
	v_cmp_lt_f32_e64 s[2:3], 0, v9
	v_cndmask_b32_e64 v3, v3, v5, s[2:3]
	v_mul_f32_e32 v4, 0x37800000, v3
	v_cndmask_b32_e64 v3, v3, v4, s[0:1]
	v_mov_b32_e32 v4, 0x260
	v_cmp_class_f32_e64 s[0:1], v2, v4
	v_cndmask_b32_e64 v2, v3, v2, s[0:1]
	ds_write_b32 v0, v2 offset:448
.LBB8_72:
	s_or_b64 exec, exec, s[8:9]
	v_mov_b32_e32 v0, 0
	s_waitcnt lgkmcnt(0)
	ds_read_b32 v2, v0 offset:448
	v_or_b32_e32 v0, v12, v13
	v_cmp_ne_u32_e64 s[0:1], 0, v0
	s_add_i32 s18, s12, s13
	s_waitcnt lgkmcnt(0)
	v_cmp_neq_f32_e64 s[2:3], 0, v2
	v_cndmask_b32_e64 v2, 1.0, v2, s[2:3]
	s_or_b64 s[2:3], s[2:3], s[0:1]
	s_xor_b64 s[2:3], s[2:3], -1
	s_and_saveexec_b64 s[8:9], s[2:3]
	s_cbranch_execz .LBB8_76
; %bb.73:
	v_mbcnt_lo_u32_b32 v2, exec_lo, 0
	v_mbcnt_hi_u32_b32 v2, exec_hi, v2
	v_cmp_eq_u32_e64 s[2:3], 0, v2
	s_and_saveexec_b64 s[16:17], s[2:3]
	s_cbranch_execz .LBB8_75
; %bb.74:
	v_mov_b32_e32 v2, 0
	v_mov_b32_e32 v3, s18
	global_atomic_smin v2, v3, s[14:15]
.LBB8_75:
	s_or_b64 exec, exec, s[16:17]
	v_mov_b32_e32 v2, 1.0
.LBB8_76:
	s_or_b64 exec, exec, s[8:9]
	s_and_saveexec_b64 s[2:3], vcc
	s_cbranch_execz .LBB8_78
; %bb.77:
	v_lshlrev_b32_e32 v3, 5, v13
	ds_read2_b32 v[4:5], v3 offset0:112 offset1:168
	v_lshlrev_b32_e32 v9, 5, v12
	s_waitcnt lgkmcnt(0)
	v_sub_f32_e32 v4, v4, v5
	v_div_scale_f32 v5, s[8:9], v2, v2, v4
	v_rcp_f32_e32 v8, v5
	v_div_scale_f32 v10, vcc, v4, v2, v4
	v_fma_f32 v11, -v5, v8, 1.0
	v_fmac_f32_e32 v8, v11, v8
	v_mul_f32_e32 v11, v10, v8
	v_fma_f32 v15, -v5, v11, v10
	v_fmac_f32_e32 v11, v15, v8
	v_fma_f32 v5, -v5, v11, v10
	v_div_fmas_f32 v5, v5, v8, v11
	v_div_fixup_f32 v2, v5, v2, v4
	ds_write_b32 v3, v2 offset:448
	s_waitcnt lgkmcnt(0)
	ds_read_b32 v3, v9 offset:448
	ds_read_b32 v4, v6
	s_waitcnt lgkmcnt(0)
	v_fmac_f32_e32 v4, v2, v3
	ds_write_b32 v6, v4
.LBB8_78:
	s_or_b64 exec, exec, s[2:3]
	v_cmp_eq_u32_e32 vcc, 1, v13
	s_waitcnt lgkmcnt(0)
	s_and_saveexec_b64 s[8:9], vcc
	s_cbranch_execz .LBB8_80
; %bb.79:
	v_mov_b32_e32 v4, 0
	ds_read2_b32 v[2:3], v4 offset0:121 offset1:177
	s_mov_b32 s2, 0xf800000
	s_waitcnt lgkmcnt(0)
	v_sub_f32_e32 v2, v2, v3
	v_cmp_gt_f32_e32 vcc, 0, v2
	v_cndmask_b32_e64 v2, v2, -v2, vcc
	v_mul_f32_e32 v3, 0x4f800000, v2
	v_cmp_gt_f32_e32 vcc, s2, v2
	v_cndmask_b32_e32 v2, v2, v3, vcc
	v_sqrt_f32_e32 v3, v2
	v_add_u32_e32 v5, -1, v3
	v_add_u32_e32 v8, 1, v3
	v_fma_f32 v9, -v5, v3, v2
	v_fma_f32 v10, -v8, v3, v2
	v_cmp_ge_f32_e64 s[2:3], 0, v9
	v_cndmask_b32_e64 v3, v3, v5, s[2:3]
	v_cmp_lt_f32_e64 s[2:3], 0, v10
	v_cndmask_b32_e64 v3, v3, v8, s[2:3]
	v_mul_f32_e32 v5, 0x37800000, v3
	v_cndmask_b32_e32 v3, v3, v5, vcc
	v_mov_b32_e32 v5, 0x260
	v_cmp_class_f32_e32 vcc, v2, v5
	v_cndmask_b32_e32 v2, v3, v2, vcc
	ds_write_b32 v4, v2 offset:484
.LBB8_80:
	s_or_b64 exec, exec, s[8:9]
	v_mov_b32_e32 v2, 0
	s_waitcnt lgkmcnt(0)
	ds_read_b32 v2, v2 offset:484
	s_waitcnt lgkmcnt(0)
	v_cmp_neq_f32_e32 vcc, 0, v2
	s_or_b64 s[2:3], vcc, s[0:1]
	v_cndmask_b32_e32 v2, 1.0, v2, vcc
	s_xor_b64 s[8:9], s[2:3], -1
	s_and_saveexec_b64 s[2:3], s[8:9]
	s_cbranch_execz .LBB8_84
; %bb.81:
	v_mbcnt_lo_u32_b32 v2, exec_lo, 0
	v_mbcnt_hi_u32_b32 v2, exec_hi, v2
	v_cmp_eq_u32_e32 vcc, 0, v2
	s_and_saveexec_b64 s[8:9], vcc
	s_cbranch_execz .LBB8_83
; %bb.82:
	v_mov_b32_e32 v2, 0
	v_mov_b32_e32 v3, s18
	global_atomic_smin v2, v3, s[14:15]
.LBB8_83:
	s_or_b64 exec, exec, s[8:9]
	v_mov_b32_e32 v2, 1.0
.LBB8_84:
	s_or_b64 exec, exec, s[2:3]
	v_cmp_lt_u32_e32 vcc, 1, v13
	s_and_saveexec_b64 s[2:3], vcc
	s_cbranch_execz .LBB8_86
; %bb.85:
	v_lshlrev_b32_e32 v3, 5, v13
	ds_read2_b32 v[4:5], v3 offset0:113 offset1:169
	v_lshlrev_b32_e32 v9, 5, v12
	s_waitcnt lgkmcnt(0)
	v_sub_f32_e32 v4, v4, v5
	v_div_scale_f32 v5, s[8:9], v2, v2, v4
	v_rcp_f32_e32 v8, v5
	v_div_scale_f32 v10, vcc, v4, v2, v4
	v_fma_f32 v11, -v5, v8, 1.0
	v_fmac_f32_e32 v8, v11, v8
	v_mul_f32_e32 v11, v10, v8
	v_fma_f32 v15, -v5, v11, v10
	v_fmac_f32_e32 v11, v15, v8
	v_fma_f32 v5, -v5, v11, v10
	v_div_fmas_f32 v5, v5, v8, v11
	v_div_fixup_f32 v2, v5, v2, v4
	ds_write_b32 v3, v2 offset:452
	s_waitcnt lgkmcnt(0)
	ds_read_b32 v3, v9 offset:452
	ds_read_b32 v4, v6
	s_waitcnt lgkmcnt(0)
	v_fmac_f32_e32 v4, v2, v3
	ds_write_b32 v6, v4
.LBB8_86:
	s_or_b64 exec, exec, s[2:3]
	v_cmp_eq_u32_e32 vcc, 2, v13
	s_waitcnt lgkmcnt(0)
	s_and_saveexec_b64 s[8:9], vcc
	s_cbranch_execz .LBB8_88
; %bb.87:
	v_mov_b32_e32 v4, 0
	ds_read2_b32 v[2:3], v4 offset0:130 offset1:186
	s_mov_b32 s2, 0xf800000
	s_waitcnt lgkmcnt(0)
	v_sub_f32_e32 v2, v2, v3
	v_cmp_gt_f32_e32 vcc, 0, v2
	v_cndmask_b32_e64 v2, v2, -v2, vcc
	v_mul_f32_e32 v3, 0x4f800000, v2
	v_cmp_gt_f32_e32 vcc, s2, v2
	v_cndmask_b32_e32 v2, v2, v3, vcc
	v_sqrt_f32_e32 v3, v2
	v_add_u32_e32 v5, -1, v3
	v_add_u32_e32 v8, 1, v3
	v_fma_f32 v9, -v5, v3, v2
	v_fma_f32 v10, -v8, v3, v2
	v_cmp_ge_f32_e64 s[2:3], 0, v9
	v_cndmask_b32_e64 v3, v3, v5, s[2:3]
	v_cmp_lt_f32_e64 s[2:3], 0, v10
	v_cndmask_b32_e64 v3, v3, v8, s[2:3]
	v_mul_f32_e32 v5, 0x37800000, v3
	v_cndmask_b32_e32 v3, v3, v5, vcc
	v_mov_b32_e32 v5, 0x260
	v_cmp_class_f32_e32 vcc, v2, v5
	v_cndmask_b32_e32 v2, v3, v2, vcc
	ds_write_b32 v4, v2 offset:520
.LBB8_88:
	s_or_b64 exec, exec, s[8:9]
	v_mov_b32_e32 v2, 0
	s_waitcnt lgkmcnt(0)
	ds_read_b32 v2, v2 offset:520
	s_waitcnt lgkmcnt(0)
	v_cmp_neq_f32_e32 vcc, 0, v2
	s_or_b64 s[2:3], vcc, s[0:1]
	v_cndmask_b32_e32 v2, 1.0, v2, vcc
	s_xor_b64 s[8:9], s[2:3], -1
	s_and_saveexec_b64 s[2:3], s[8:9]
	s_cbranch_execz .LBB8_92
; %bb.89:
	v_mbcnt_lo_u32_b32 v2, exec_lo, 0
	v_mbcnt_hi_u32_b32 v2, exec_hi, v2
	v_cmp_eq_u32_e32 vcc, 0, v2
	s_and_saveexec_b64 s[8:9], vcc
	s_cbranch_execz .LBB8_91
; %bb.90:
	v_mov_b32_e32 v2, 0
	v_mov_b32_e32 v3, s18
	global_atomic_smin v2, v3, s[14:15]
.LBB8_91:
	s_or_b64 exec, exec, s[8:9]
	v_mov_b32_e32 v2, 1.0
.LBB8_92:
	s_or_b64 exec, exec, s[2:3]
	v_cmp_lt_u32_e32 vcc, 2, v13
	s_and_saveexec_b64 s[2:3], vcc
	s_cbranch_execz .LBB8_94
; %bb.93:
	v_lshlrev_b32_e32 v3, 5, v13
	ds_read2_b32 v[4:5], v3 offset0:114 offset1:170
	v_lshlrev_b32_e32 v9, 5, v12
	s_waitcnt lgkmcnt(0)
	v_sub_f32_e32 v4, v4, v5
	v_div_scale_f32 v5, s[8:9], v2, v2, v4
	v_rcp_f32_e32 v8, v5
	v_div_scale_f32 v10, vcc, v4, v2, v4
	v_fma_f32 v11, -v5, v8, 1.0
	v_fmac_f32_e32 v8, v11, v8
	v_mul_f32_e32 v11, v10, v8
	v_fma_f32 v15, -v5, v11, v10
	v_fmac_f32_e32 v11, v15, v8
	v_fma_f32 v5, -v5, v11, v10
	v_div_fmas_f32 v5, v5, v8, v11
	v_div_fixup_f32 v2, v5, v2, v4
	ds_write_b32 v3, v2 offset:456
	s_waitcnt lgkmcnt(0)
	ds_read_b32 v3, v9 offset:456
	ds_read_b32 v4, v6
	s_waitcnt lgkmcnt(0)
	v_fmac_f32_e32 v4, v2, v3
	ds_write_b32 v6, v4
.LBB8_94:
	s_or_b64 exec, exec, s[2:3]
	v_cmp_eq_u32_e32 vcc, 3, v13
	s_waitcnt lgkmcnt(0)
	s_and_saveexec_b64 s[8:9], vcc
	s_cbranch_execz .LBB8_96
; %bb.95:
	v_mov_b32_e32 v4, 0
	ds_read2_b32 v[2:3], v4 offset0:139 offset1:195
	s_mov_b32 s2, 0xf800000
	s_waitcnt lgkmcnt(0)
	v_sub_f32_e32 v2, v2, v3
	v_cmp_gt_f32_e32 vcc, 0, v2
	v_cndmask_b32_e64 v2, v2, -v2, vcc
	v_mul_f32_e32 v3, 0x4f800000, v2
	v_cmp_gt_f32_e32 vcc, s2, v2
	v_cndmask_b32_e32 v2, v2, v3, vcc
	v_sqrt_f32_e32 v3, v2
	v_add_u32_e32 v5, -1, v3
	v_add_u32_e32 v8, 1, v3
	v_fma_f32 v9, -v5, v3, v2
	v_fma_f32 v10, -v8, v3, v2
	v_cmp_ge_f32_e64 s[2:3], 0, v9
	v_cndmask_b32_e64 v3, v3, v5, s[2:3]
	v_cmp_lt_f32_e64 s[2:3], 0, v10
	v_cndmask_b32_e64 v3, v3, v8, s[2:3]
	v_mul_f32_e32 v5, 0x37800000, v3
	v_cndmask_b32_e32 v3, v3, v5, vcc
	v_mov_b32_e32 v5, 0x260
	v_cmp_class_f32_e32 vcc, v2, v5
	v_cndmask_b32_e32 v2, v3, v2, vcc
	ds_write_b32 v4, v2 offset:556
.LBB8_96:
	s_or_b64 exec, exec, s[8:9]
	v_mov_b32_e32 v2, 0
	s_waitcnt lgkmcnt(0)
	ds_read_b32 v2, v2 offset:556
	s_waitcnt lgkmcnt(0)
	v_cmp_neq_f32_e32 vcc, 0, v2
	s_or_b64 s[2:3], vcc, s[0:1]
	v_cndmask_b32_e32 v2, 1.0, v2, vcc
	s_xor_b64 s[8:9], s[2:3], -1
	s_and_saveexec_b64 s[2:3], s[8:9]
	s_cbranch_execz .LBB8_100
; %bb.97:
	v_mbcnt_lo_u32_b32 v2, exec_lo, 0
	v_mbcnt_hi_u32_b32 v2, exec_hi, v2
	v_cmp_eq_u32_e32 vcc, 0, v2
	s_and_saveexec_b64 s[8:9], vcc
	s_cbranch_execz .LBB8_99
; %bb.98:
	v_mov_b32_e32 v2, 0
	v_mov_b32_e32 v3, s18
	global_atomic_smin v2, v3, s[14:15]
.LBB8_99:
	s_or_b64 exec, exec, s[8:9]
	v_mov_b32_e32 v2, 1.0
.LBB8_100:
	s_or_b64 exec, exec, s[2:3]
	v_cmp_lt_u32_e32 vcc, 3, v13
	s_and_saveexec_b64 s[2:3], vcc
	s_cbranch_execz .LBB8_102
; %bb.101:
	v_lshlrev_b32_e32 v3, 5, v13
	ds_read2_b32 v[4:5], v3 offset0:115 offset1:171
	v_lshlrev_b32_e32 v9, 5, v12
	s_waitcnt lgkmcnt(0)
	v_sub_f32_e32 v4, v4, v5
	v_div_scale_f32 v5, s[8:9], v2, v2, v4
	v_rcp_f32_e32 v8, v5
	v_div_scale_f32 v10, vcc, v4, v2, v4
	v_fma_f32 v11, -v5, v8, 1.0
	v_fmac_f32_e32 v8, v11, v8
	v_mul_f32_e32 v11, v10, v8
	v_fma_f32 v15, -v5, v11, v10
	v_fmac_f32_e32 v11, v15, v8
	v_fma_f32 v5, -v5, v11, v10
	v_div_fmas_f32 v5, v5, v8, v11
	v_div_fixup_f32 v2, v5, v2, v4
	ds_write_b32 v3, v2 offset:460
	s_waitcnt lgkmcnt(0)
	ds_read_b32 v3, v9 offset:460
	ds_read_b32 v4, v6
	s_waitcnt lgkmcnt(0)
	v_fmac_f32_e32 v4, v2, v3
	ds_write_b32 v6, v4
.LBB8_102:
	s_or_b64 exec, exec, s[2:3]
	v_cmp_eq_u32_e32 vcc, 4, v13
	s_waitcnt lgkmcnt(0)
	s_and_saveexec_b64 s[8:9], vcc
	s_cbranch_execz .LBB8_104
; %bb.103:
	v_mov_b32_e32 v4, 0
	ds_read2_b32 v[2:3], v4 offset0:148 offset1:204
	s_mov_b32 s2, 0xf800000
	s_waitcnt lgkmcnt(0)
	v_sub_f32_e32 v2, v2, v3
	v_cmp_gt_f32_e32 vcc, 0, v2
	v_cndmask_b32_e64 v2, v2, -v2, vcc
	v_mul_f32_e32 v3, 0x4f800000, v2
	v_cmp_gt_f32_e32 vcc, s2, v2
	v_cndmask_b32_e32 v2, v2, v3, vcc
	v_sqrt_f32_e32 v3, v2
	v_add_u32_e32 v5, -1, v3
	v_add_u32_e32 v8, 1, v3
	v_fma_f32 v9, -v5, v3, v2
	v_fma_f32 v10, -v8, v3, v2
	v_cmp_ge_f32_e64 s[2:3], 0, v9
	v_cndmask_b32_e64 v3, v3, v5, s[2:3]
	v_cmp_lt_f32_e64 s[2:3], 0, v10
	v_cndmask_b32_e64 v3, v3, v8, s[2:3]
	v_mul_f32_e32 v5, 0x37800000, v3
	v_cndmask_b32_e32 v3, v3, v5, vcc
	v_mov_b32_e32 v5, 0x260
	v_cmp_class_f32_e32 vcc, v2, v5
	v_cndmask_b32_e32 v2, v3, v2, vcc
	ds_write_b32 v4, v2 offset:592
.LBB8_104:
	s_or_b64 exec, exec, s[8:9]
	v_mov_b32_e32 v2, 0
	s_waitcnt lgkmcnt(0)
	ds_read_b32 v2, v2 offset:592
	s_waitcnt lgkmcnt(0)
	v_cmp_neq_f32_e32 vcc, 0, v2
	s_or_b64 s[2:3], vcc, s[0:1]
	v_cndmask_b32_e32 v2, 1.0, v2, vcc
	s_xor_b64 s[8:9], s[2:3], -1
	s_and_saveexec_b64 s[2:3], s[8:9]
	s_cbranch_execz .LBB8_108
; %bb.105:
	v_mbcnt_lo_u32_b32 v2, exec_lo, 0
	v_mbcnt_hi_u32_b32 v2, exec_hi, v2
	v_cmp_eq_u32_e32 vcc, 0, v2
	s_and_saveexec_b64 s[8:9], vcc
	s_cbranch_execz .LBB8_107
; %bb.106:
	v_mov_b32_e32 v2, 0
	v_mov_b32_e32 v3, s18
	global_atomic_smin v2, v3, s[14:15]
.LBB8_107:
	s_or_b64 exec, exec, s[8:9]
	v_mov_b32_e32 v2, 1.0
.LBB8_108:
	s_or_b64 exec, exec, s[2:3]
	v_cmp_lt_u32_e32 vcc, 4, v13
	s_and_saveexec_b64 s[2:3], vcc
	s_cbranch_execz .LBB8_110
; %bb.109:
	v_lshlrev_b32_e32 v3, 5, v13
	ds_read2_b32 v[4:5], v3 offset0:116 offset1:172
	v_lshlrev_b32_e32 v9, 5, v12
	s_waitcnt lgkmcnt(0)
	v_sub_f32_e32 v4, v4, v5
	v_div_scale_f32 v5, s[8:9], v2, v2, v4
	v_rcp_f32_e32 v8, v5
	v_div_scale_f32 v10, vcc, v4, v2, v4
	v_fma_f32 v11, -v5, v8, 1.0
	v_fmac_f32_e32 v8, v11, v8
	v_mul_f32_e32 v11, v10, v8
	v_fma_f32 v15, -v5, v11, v10
	v_fmac_f32_e32 v11, v15, v8
	v_fma_f32 v5, -v5, v11, v10
	v_div_fmas_f32 v5, v5, v8, v11
	v_div_fixup_f32 v2, v5, v2, v4
	ds_write_b32 v3, v2 offset:464
	s_waitcnt lgkmcnt(0)
	ds_read_b32 v3, v9 offset:464
	ds_read_b32 v4, v6
	s_waitcnt lgkmcnt(0)
	v_fmac_f32_e32 v4, v2, v3
	ds_write_b32 v6, v4
.LBB8_110:
	s_or_b64 exec, exec, s[2:3]
	v_cmp_eq_u32_e32 vcc, 5, v13
	s_waitcnt lgkmcnt(0)
	s_and_saveexec_b64 s[8:9], vcc
	s_cbranch_execz .LBB8_112
; %bb.111:
	v_mov_b32_e32 v4, 0
	ds_read2_b32 v[2:3], v4 offset0:157 offset1:213
	s_mov_b32 s2, 0xf800000
	s_waitcnt lgkmcnt(0)
	v_sub_f32_e32 v2, v2, v3
	v_cmp_gt_f32_e32 vcc, 0, v2
	v_cndmask_b32_e64 v2, v2, -v2, vcc
	v_mul_f32_e32 v3, 0x4f800000, v2
	v_cmp_gt_f32_e32 vcc, s2, v2
	v_cndmask_b32_e32 v2, v2, v3, vcc
	v_sqrt_f32_e32 v3, v2
	v_add_u32_e32 v5, -1, v3
	v_add_u32_e32 v8, 1, v3
	v_fma_f32 v9, -v5, v3, v2
	v_fma_f32 v10, -v8, v3, v2
	v_cmp_ge_f32_e64 s[2:3], 0, v9
	v_cndmask_b32_e64 v3, v3, v5, s[2:3]
	v_cmp_lt_f32_e64 s[2:3], 0, v10
	v_cndmask_b32_e64 v3, v3, v8, s[2:3]
	v_mul_f32_e32 v5, 0x37800000, v3
	v_cndmask_b32_e32 v3, v3, v5, vcc
	v_mov_b32_e32 v5, 0x260
	v_cmp_class_f32_e32 vcc, v2, v5
	v_cndmask_b32_e32 v2, v3, v2, vcc
	ds_write_b32 v4, v2 offset:628
.LBB8_112:
	s_or_b64 exec, exec, s[8:9]
	v_mov_b32_e32 v2, 0
	s_waitcnt lgkmcnt(0)
	ds_read_b32 v2, v2 offset:628
	s_waitcnt lgkmcnt(0)
	v_cmp_neq_f32_e32 vcc, 0, v2
	s_or_b64 s[2:3], vcc, s[0:1]
	v_cndmask_b32_e32 v2, 1.0, v2, vcc
	s_xor_b64 s[8:9], s[2:3], -1
	s_and_saveexec_b64 s[2:3], s[8:9]
	s_cbranch_execz .LBB8_116
; %bb.113:
	v_mbcnt_lo_u32_b32 v2, exec_lo, 0
	v_mbcnt_hi_u32_b32 v2, exec_hi, v2
	v_cmp_eq_u32_e32 vcc, 0, v2
	s_and_saveexec_b64 s[8:9], vcc
	s_cbranch_execz .LBB8_115
; %bb.114:
	v_mov_b32_e32 v2, 0
	v_mov_b32_e32 v3, s18
	global_atomic_smin v2, v3, s[14:15]
.LBB8_115:
	s_or_b64 exec, exec, s[8:9]
	v_mov_b32_e32 v2, 1.0
.LBB8_116:
	s_or_b64 exec, exec, s[2:3]
	v_cmp_lt_u32_e32 vcc, 5, v13
	s_and_saveexec_b64 s[2:3], vcc
	s_cbranch_execz .LBB8_118
; %bb.117:
	v_lshlrev_b32_e32 v3, 5, v13
	ds_read2_b32 v[4:5], v3 offset0:117 offset1:173
	v_lshlrev_b32_e32 v9, 5, v12
	s_waitcnt lgkmcnt(0)
	v_sub_f32_e32 v4, v4, v5
	v_div_scale_f32 v5, s[8:9], v2, v2, v4
	v_rcp_f32_e32 v8, v5
	v_div_scale_f32 v10, vcc, v4, v2, v4
	v_fma_f32 v11, -v5, v8, 1.0
	v_fmac_f32_e32 v8, v11, v8
	v_mul_f32_e32 v11, v10, v8
	v_fma_f32 v15, -v5, v11, v10
	v_fmac_f32_e32 v11, v15, v8
	v_fma_f32 v5, -v5, v11, v10
	v_div_fmas_f32 v5, v5, v8, v11
	v_div_fixup_f32 v2, v5, v2, v4
	ds_write_b32 v3, v2 offset:468
	s_waitcnt lgkmcnt(0)
	ds_read_b32 v3, v9 offset:468
	ds_read_b32 v4, v6
	s_waitcnt lgkmcnt(0)
	v_fmac_f32_e32 v4, v2, v3
	ds_write_b32 v6, v4
.LBB8_118:
	s_or_b64 exec, exec, s[2:3]
	v_cmp_eq_u32_e32 vcc, 6, v13
	s_waitcnt lgkmcnt(0)
	s_and_saveexec_b64 s[8:9], vcc
	s_cbranch_execz .LBB8_120
; %bb.119:
	v_mov_b32_e32 v4, 0
	ds_read2_b32 v[2:3], v4 offset0:166 offset1:222
	s_mov_b32 s2, 0xf800000
	s_waitcnt lgkmcnt(0)
	v_sub_f32_e32 v2, v2, v3
	v_cmp_gt_f32_e32 vcc, 0, v2
	v_cndmask_b32_e64 v2, v2, -v2, vcc
	v_mul_f32_e32 v3, 0x4f800000, v2
	v_cmp_gt_f32_e32 vcc, s2, v2
	v_cndmask_b32_e32 v2, v2, v3, vcc
	v_sqrt_f32_e32 v3, v2
	v_add_u32_e32 v5, -1, v3
	v_add_u32_e32 v8, 1, v3
	v_fma_f32 v9, -v5, v3, v2
	v_fma_f32 v10, -v8, v3, v2
	v_cmp_ge_f32_e64 s[2:3], 0, v9
	v_cndmask_b32_e64 v3, v3, v5, s[2:3]
	v_cmp_lt_f32_e64 s[2:3], 0, v10
	v_cndmask_b32_e64 v3, v3, v8, s[2:3]
	v_mul_f32_e32 v5, 0x37800000, v3
	v_cndmask_b32_e32 v3, v3, v5, vcc
	v_mov_b32_e32 v5, 0x260
	v_cmp_class_f32_e32 vcc, v2, v5
	v_cndmask_b32_e32 v2, v3, v2, vcc
	ds_write_b32 v4, v2 offset:664
.LBB8_120:
	s_or_b64 exec, exec, s[8:9]
	v_mov_b32_e32 v2, 0
	s_waitcnt lgkmcnt(0)
	ds_read_b32 v2, v2 offset:664
	s_waitcnt lgkmcnt(0)
	v_cmp_neq_f32_e32 vcc, 0, v2
	s_or_b64 s[0:1], vcc, s[0:1]
	v_cndmask_b32_e32 v2, 1.0, v2, vcc
	s_xor_b64 s[2:3], s[0:1], -1
	s_and_saveexec_b64 s[0:1], s[2:3]
	s_cbranch_execz .LBB8_124
; %bb.121:
	v_mbcnt_lo_u32_b32 v2, exec_lo, 0
	v_mbcnt_hi_u32_b32 v2, exec_hi, v2
	v_cmp_eq_u32_e32 vcc, 0, v2
	s_and_saveexec_b64 s[2:3], vcc
	s_cbranch_execz .LBB8_123
; %bb.122:
	v_mov_b32_e32 v2, 0
	v_mov_b32_e32 v3, s18
	global_atomic_smin v2, v3, s[14:15]
.LBB8_123:
	s_or_b64 exec, exec, s[2:3]
	v_mov_b32_e32 v2, 1.0
.LBB8_124:
	s_or_b64 exec, exec, s[0:1]
	v_add_u32_e32 v3, 0x1c0, v7
	v_cmp_lt_u32_e32 vcc, 6, v13
	s_and_saveexec_b64 s[0:1], vcc
	s_cbranch_execz .LBB8_126
; %bb.125:
	v_lshlrev_b32_e32 v7, 5, v13
	ds_read2_b32 v[4:5], v7 offset0:118 offset1:174
	v_lshlrev_b32_e32 v9, 5, v12
	s_waitcnt lgkmcnt(0)
	v_sub_f32_e32 v4, v4, v5
	v_div_scale_f32 v5, s[2:3], v2, v2, v4
	v_rcp_f32_e32 v8, v5
	v_div_scale_f32 v10, vcc, v4, v2, v4
	v_fma_f32 v11, -v5, v8, 1.0
	v_fmac_f32_e32 v8, v11, v8
	v_mul_f32_e32 v11, v10, v8
	v_fma_f32 v15, -v5, v11, v10
	v_fmac_f32_e32 v11, v15, v8
	v_fma_f32 v5, -v5, v11, v10
	v_div_fmas_f32 v5, v5, v8, v11
	v_div_fixup_f32 v2, v5, v2, v4
	ds_write_b32 v7, v2 offset:472
	s_waitcnt lgkmcnt(0)
	ds_read_b32 v4, v9 offset:472
	ds_read_b32 v5, v6
	s_waitcnt lgkmcnt(0)
	v_fmac_f32_e32 v5, v2, v4
	ds_write_b32 v6, v5
.LBB8_126:
	s_or_b64 exec, exec, s[0:1]
	s_waitcnt lgkmcnt(0)
	ds_read_b32 v2, v3
	s_andn2_b64 vcc, exec, s[4:5]
	s_cbranch_vccnz .LBB8_128
; %bb.127:
	v_mov_b32_e32 v14, v1
.LBB8_128:
	v_add_u32_e32 v4, s30, v14
	v_ashrrev_i32_e32 v5, 31, v4
	v_lshlrev_b64 v[4:5], 2, v[4:5]
	v_mov_b32_e32 v1, s21
	v_add_co_u32_e32 v4, vcc, s20, v4
	v_addc_co_u32_e32 v5, vcc, v1, v5, vcc
	s_waitcnt lgkmcnt(0)
	global_store_dword v[4:5], v2, off
	v_cmp_eq_u32_e64 s[0:1], 0, v0
.LBB8_129:
	s_and_saveexec_b64 s[2:3], s[0:1]
	s_cbranch_execnz .LBB8_137
.LBB8_130:
	s_endpgm
.LBB8_131:
	s_mov_b64 s[0:1], 0
	s_cbranch_execz .LBB8_129
; %bb.132:
	v_or_b32_e32 v0, v12, v13
	v_cmp_eq_u32_e32 vcc, 0, v0
	s_and_saveexec_b64 s[2:3], vcc
	s_cbranch_execz .LBB8_136
; %bb.133:
	v_mbcnt_lo_u32_b32 v0, exec_lo, 0
	v_mbcnt_hi_u32_b32 v0, exec_hi, v0
	v_cmp_eq_u32_e32 vcc, 0, v0
	s_and_saveexec_b64 s[4:5], vcc
	s_cbranch_execz .LBB8_135
; %bb.134:
	s_add_i32 s8, s12, s13
	v_mov_b32_e32 v0, 0
	v_mov_b32_e32 v1, s8
	global_atomic_smin v0, v1, s[14:15]
.LBB8_135:
	s_or_b64 exec, exec, s[4:5]
	s_or_b64 s[0:1], s[0:1], exec
.LBB8_136:
	s_or_b64 exec, exec, s[2:3]
	s_and_saveexec_b64 s[2:3], s[0:1]
	s_cbranch_execz .LBB8_130
.LBB8_137:
	s_add_u32 s0, s10, s6
	s_addc_u32 s1, s11, s7
	v_mov_b32_e32 v0, 0
	v_mov_b32_e32 v1, 1
	s_waitcnt vmcnt(0)
	global_store_dword v0, v1, s[0:1]
	s_endpgm
	.section	.rodata,"a",@progbits
	.p2align	6, 0x0
	.amdhsa_kernel _ZN9rocsparseL26bsric0_2_8_unrolled_kernelILi49ELi32ELi7EfEEv20rocsparse_direction_iiPKiS3_PT2_S3_PiS3_S6_21rocsparse_index_base_
		.amdhsa_group_segment_fixed_size 1280
		.amdhsa_private_segment_fixed_size 0
		.amdhsa_kernarg_size 76
		.amdhsa_user_sgpr_count 6
		.amdhsa_user_sgpr_private_segment_buffer 1
		.amdhsa_user_sgpr_dispatch_ptr 0
		.amdhsa_user_sgpr_queue_ptr 0
		.amdhsa_user_sgpr_kernarg_segment_ptr 1
		.amdhsa_user_sgpr_dispatch_id 0
		.amdhsa_user_sgpr_flat_scratch_init 0
		.amdhsa_user_sgpr_kernarg_preload_length 0
		.amdhsa_user_sgpr_kernarg_preload_offset 0
		.amdhsa_user_sgpr_private_segment_size 0
		.amdhsa_uses_dynamic_stack 0
		.amdhsa_system_sgpr_private_segment_wavefront_offset 0
		.amdhsa_system_sgpr_workgroup_id_x 1
		.amdhsa_system_sgpr_workgroup_id_y 0
		.amdhsa_system_sgpr_workgroup_id_z 0
		.amdhsa_system_sgpr_workgroup_info 0
		.amdhsa_system_vgpr_workitem_id 1
		.amdhsa_next_free_vgpr 72
		.amdhsa_next_free_sgpr 40
		.amdhsa_accum_offset 72
		.amdhsa_reserve_vcc 1
		.amdhsa_reserve_flat_scratch 0
		.amdhsa_float_round_mode_32 0
		.amdhsa_float_round_mode_16_64 0
		.amdhsa_float_denorm_mode_32 3
		.amdhsa_float_denorm_mode_16_64 3
		.amdhsa_dx10_clamp 1
		.amdhsa_ieee_mode 1
		.amdhsa_fp16_overflow 0
		.amdhsa_tg_split 0
		.amdhsa_exception_fp_ieee_invalid_op 0
		.amdhsa_exception_fp_denorm_src 0
		.amdhsa_exception_fp_ieee_div_zero 0
		.amdhsa_exception_fp_ieee_overflow 0
		.amdhsa_exception_fp_ieee_underflow 0
		.amdhsa_exception_fp_ieee_inexact 0
		.amdhsa_exception_int_div_zero 0
	.end_amdhsa_kernel
	.section	.text._ZN9rocsparseL26bsric0_2_8_unrolled_kernelILi49ELi32ELi7EfEEv20rocsparse_direction_iiPKiS3_PT2_S3_PiS3_S6_21rocsparse_index_base_,"axG",@progbits,_ZN9rocsparseL26bsric0_2_8_unrolled_kernelILi49ELi32ELi7EfEEv20rocsparse_direction_iiPKiS3_PT2_S3_PiS3_S6_21rocsparse_index_base_,comdat
.Lfunc_end8:
	.size	_ZN9rocsparseL26bsric0_2_8_unrolled_kernelILi49ELi32ELi7EfEEv20rocsparse_direction_iiPKiS3_PT2_S3_PiS3_S6_21rocsparse_index_base_, .Lfunc_end8-_ZN9rocsparseL26bsric0_2_8_unrolled_kernelILi49ELi32ELi7EfEEv20rocsparse_direction_iiPKiS3_PT2_S3_PiS3_S6_21rocsparse_index_base_
                                        ; -- End function
	.section	.AMDGPU.csdata,"",@progbits
; Kernel info:
; codeLenInByte = 8320
; NumSgprs: 44
; NumVgprs: 72
; NumAgprs: 0
; TotalNumVgprs: 72
; ScratchSize: 0
; MemoryBound: 0
; FloatMode: 240
; IeeeMode: 1
; LDSByteSize: 1280 bytes/workgroup (compile time only)
; SGPRBlocks: 5
; VGPRBlocks: 8
; NumSGPRsForWavesPerEU: 44
; NumVGPRsForWavesPerEU: 72
; AccumOffset: 72
; Occupancy: 7
; WaveLimiterHint : 1
; COMPUTE_PGM_RSRC2:SCRATCH_EN: 0
; COMPUTE_PGM_RSRC2:USER_SGPR: 6
; COMPUTE_PGM_RSRC2:TRAP_HANDLER: 0
; COMPUTE_PGM_RSRC2:TGID_X_EN: 1
; COMPUTE_PGM_RSRC2:TGID_Y_EN: 0
; COMPUTE_PGM_RSRC2:TGID_Z_EN: 0
; COMPUTE_PGM_RSRC2:TIDIG_COMP_CNT: 1
; COMPUTE_PGM_RSRC3_GFX90A:ACCUM_OFFSET: 17
; COMPUTE_PGM_RSRC3_GFX90A:TG_SPLIT: 0
	.section	.text._ZN9rocsparseL26bsric0_2_8_unrolled_kernelILi64ELi32ELi8EfEEv20rocsparse_direction_iiPKiS3_PT2_S3_PiS3_S6_21rocsparse_index_base_,"axG",@progbits,_ZN9rocsparseL26bsric0_2_8_unrolled_kernelILi64ELi32ELi8EfEEv20rocsparse_direction_iiPKiS3_PT2_S3_PiS3_S6_21rocsparse_index_base_,comdat
	.globl	_ZN9rocsparseL26bsric0_2_8_unrolled_kernelILi64ELi32ELi8EfEEv20rocsparse_direction_iiPKiS3_PT2_S3_PiS3_S6_21rocsparse_index_base_ ; -- Begin function _ZN9rocsparseL26bsric0_2_8_unrolled_kernelILi64ELi32ELi8EfEEv20rocsparse_direction_iiPKiS3_PT2_S3_PiS3_S6_21rocsparse_index_base_
	.p2align	8
	.type	_ZN9rocsparseL26bsric0_2_8_unrolled_kernelILi64ELi32ELi8EfEEv20rocsparse_direction_iiPKiS3_PT2_S3_PiS3_S6_21rocsparse_index_base_,@function
_ZN9rocsparseL26bsric0_2_8_unrolled_kernelILi64ELi32ELi8EfEEv20rocsparse_direction_iiPKiS3_PT2_S3_PiS3_S6_21rocsparse_index_base_: ; @_ZN9rocsparseL26bsric0_2_8_unrolled_kernelILi64ELi32ELi8EfEEv20rocsparse_direction_iiPKiS3_PT2_S3_PiS3_S6_21rocsparse_index_base_
; %bb.0:
	s_load_dwordx8 s[8:15], s[4:5], 0x28
	s_mov_b32 s7, 0
	s_lshl_b64 s[0:1], s[6:7], 2
	v_and_b32_e32 v12, 0x3ff, v0
	v_bfe_u32 v13, v0, 10, 10
	s_waitcnt lgkmcnt(0)
	s_add_u32 s0, s12, s0
	s_addc_u32 s1, s13, s1
	s_load_dword s12, s[0:1], 0x0
	s_waitcnt lgkmcnt(0)
	s_ashr_i32 s13, s12, 31
	s_lshl_b64 s[6:7], s[12:13], 2
	s_add_u32 s0, s8, s6
	s_addc_u32 s1, s9, s7
	s_load_dword s30, s[0:1], 0x0
	s_load_dword s13, s[4:5], 0x48
	s_waitcnt lgkmcnt(0)
	s_cmp_lg_u32 s30, -1
	s_cbranch_scc0 .LBB9_16
; %bb.1:
	s_load_dwordx4 s[16:19], s[4:5], 0x10
	v_lshlrev_b32_e32 v15, 3, v13
	v_add_u32_e32 v14, v15, v12
	s_waitcnt lgkmcnt(0)
	s_add_u32 s0, s16, s6
	s_addc_u32 s1, s17, s7
	s_load_dword s24, s[0:1], 0x0
	s_waitcnt lgkmcnt(0)
	s_sub_i32 s31, s24, s13
	v_add_u32_e32 v0, s31, v14
	v_cmp_ge_i32_e32 vcc, s30, v0
	s_and_saveexec_b64 s[0:1], vcc
	s_cbranch_execz .LBB9_14
; %bb.2:
	v_add_u32_e32 v1, s24, v14
	v_subrev_u32_e32 v1, s13, v1
	v_add_u32_e32 v1, 64, v1
	s_add_i32 s2, s30, 1
	v_max_i32_e32 v1, s2, v1
	v_not_b32_e32 v2, v12
	v_add3_u32 v1, v1, s13, v2
	v_add_u32_e32 v2, s24, v15
	v_sub_u32_e32 v1, v1, v2
	v_cmp_lt_u32_e32 vcc, 63, v1
	s_mov_b64 s[20:21], -1
	s_and_saveexec_b64 s[2:3], vcc
	s_cbranch_execz .LBB9_11
; %bb.3:
	v_lshrrev_b32_e32 v16, 6, v1
	v_add_u32_e32 v2, -1, v16
	v_add_u32_e32 v1, 64, v0
	v_lshrrev_b32_e32 v3, 1, v2
	v_add_u32_e32 v17, 1, v3
	v_cmp_lt_u32_e32 vcc, 13, v2
	v_pk_mov_b32 v[2:3], v[0:1], v[0:1] op_sel:[0,1]
	s_and_saveexec_b64 s[20:21], vcc
	s_cbranch_execz .LBB9_7
; %bb.4:
	v_and_b32_e32 v18, -8, v17
	s_mov_b64 s[22:23], 0
	v_mov_b32_e32 v19, s19
	v_pk_mov_b32 v[2:3], v[0:1], v[0:1] op_sel:[0,1]
.LBB9_5:                                ; =>This Inner Loop Header: Depth=1
	v_ashrrev_i32_e32 v23, 31, v2
	v_mov_b32_e32 v22, v2
	v_lshlrev_b64 v[22:23], 2, v[22:23]
	v_ashrrev_i32_e32 v21, 31, v3
	v_mov_b32_e32 v20, v3
	v_add_co_u32_e32 v22, vcc, s18, v22
	v_add_u32_e32 v4, 0x80, v2
	v_lshlrev_b64 v[20:21], 2, v[20:21]
	v_addc_co_u32_e32 v23, vcc, v19, v23, vcc
	v_ashrrev_i32_e32 v5, 31, v4
	v_add_co_u32_e32 v20, vcc, s18, v20
	v_add_u32_e32 v6, 0x80, v3
	v_addc_co_u32_e32 v21, vcc, v19, v21, vcc
	v_lshlrev_b64 v[42:43], 2, v[4:5]
	v_ashrrev_i32_e32 v7, 31, v6
	v_add_co_u32_e32 v42, vcc, s18, v42
	v_add_u32_e32 v8, 0x100, v2
	v_lshlrev_b64 v[44:45], 2, v[6:7]
	v_addc_co_u32_e32 v43, vcc, v19, v43, vcc
	v_ashrrev_i32_e32 v9, 31, v8
	v_add_co_u32_e32 v44, vcc, s18, v44
	v_add_u32_e32 v10, 0x100, v3
	v_lshlrev_b64 v[46:47], 2, v[8:9]
	v_addc_co_u32_e32 v45, vcc, v19, v45, vcc
	;; [unrolled: 5-line block ×11, first 2 shown]
	v_ashrrev_i32_e32 v41, 31, v40
	v_add_co_u32_e32 v64, vcc, s18, v64
	v_addc_co_u32_e32 v65, vcc, v19, v65, vcc
	v_lshlrev_b64 v[66:67], 2, v[40:41]
	v_add_u32_e32 v68, 0x380, v3
	v_add_co_u32_e32 v66, vcc, s18, v66
	v_ashrrev_i32_e32 v69, 31, v68
	v_addc_co_u32_e32 v67, vcc, v19, v67, vcc
	v_lshlrev_b64 v[70:71], 2, v[68:69]
	v_add_co_u32_e32 v70, vcc, s18, v70
	v_addc_co_u32_e32 v71, vcc, v19, v71, vcc
	global_load_dword v1, v[20:21], off
	global_load_dword v5, v[22:23], off
	;; [unrolled: 1-line block ×15, first 2 shown]
                                        ; kill: killed $vgpr70 killed $vgpr71
                                        ; kill: killed $vgpr42 killed $vgpr43
                                        ; kill: killed $vgpr64 killed $vgpr65
                                        ; kill: killed $vgpr62 killed $vgpr63
                                        ; kill: killed $vgpr60 killed $vgpr61
                                        ; kill: killed $vgpr20 killed $vgpr21
                                        ; kill: killed $vgpr56 killed $vgpr57
                                        ; kill: killed $vgpr58 killed $vgpr59
                                        ; kill: killed $vgpr22 killed $vgpr23
                                        ; kill: killed $vgpr52 killed $vgpr53
                                        ; kill: killed $vgpr54 killed $vgpr55
                                        ; kill: killed $vgpr48 killed $vgpr49
                                        ; kill: killed $vgpr50 killed $vgpr51
                                        ; kill: killed $vgpr44 killed $vgpr45
                                        ; kill: killed $vgpr46 killed $vgpr47
	global_load_dword v20, v[66:67], off
	v_subrev_u32_e32 v22, s31, v2
	v_add_u32_e32 v18, -8, v18
	v_subrev_u32_e32 v21, s31, v3
	v_lshlrev_b32_e32 v22, 2, v22
	v_subrev_u32_e32 v4, s31, v4
	v_cmp_eq_u32_e32 vcc, 0, v18
	v_add_u32_e32 v3, 0x400, v3
	v_add_u32_e32 v2, 0x400, v2
	v_lshlrev_b32_e32 v21, 2, v21
	v_subrev_u32_e32 v6, s31, v6
	v_subrev_u32_e32 v10, s31, v10
	;; [unrolled: 1-line block ×13, first 2 shown]
	v_lshlrev_b32_e32 v4, 2, v4
	s_or_b64 s[22:23], vcc, s[22:23]
	v_lshlrev_b32_e32 v6, 2, v6
	v_lshlrev_b32_e32 v8, 2, v8
	;; [unrolled: 1-line block ×13, first 2 shown]
	s_waitcnt vmcnt(15)
	v_subrev_u32_e32 v1, s13, v1
	s_waitcnt vmcnt(14)
	v_subrev_u32_e32 v5, s13, v5
	ds_write_b32 v22, v5 offset:1408
	ds_write_b32 v21, v1 offset:1408
	s_waitcnt vmcnt(12)
	v_subrev_u32_e32 v5, s13, v9
	v_subrev_u32_e32 v1, s13, v7
	s_waitcnt vmcnt(11)
	v_subrev_u32_e32 v7, s13, v11
	s_waitcnt vmcnt(10)
	v_subrev_u32_e32 v9, s13, v25
	s_waitcnt vmcnt(9)
	v_subrev_u32_e32 v11, s13, v27
	s_waitcnt vmcnt(8)
	v_subrev_u32_e32 v21, s13, v29
	s_waitcnt vmcnt(7)
	v_subrev_u32_e32 v22, s13, v31
	s_waitcnt vmcnt(6)
	v_subrev_u32_e32 v25, s13, v33
	s_waitcnt vmcnt(5)
	v_subrev_u32_e32 v27, s13, v35
	s_waitcnt vmcnt(4)
	v_subrev_u32_e32 v29, s13, v37
	s_waitcnt vmcnt(3)
	v_subrev_u32_e32 v31, s13, v39
	s_waitcnt vmcnt(2)
	v_subrev_u32_e32 v33, s13, v41
	s_waitcnt vmcnt(1)
	v_subrev_u32_e32 v35, s13, v69
	s_waitcnt vmcnt(0)
	v_subrev_u32_e32 v20, s13, v20
	ds_write_b32 v4, v5 offset:1408
	ds_write_b32 v6, v1 offset:1408
	;; [unrolled: 1-line block ×14, first 2 shown]
	s_andn2_b64 exec, exec, s[22:23]
	s_cbranch_execnz .LBB9_5
; %bb.6:
	s_or_b64 exec, exec, s[22:23]
.LBB9_7:
	s_or_b64 exec, exec, s[20:21]
	v_and_b32_e32 v1, 7, v17
	v_cmp_ne_u32_e32 vcc, 0, v1
	s_and_saveexec_b64 s[20:21], vcc
	s_cbranch_execz .LBB9_10
; %bb.8:
	s_mov_b64 s[22:23], 0
	v_mov_b32_e32 v4, s19
.LBB9_9:                                ; =>This Inner Loop Header: Depth=1
	v_ashrrev_i32_e32 v9, 31, v2
	v_mov_b32_e32 v8, v2
	v_lshlrev_b64 v[8:9], 2, v[8:9]
	v_ashrrev_i32_e32 v7, 31, v3
	v_mov_b32_e32 v6, v3
	v_add_co_u32_e32 v8, vcc, s18, v8
	v_lshlrev_b64 v[6:7], 2, v[6:7]
	v_addc_co_u32_e32 v9, vcc, v4, v9, vcc
	v_add_co_u32_e32 v6, vcc, s18, v6
	v_addc_co_u32_e32 v7, vcc, v4, v7, vcc
	global_load_dword v5, v[6:7], off
	global_load_dword v10, v[8:9], off
	v_add_u32_e32 v1, -1, v1
	v_subrev_u32_e32 v7, s31, v2
	v_cmp_eq_u32_e32 vcc, 0, v1
	v_subrev_u32_e32 v6, s31, v3
	v_add_u32_e32 v3, 0x80, v3
	v_add_u32_e32 v2, 0x80, v2
	v_lshlrev_b32_e32 v7, 2, v7
	s_or_b64 s[22:23], vcc, s[22:23]
	v_lshlrev_b32_e32 v6, 2, v6
	s_waitcnt vmcnt(1)
	v_subrev_u32_e32 v5, s13, v5
	s_waitcnt vmcnt(0)
	v_subrev_u32_e32 v8, s13, v10
	ds_write_b32 v7, v8 offset:1408
	ds_write_b32 v6, v5 offset:1408
	s_andn2_b64 exec, exec, s[22:23]
	s_cbranch_execnz .LBB9_9
.LBB9_10:
	s_or_b64 exec, exec, s[20:21]
	v_add_u32_e32 v1, 1, v16
	v_and_b32_e32 v2, 0x7fffffe, v1
	v_cmp_ne_u32_e32 vcc, v1, v2
	v_lshl_add_u32 v0, v2, 6, v0
	s_orn2_b64 s[20:21], vcc, exec
.LBB9_11:
	s_or_b64 exec, exec, s[2:3]
	s_and_b64 exec, exec, s[20:21]
	s_cbranch_execz .LBB9_14
; %bb.12:
	v_add_u32_e32 v1, s13, v0
	v_subrev_u32_e32 v1, s24, v1
	v_mov_b32_e32 v2, 0x580
	v_lshl_add_u32 v4, v1, 2, v2
	v_ashrrev_i32_e32 v1, 31, v0
	v_lshlrev_b64 v[2:3], 2, v[0:1]
	v_mov_b32_e32 v1, s19
	v_add_co_u32_e32 v2, vcc, s18, v2
	v_addc_co_u32_e32 v3, vcc, v1, v3, vcc
	s_mov_b64 s[2:3], 0
.LBB9_13:                               ; =>This Inner Loop Header: Depth=1
	global_load_dword v1, v[2:3], off
	v_add_co_u32_e32 v2, vcc, 0x100, v2
	v_add_u32_e32 v0, 64, v0
	v_addc_co_u32_e32 v3, vcc, 0, v3, vcc
	v_cmp_lt_i32_e32 vcc, s30, v0
	s_or_b64 s[2:3], vcc, s[2:3]
	s_waitcnt vmcnt(0)
	v_subrev_u32_e32 v1, s13, v1
	ds_write_b32 v4, v1
	v_add_u32_e32 v4, 0x100, v4
	s_andn2_b64 exec, exec, s[2:3]
	s_cbranch_execnz .LBB9_13
.LBB9_14:
	s_or_b64 exec, exec, s[0:1]
	s_load_dwordx2 s[2:3], s[4:5], 0x20
	v_lshlrev_b32_e32 v0, 2, v12
	v_mad_u32_u24 v6, v13, 36, v0
	v_mov_b32_e32 v1, 0
	s_cmp_lt_i32 s31, s30
	ds_write_b32 v6, v1 offset:864
	s_waitcnt lgkmcnt(0)
	s_cbranch_scc1 .LBB9_17
; %bb.15:
	v_lshl_add_u32 v7, v12, 3, v13
	v_or_b32_e32 v4, v12, v13
	s_load_dword s33, s[4:5], 0x0
	v_add_u32_e32 v5, 0x360, v6
	s_cbranch_execz .LBB9_18
	s_branch .LBB9_75
.LBB9_16:
	s_mov_b64 s[0:1], 0
	s_cbranch_execnz .LBB9_140
	s_branch .LBB9_145
.LBB9_17:
                                        ; implicit-def: $vgpr7
                                        ; implicit-def: $vgpr4
	s_load_dword s33, s[4:5], 0x0
	v_add_u32_e32 v5, 0x360, v6
.LBB9_18:
	s_waitcnt lgkmcnt(0)
	s_cmp_eq_u32 s33, 0
	v_lshlrev_b32_e32 v8, 3, v12
	v_mov_b32_e32 v1, 0x240
	v_mov_b32_e32 v2, 0x120
	v_add_u32_e32 v7, v8, v13
	s_cselect_b64 vcc, -1, 0
	s_cmp_lg_u32 s33, 0
	v_mad_u32_u24 v9, v13, 36, v1
	v_mad_u32_u24 v11, v13, 36, v2
	v_or_b32_e32 v4, v12, v13
	s_cselect_b64 s[4:5], -1, 0
	v_add_u32_e32 v10, v9, v0
	v_add_u32_e32 v16, v11, v0
	v_cmp_ne_u32_e64 s[0:1], 0, v4
	v_mad_u32_u24 v17, v12, 36, v1
	v_cndmask_b32_e32 v18, v7, v14, vcc
	v_mov_b32_e32 v19, 0
	s_mov_b32 s20, s31
	s_branch .LBB9_22
.LBB9_19:                               ;   in Loop: Header=BB9_22 Depth=1
	s_or_b64 exec, exec, s[24:25]
	v_mov_b32_e32 v3, 1.0
.LBB9_20:                               ;   in Loop: Header=BB9_22 Depth=1
	s_or_b64 exec, exec, s[22:23]
	ds_read2_b32 v[20:21], v9 offset1:1
	ds_read2_b32 v[22:23], v19 offset0:67 offset1:68
	ds_read2_b32 v[24:25], v19 offset0:65 offset1:66
	;; [unrolled: 1-line block ×3, first 2 shown]
	ds_read_b32 v32, v11 offset:28
	ds_read2_b32 v[28:29], v9 offset0:2 offset1:3
	ds_read_b32 v33, v9 offset:24
	ds_read2_b32 v[30:31], v9 offset0:4 offset1:5
	ds_read_b32 v34, v19 offset:276
	s_waitcnt lgkmcnt(4)
	v_fmac_f32_e32 v32, v26, v20
	v_fmac_f32_e32 v32, v27, v21
	s_waitcnt lgkmcnt(3)
	v_fmac_f32_e32 v32, v24, v28
	v_fmac_f32_e32 v32, v25, v29
	s_waitcnt lgkmcnt(1)
	v_fmac_f32_e32 v32, v22, v30
	v_fmac_f32_e32 v32, v23, v31
	s_waitcnt lgkmcnt(0)
	v_fmac_f32_e32 v32, v34, v33
	v_sub_f32_e32 v2, v2, v32
	v_div_scale_f32 v20, s[22:23], v3, v3, v2
	v_rcp_f32_e32 v21, v20
	s_add_i32 s20, s20, 1
	s_cmp_ge_i32 s20, s30
	s_cselect_b64 s[26:27], -1, 0
	v_fma_f32 v22, -v20, v21, 1.0
	v_fmac_f32_e32 v21, v22, v21
	v_div_scale_f32 v22, vcc, v2, v3, v2
	v_mul_f32_e32 v23, v22, v21
	v_fma_f32 v24, -v20, v23, v22
	v_fmac_f32_e32 v23, v24, v21
	v_fma_f32 v20, -v20, v23, v22
	v_div_fmas_f32 v20, v20, v21, v23
	v_div_fixup_f32 v2, v20, v3, v2
	ds_write_b32 v9, v2 offset:28
	s_waitcnt lgkmcnt(0)
	ds_read_b32 v3, v17 offset:28
	ds_read_b32 v20, v5
	s_waitcnt lgkmcnt(0)
	v_fmac_f32_e32 v20, v2, v3
	ds_write_b32 v5, v20
	s_waitcnt lgkmcnt(0)
	ds_read_b32 v2, v10
	s_waitcnt lgkmcnt(0)
	global_store_dword v[0:1], v2, off
	s_waitcnt vmcnt(0)
	buffer_wbinvl1_vol
.LBB9_21:                               ;   in Loop: Header=BB9_22 Depth=1
	s_and_b64 vcc, exec, s[26:27]
	s_cbranch_vccnz .LBB9_75
.LBB9_22:                               ; =>This Loop Header: Depth=1
                                        ;     Child Loop BB9_25 Depth 2
                                        ;     Child Loop BB9_36 Depth 2
	s_ashr_i32 s21, s20, 31
	s_lshl_b64 s[22:23], s[20:21], 2
	s_add_u32 s22, s18, s22
	s_addc_u32 s23, s19, s23
	s_load_dword s21, s[22:23], 0x0
	s_waitcnt lgkmcnt(0)
	s_sub_i32 s24, s21, s13
	s_ashr_i32 s25, s24, 31
	s_lshl_b64 s[22:23], s[24:25], 2
	s_add_u32 s26, s8, s22
	s_addc_u32 s27, s9, s23
	s_load_dword s25, s[26:27], 0x0
	s_mov_b64 s[26:27], -1
	s_waitcnt lgkmcnt(0)
	s_cmp_eq_u32 s25, -1
	s_cbranch_scc1 .LBB9_21
; %bb.23:                               ;   in Loop: Header=BB9_22 Depth=1
	v_lshl_add_u32 v0, s20, 6, v18
	v_ashrrev_i32_e32 v1, 31, v0
	v_lshlrev_b64 v[0:1], 2, v[0:1]
	v_mov_b32_e32 v2, s3
	v_add_co_u32_e32 v0, vcc, s2, v0
	v_addc_co_u32_e32 v1, vcc, v2, v1, vcc
	global_load_dword v2, v[0:1], off
	s_add_u32 s26, s16, s22
	s_addc_u32 s27, s17, s23
	s_load_dword s26, s[26:27], 0x0
	ds_read_b32 v3, v19 offset:1408
	s_mov_b32 s27, 0
	s_waitcnt lgkmcnt(0)
	s_sub_i32 s26, s26, s13
	s_cmp_le_i32 s26, s25
	v_cmp_ge_i32_e32 vcc, s24, v3
	s_cselect_b64 s[28:29], -1, 0
	s_and_b64 s[28:29], s[28:29], vcc
	s_andn2_b64 vcc, exec, s[28:29]
	s_waitcnt vmcnt(0)
	ds_write_b32 v10, v2
	s_cbranch_vccnz .LBB9_35
; %bb.24:                               ;   in Loop: Header=BB9_22 Depth=1
	s_mov_b32 s34, 0
	s_mov_b32 s35, 0
.LBB9_25:                               ;   Parent Loop BB9_22 Depth=1
                                        ; =>  This Inner Loop Header: Depth=2
	s_ashr_i32 s27, s26, 31
	s_lshl_b64 s[28:29], s[26:27], 2
	s_add_u32 s28, s18, s28
	s_addc_u32 s29, s19, s29
	s_load_dword s27, s[28:29], 0x0
	s_lshl_b32 s28, s35, 2
	v_mov_b32_e32 v2, s28
	ds_read_b32 v2, v2 offset:1408
	s_mov_b64 s[28:29], -1
	s_waitcnt lgkmcnt(0)
	s_sub_i32 s39, s27, s13
                                        ; implicit-def: $sgpr27
                                        ; implicit-def: $sgpr38
                                        ; implicit-def: $sgpr37
	v_cmp_ge_i32_e32 vcc, s39, v2
	v_readfirstlane_b32 s36, v2
	s_cbranch_vccz .LBB9_31
; %bb.26:                               ;   in Loop: Header=BB9_25 Depth=2
	s_cmp_le_i32 s39, s36
                                        ; implicit-def: $sgpr27
                                        ; implicit-def: $sgpr38
                                        ; implicit-def: $sgpr37
	s_cbranch_scc0 .LBB9_28
; %bb.27:                               ;   in Loop: Header=BB9_25 Depth=2
	s_add_i32 s27, s35, s31
	s_lshl_b32 s27, s27, 6
	s_lshl_b32 s28, s34, 2
	v_mov_b32_e32 v2, s28
	v_mov_b32_e32 v3, s27
	s_lshl_b32 s27, s26, 6
	v_mov_b32_e32 v20, s27
	v_add_u32_e32 v2, 0x400, v2
	ds_write2_b32 v2, v20, v3 offset0:32 offset1:64
	s_add_i32 s37, s35, 1
	s_add_i32 s38, s26, 1
	;; [unrolled: 1-line block ×3, first 2 shown]
	s_mov_b64 s[28:29], 0
.LBB9_28:                               ;   in Loop: Header=BB9_25 Depth=2
	s_andn2_b64 vcc, exec, s[28:29]
	s_cbranch_vccnz .LBB9_30
; %bb.29:                               ;   in Loop: Header=BB9_25 Depth=2
	s_add_i32 s37, s35, 1
	s_mov_b32 s27, s34
	s_mov_b32 s38, s26
.LBB9_30:                               ;   in Loop: Header=BB9_25 Depth=2
	s_mov_b64 s[28:29], 0
.LBB9_31:                               ;   in Loop: Header=BB9_25 Depth=2
	s_andn2_b64 vcc, exec, s[28:29]
	s_cbranch_vccnz .LBB9_33
; %bb.32:                               ;   in Loop: Header=BB9_25 Depth=2
	s_add_i32 s38, s26, 1
	s_mov_b32 s37, s35
	s_mov_b32 s27, s34
.LBB9_33:                               ;   in Loop: Header=BB9_25 Depth=2
	s_cmp_le_i32 s38, s25
	s_cselect_b64 s[28:29], -1, 0
	s_cmp_le_i32 s36, s24
	s_cselect_b64 s[34:35], -1, 0
	s_and_b64 s[28:29], s[28:29], s[34:35]
	s_and_b64 vcc, exec, s[28:29]
	s_cbranch_vccz .LBB9_35
; %bb.34:                               ;   in Loop: Header=BB9_25 Depth=2
	s_mov_b32 s34, s27
	s_mov_b32 s26, s38
	;; [unrolled: 1-line block ×3, first 2 shown]
	s_branch .LBB9_25
.LBB9_35:                               ;   in Loop: Header=BB9_22 Depth=1
	s_add_u32 s22, s10, s22
	s_addc_u32 s23, s11, s23
	s_waitcnt lgkmcnt(0)
.LBB9_36:                               ;   Parent Loop BB9_22 Depth=1
                                        ; =>  This Inner Loop Header: Depth=2
	global_load_dword v2, v19, s[22:23] glc
	s_waitcnt vmcnt(0)
	v_cmp_eq_u32_e32 vcc, 0, v2
	s_cbranch_vccnz .LBB9_36
; %bb.37:                               ;   in Loop: Header=BB9_22 Depth=1
	v_lshl_add_u32 v2, s25, 6, v18
	v_ashrrev_i32_e32 v3, 31, v2
	v_lshlrev_b64 v[2:3], 2, v[2:3]
	v_mov_b32_e32 v20, s3
	v_add_co_u32_e32 v2, vcc, s2, v2
	v_addc_co_u32_e32 v3, vcc, v20, v3, vcc
	buffer_wbinvl1_vol
	global_load_dword v2, v[2:3], off
	s_cmp_lt_i32 s27, 2
	v_mov_b32_e32 v21, 0
	s_waitcnt vmcnt(0)
	ds_write_b32 v6, v2
	s_waitcnt lgkmcnt(0)
	s_cbranch_scc1 .LBB9_44
; %bb.38:                               ;   in Loop: Header=BB9_22 Depth=1
	s_add_i32 s24, s27, -1
	s_movk_i32 s25, 0x480
	v_mov_b32_e32 v20, 0
	v_mov_b32_e32 v2, s25
	ds_read2_b32 v[2:3], v2 offset1:32
	s_and_b64 vcc, exec, s[4:5]
	s_cbranch_vccz .LBB9_40
.LBB9_39:                               ;   in Loop: Header=BB9_22 Depth=1
	s_waitcnt lgkmcnt(0)
	v_add_u32_e32 v22, v2, v12
	v_ashrrev_i32_e32 v23, 31, v22
	v_lshlrev_b64 v[24:25], 2, v[22:23]
	v_add_u32_e32 v26, v3, v13
	v_mov_b32_e32 v21, s3
	v_add_co_u32_e32 v24, vcc, s2, v24
	v_ashrrev_i32_e32 v27, 31, v26
	v_addc_co_u32_e32 v25, vcc, v21, v25, vcc
	v_lshlrev_b64 v[28:29], 2, v[26:27]
	v_add_u32_e32 v30, 8, v22
	v_add_co_u32_e32 v28, vcc, s2, v28
	v_ashrrev_i32_e32 v31, 31, v30
	v_addc_co_u32_e32 v29, vcc, v21, v29, vcc
	v_lshlrev_b64 v[30:31], 2, v[30:31]
	v_add_u32_e32 v32, 8, v26
	;; [unrolled: 5-line block ×6, first 2 shown]
	v_add_co_u32_e32 v38, vcc, s2, v38
	v_ashrrev_i32_e32 v41, 31, v40
	v_addc_co_u32_e32 v39, vcc, v21, v39, vcc
	v_lshlrev_b64 v[40:41], 2, v[40:41]
	v_add_co_u32_e32 v40, vcc, s2, v40
	v_addc_co_u32_e32 v41, vcc, v21, v41, vcc
	global_load_dword v42, v[24:25], off
	global_load_dword v43, v[28:29], off
	;; [unrolled: 1-line block ×8, first 2 shown]
	v_add_u32_e32 v24, 32, v22
	v_ashrrev_i32_e32 v25, 31, v24
	v_lshlrev_b64 v[24:25], 2, v[24:25]
	v_add_u32_e32 v28, 32, v26
	v_add_co_u32_e32 v24, vcc, s2, v24
	v_ashrrev_i32_e32 v29, 31, v28
	v_addc_co_u32_e32 v25, vcc, v21, v25, vcc
	v_lshlrev_b64 v[28:29], 2, v[28:29]
	v_add_u32_e32 v30, 40, v22
	v_add_co_u32_e32 v28, vcc, s2, v28
	v_ashrrev_i32_e32 v31, 31, v30
	v_addc_co_u32_e32 v29, vcc, v21, v29, vcc
	;; [unrolled: 5-line block ×7, first 2 shown]
	v_lshlrev_b64 v[26:27], 2, v[26:27]
	v_add_co_u32_e32 v26, vcc, s2, v26
	v_addc_co_u32_e32 v27, vcc, v21, v27, vcc
	global_load_dword v38, v[24:25], off
	global_load_dword v39, v[28:29], off
	;; [unrolled: 1-line block ×8, first 2 shown]
	s_waitcnt vmcnt(14)
	v_fma_f32 v21, v42, v43, v20
	s_waitcnt vmcnt(12)
	v_fmac_f32_e32 v21, v44, v45
	s_waitcnt vmcnt(10)
	v_fmac_f32_e32 v21, v46, v47
	;; [unrolled: 2-line block ×7, first 2 shown]
	s_cbranch_execz .LBB9_41
	s_branch .LBB9_42
.LBB9_40:                               ;   in Loop: Header=BB9_22 Depth=1
                                        ; implicit-def: $vgpr21
.LBB9_41:                               ;   in Loop: Header=BB9_22 Depth=1
	s_waitcnt lgkmcnt(0)
	v_add_u32_e32 v22, v2, v8
	v_ashrrev_i32_e32 v23, 31, v22
	v_lshlrev_b64 v[22:23], 2, v[22:23]
	v_add_u32_e32 v2, v3, v15
	v_mov_b32_e32 v21, s3
	v_add_co_u32_e32 v38, vcc, s2, v22
	v_ashrrev_i32_e32 v3, 31, v2
	v_addc_co_u32_e32 v39, vcc, v21, v23, vcc
	v_lshlrev_b64 v[2:3], 2, v[2:3]
	global_load_dwordx4 v[22:25], v[38:39], off
	v_add_co_u32_e32 v2, vcc, s2, v2
	v_addc_co_u32_e32 v3, vcc, v21, v3, vcc
	global_load_dwordx4 v[26:29], v[2:3], off
	global_load_dwordx4 v[30:33], v[38:39], off offset:16
	global_load_dwordx4 v[34:37], v[2:3], off offset:16
	s_waitcnt vmcnt(2)
	v_fmac_f32_e32 v20, v22, v26
	v_fmac_f32_e32 v20, v23, v27
	;; [unrolled: 1-line block ×4, first 2 shown]
	s_waitcnt vmcnt(0)
	v_fmac_f32_e32 v20, v30, v34
	v_fmac_f32_e32 v20, v31, v35
	;; [unrolled: 1-line block ×4, first 2 shown]
	v_mov_b32_e32 v21, v20
.LBB9_42:                               ;   in Loop: Header=BB9_22 Depth=1
	s_add_i32 s24, s24, -1
	s_add_i32 s25, s25, 4
	s_cmp_eq_u32 s24, 0
	s_cbranch_scc1 .LBB9_44
; %bb.43:                               ;   in Loop: Header=BB9_22 Depth=1
	v_mov_b32_e32 v20, v21
	s_waitcnt lgkmcnt(0)
	v_mov_b32_e32 v2, s25
	ds_read2_b32 v[2:3], v2 offset1:32
	s_and_b64 vcc, exec, s[4:5]
	s_cbranch_vccz .LBB9_40
	s_branch .LBB9_39
.LBB9_44:                               ;   in Loop: Header=BB9_22 Depth=1
	ds_write_b32 v16, v21
	s_waitcnt lgkmcnt(0)
	ds_read_b32 v3, v19
	ds_read_b32 v2, v9
	s_waitcnt lgkmcnt(1)
	v_cmp_neq_f32_e32 vcc, 0, v3
	s_or_b64 s[22:23], vcc, s[0:1]
	v_cndmask_b32_e32 v3, 1.0, v3, vcc
	s_xor_b64 s[24:25], s[22:23], -1
	s_and_saveexec_b64 s[22:23], s[24:25]
	s_cbranch_execz .LBB9_48
; %bb.45:                               ;   in Loop: Header=BB9_22 Depth=1
	v_mbcnt_lo_u32_b32 v3, exec_lo, 0
	v_mbcnt_hi_u32_b32 v3, exec_hi, v3
	v_cmp_eq_u32_e32 vcc, 0, v3
	s_and_saveexec_b64 s[24:25], vcc
	s_cbranch_execz .LBB9_47
; %bb.46:                               ;   in Loop: Header=BB9_22 Depth=1
	v_mov_b32_e32 v3, s21
	global_atomic_smin v19, v3, s[14:15]
.LBB9_47:                               ;   in Loop: Header=BB9_22 Depth=1
	s_or_b64 exec, exec, s[24:25]
	v_mov_b32_e32 v3, 1.0
.LBB9_48:                               ;   in Loop: Header=BB9_22 Depth=1
	s_or_b64 exec, exec, s[22:23]
	ds_read_b32 v20, v11
	s_waitcnt lgkmcnt(0)
	v_sub_f32_e32 v2, v2, v20
	v_div_scale_f32 v20, s[22:23], v3, v3, v2
	v_rcp_f32_e32 v21, v20
	v_div_scale_f32 v22, vcc, v2, v3, v2
	v_fma_f32 v23, -v20, v21, 1.0
	v_fmac_f32_e32 v21, v23, v21
	v_mul_f32_e32 v23, v22, v21
	v_fma_f32 v24, -v20, v23, v22
	v_fmac_f32_e32 v23, v24, v21
	v_fma_f32 v20, -v20, v23, v22
	v_div_fmas_f32 v20, v20, v21, v23
	v_div_fixup_f32 v2, v20, v3, v2
	ds_write_b32 v9, v2
	s_waitcnt lgkmcnt(0)
	ds_read_b32 v3, v17
	ds_read_b32 v20, v5
	s_waitcnt lgkmcnt(0)
	v_fmac_f32_e32 v20, v2, v3
	ds_write_b32 v5, v20
	s_waitcnt lgkmcnt(0)
	ds_read_b32 v3, v19 offset:40
	ds_read_b32 v2, v9 offset:4
	s_waitcnt lgkmcnt(1)
	v_cmp_neq_f32_e32 vcc, 0, v3
	s_or_b64 s[22:23], vcc, s[0:1]
	v_cndmask_b32_e32 v3, 1.0, v3, vcc
	s_xor_b64 s[24:25], s[22:23], -1
	s_and_saveexec_b64 s[22:23], s[24:25]
	s_cbranch_execz .LBB9_52
; %bb.49:                               ;   in Loop: Header=BB9_22 Depth=1
	v_mbcnt_lo_u32_b32 v3, exec_lo, 0
	v_mbcnt_hi_u32_b32 v3, exec_hi, v3
	v_cmp_eq_u32_e32 vcc, 0, v3
	s_and_saveexec_b64 s[24:25], vcc
	s_cbranch_execz .LBB9_51
; %bb.50:                               ;   in Loop: Header=BB9_22 Depth=1
	v_mov_b32_e32 v3, s21
	global_atomic_smin v19, v3, s[14:15]
.LBB9_51:                               ;   in Loop: Header=BB9_22 Depth=1
	s_or_b64 exec, exec, s[24:25]
	v_mov_b32_e32 v3, 1.0
.LBB9_52:                               ;   in Loop: Header=BB9_22 Depth=1
	s_or_b64 exec, exec, s[22:23]
	ds_read_b32 v20, v9
	ds_read_b32 v21, v19 offset:36
	ds_read_b32 v22, v11 offset:4
	s_waitcnt lgkmcnt(0)
	v_fmac_f32_e32 v22, v21, v20
	v_sub_f32_e32 v2, v2, v22
	v_div_scale_f32 v20, s[22:23], v3, v3, v2
	v_rcp_f32_e32 v21, v20
	v_div_scale_f32 v22, vcc, v2, v3, v2
	v_fma_f32 v23, -v20, v21, 1.0
	v_fmac_f32_e32 v21, v23, v21
	v_mul_f32_e32 v23, v22, v21
	v_fma_f32 v24, -v20, v23, v22
	v_fmac_f32_e32 v23, v24, v21
	v_fma_f32 v20, -v20, v23, v22
	v_div_fmas_f32 v20, v20, v21, v23
	v_div_fixup_f32 v2, v20, v3, v2
	ds_write_b32 v9, v2 offset:4
	s_waitcnt lgkmcnt(0)
	ds_read_b32 v3, v17 offset:4
	ds_read_b32 v20, v5
	s_waitcnt lgkmcnt(0)
	v_fmac_f32_e32 v20, v2, v3
	ds_write_b32 v5, v20
	s_waitcnt lgkmcnt(0)
	ds_read_b32 v3, v19 offset:80
	ds_read_b32 v2, v9 offset:8
	s_waitcnt lgkmcnt(1)
	v_cmp_neq_f32_e32 vcc, 0, v3
	s_or_b64 s[22:23], vcc, s[0:1]
	v_cndmask_b32_e32 v3, 1.0, v3, vcc
	s_xor_b64 s[24:25], s[22:23], -1
	s_and_saveexec_b64 s[22:23], s[24:25]
	s_cbranch_execz .LBB9_56
; %bb.53:                               ;   in Loop: Header=BB9_22 Depth=1
	v_mbcnt_lo_u32_b32 v3, exec_lo, 0
	v_mbcnt_hi_u32_b32 v3, exec_hi, v3
	v_cmp_eq_u32_e32 vcc, 0, v3
	s_and_saveexec_b64 s[24:25], vcc
	s_cbranch_execz .LBB9_55
; %bb.54:                               ;   in Loop: Header=BB9_22 Depth=1
	v_mov_b32_e32 v3, s21
	global_atomic_smin v19, v3, s[14:15]
.LBB9_55:                               ;   in Loop: Header=BB9_22 Depth=1
	s_or_b64 exec, exec, s[24:25]
	v_mov_b32_e32 v3, 1.0
.LBB9_56:                               ;   in Loop: Header=BB9_22 Depth=1
	s_or_b64 exec, exec, s[22:23]
	ds_read2_b32 v[20:21], v9 offset1:1
	ds_read_b64 v[22:23], v19 offset:72
	ds_read_b32 v24, v11 offset:8
	s_waitcnt lgkmcnt(0)
	v_fmac_f32_e32 v24, v22, v20
	v_fmac_f32_e32 v24, v23, v21
	v_sub_f32_e32 v2, v2, v24
	v_div_scale_f32 v20, s[22:23], v3, v3, v2
	v_rcp_f32_e32 v21, v20
	v_div_scale_f32 v22, vcc, v2, v3, v2
	v_fma_f32 v23, -v20, v21, 1.0
	v_fmac_f32_e32 v21, v23, v21
	v_mul_f32_e32 v23, v22, v21
	v_fma_f32 v24, -v20, v23, v22
	v_fmac_f32_e32 v23, v24, v21
	v_fma_f32 v20, -v20, v23, v22
	v_div_fmas_f32 v20, v20, v21, v23
	v_div_fixup_f32 v2, v20, v3, v2
	ds_write_b32 v9, v2 offset:8
	s_waitcnt lgkmcnt(0)
	ds_read_b32 v3, v17 offset:8
	ds_read_b32 v20, v5
	s_waitcnt lgkmcnt(0)
	v_fmac_f32_e32 v20, v2, v3
	ds_write_b32 v5, v20
	s_waitcnt lgkmcnt(0)
	ds_read_b32 v3, v19 offset:120
	ds_read_b32 v2, v9 offset:12
	s_waitcnt lgkmcnt(1)
	v_cmp_neq_f32_e32 vcc, 0, v3
	s_or_b64 s[22:23], vcc, s[0:1]
	v_cndmask_b32_e32 v3, 1.0, v3, vcc
	s_xor_b64 s[24:25], s[22:23], -1
	s_and_saveexec_b64 s[22:23], s[24:25]
	s_cbranch_execz .LBB9_60
; %bb.57:                               ;   in Loop: Header=BB9_22 Depth=1
	v_mbcnt_lo_u32_b32 v3, exec_lo, 0
	v_mbcnt_hi_u32_b32 v3, exec_hi, v3
	v_cmp_eq_u32_e32 vcc, 0, v3
	s_and_saveexec_b64 s[24:25], vcc
	s_cbranch_execz .LBB9_59
; %bb.58:                               ;   in Loop: Header=BB9_22 Depth=1
	v_mov_b32_e32 v3, s21
	global_atomic_smin v19, v3, s[14:15]
.LBB9_59:                               ;   in Loop: Header=BB9_22 Depth=1
	s_or_b64 exec, exec, s[24:25]
	v_mov_b32_e32 v3, 1.0
.LBB9_60:                               ;   in Loop: Header=BB9_22 Depth=1
	s_or_b64 exec, exec, s[22:23]
	ds_read2_b32 v[20:21], v19 offset0:27 offset1:28
	ds_read_b32 v24, v11 offset:12
	ds_read2_b32 v[22:23], v9 offset1:1
	ds_read_b32 v25, v9 offset:8
	ds_read_b32 v26, v19 offset:116
	s_waitcnt lgkmcnt(2)
	v_fmac_f32_e32 v24, v20, v22
	v_fmac_f32_e32 v24, v21, v23
	s_waitcnt lgkmcnt(0)
	v_fmac_f32_e32 v24, v26, v25
	v_sub_f32_e32 v2, v2, v24
	v_div_scale_f32 v20, s[22:23], v3, v3, v2
	v_rcp_f32_e32 v21, v20
	v_div_scale_f32 v22, vcc, v2, v3, v2
	v_fma_f32 v23, -v20, v21, 1.0
	v_fmac_f32_e32 v21, v23, v21
	v_mul_f32_e32 v23, v22, v21
	v_fma_f32 v24, -v20, v23, v22
	v_fmac_f32_e32 v23, v24, v21
	v_fma_f32 v20, -v20, v23, v22
	v_div_fmas_f32 v20, v20, v21, v23
	v_div_fixup_f32 v2, v20, v3, v2
	ds_write_b32 v9, v2 offset:12
	s_waitcnt lgkmcnt(0)
	ds_read_b32 v3, v17 offset:12
	ds_read_b32 v20, v5
	s_waitcnt lgkmcnt(0)
	v_fmac_f32_e32 v20, v2, v3
	ds_write_b32 v5, v20
	s_waitcnt lgkmcnt(0)
	ds_read_b32 v3, v19 offset:160
	ds_read_b32 v2, v9 offset:16
	s_waitcnt lgkmcnt(1)
	v_cmp_neq_f32_e32 vcc, 0, v3
	s_or_b64 s[22:23], vcc, s[0:1]
	v_cndmask_b32_e32 v3, 1.0, v3, vcc
	s_xor_b64 s[24:25], s[22:23], -1
	s_and_saveexec_b64 s[22:23], s[24:25]
	s_cbranch_execz .LBB9_64
; %bb.61:                               ;   in Loop: Header=BB9_22 Depth=1
	v_mbcnt_lo_u32_b32 v3, exec_lo, 0
	v_mbcnt_hi_u32_b32 v3, exec_hi, v3
	v_cmp_eq_u32_e32 vcc, 0, v3
	s_and_saveexec_b64 s[24:25], vcc
	s_cbranch_execz .LBB9_63
; %bb.62:                               ;   in Loop: Header=BB9_22 Depth=1
	v_mov_b32_e32 v3, s21
	global_atomic_smin v19, v3, s[14:15]
.LBB9_63:                               ;   in Loop: Header=BB9_22 Depth=1
	s_or_b64 exec, exec, s[24:25]
	v_mov_b32_e32 v3, 1.0
.LBB9_64:                               ;   in Loop: Header=BB9_22 Depth=1
	s_or_b64 exec, exec, s[22:23]
	ds_read_b128 v[20:23], v19 offset:144
	ds_read_b32 v28, v11 offset:16
	ds_read2_b32 v[24:25], v9 offset1:1
	ds_read2_b32 v[26:27], v9 offset0:2 offset1:3
	s_waitcnt lgkmcnt(1)
	v_fmac_f32_e32 v28, v20, v24
	v_fmac_f32_e32 v28, v21, v25
	s_waitcnt lgkmcnt(0)
	v_fmac_f32_e32 v28, v22, v26
	v_fmac_f32_e32 v28, v23, v27
	v_sub_f32_e32 v2, v2, v28
	v_div_scale_f32 v20, s[22:23], v3, v3, v2
	v_rcp_f32_e32 v21, v20
	v_div_scale_f32 v22, vcc, v2, v3, v2
	v_fma_f32 v23, -v20, v21, 1.0
	v_fmac_f32_e32 v21, v23, v21
	v_mul_f32_e32 v23, v22, v21
	v_fma_f32 v24, -v20, v23, v22
	v_fmac_f32_e32 v23, v24, v21
	v_fma_f32 v20, -v20, v23, v22
	v_div_fmas_f32 v20, v20, v21, v23
	v_div_fixup_f32 v2, v20, v3, v2
	ds_write_b32 v9, v2 offset:16
	s_waitcnt lgkmcnt(0)
	ds_read_b32 v3, v17 offset:16
	ds_read_b32 v20, v5
	s_waitcnt lgkmcnt(0)
	v_fmac_f32_e32 v20, v2, v3
	ds_write_b32 v5, v20
	s_waitcnt lgkmcnt(0)
	ds_read_b32 v3, v19 offset:200
	ds_read_b32 v2, v9 offset:20
	s_waitcnt lgkmcnt(1)
	v_cmp_neq_f32_e32 vcc, 0, v3
	s_or_b64 s[22:23], vcc, s[0:1]
	v_cndmask_b32_e32 v3, 1.0, v3, vcc
	s_xor_b64 s[24:25], s[22:23], -1
	s_and_saveexec_b64 s[22:23], s[24:25]
	s_cbranch_execz .LBB9_68
; %bb.65:                               ;   in Loop: Header=BB9_22 Depth=1
	v_mbcnt_lo_u32_b32 v3, exec_lo, 0
	v_mbcnt_hi_u32_b32 v3, exec_hi, v3
	v_cmp_eq_u32_e32 vcc, 0, v3
	s_and_saveexec_b64 s[24:25], vcc
	s_cbranch_execz .LBB9_67
; %bb.66:                               ;   in Loop: Header=BB9_22 Depth=1
	v_mov_b32_e32 v3, s21
	global_atomic_smin v19, v3, s[14:15]
.LBB9_67:                               ;   in Loop: Header=BB9_22 Depth=1
	s_or_b64 exec, exec, s[24:25]
	v_mov_b32_e32 v3, 1.0
.LBB9_68:                               ;   in Loop: Header=BB9_22 Depth=1
	s_or_b64 exec, exec, s[22:23]
	ds_read2_b32 v[20:21], v19 offset0:45 offset1:46
	ds_read2_b32 v[22:23], v9 offset1:1
	ds_read_b32 v28, v11 offset:20
	ds_read2_b32 v[24:25], v19 offset0:47 offset1:48
	ds_read2_b32 v[26:27], v9 offset0:2 offset1:3
	ds_read_b32 v29, v9 offset:16
	ds_read_b32 v30, v19 offset:196
	s_waitcnt lgkmcnt(4)
	v_fmac_f32_e32 v28, v20, v22
	v_fmac_f32_e32 v28, v21, v23
	s_waitcnt lgkmcnt(2)
	v_fmac_f32_e32 v28, v24, v26
	v_fmac_f32_e32 v28, v25, v27
	s_waitcnt lgkmcnt(0)
	v_fmac_f32_e32 v28, v30, v29
	v_sub_f32_e32 v2, v2, v28
	v_div_scale_f32 v20, s[22:23], v3, v3, v2
	v_rcp_f32_e32 v21, v20
	v_fma_f32 v22, -v20, v21, 1.0
	v_fmac_f32_e32 v21, v22, v21
	v_div_scale_f32 v22, vcc, v2, v3, v2
	v_mul_f32_e32 v23, v22, v21
	v_fma_f32 v24, -v20, v23, v22
	v_fmac_f32_e32 v23, v24, v21
	v_fma_f32 v20, -v20, v23, v22
	v_div_fmas_f32 v20, v20, v21, v23
	v_div_fixup_f32 v2, v20, v3, v2
	ds_write_b32 v9, v2 offset:20
	s_waitcnt lgkmcnt(0)
	ds_read_b32 v3, v17 offset:20
	ds_read_b32 v20, v5
	s_waitcnt lgkmcnt(0)
	v_fmac_f32_e32 v20, v2, v3
	ds_write_b32 v5, v20
	s_waitcnt lgkmcnt(0)
	ds_read_b32 v3, v19 offset:240
	ds_read_b32 v2, v9 offset:24
	s_waitcnt lgkmcnt(1)
	v_cmp_neq_f32_e32 vcc, 0, v3
	s_or_b64 s[22:23], vcc, s[0:1]
	v_cndmask_b32_e32 v3, 1.0, v3, vcc
	s_xor_b64 s[24:25], s[22:23], -1
	s_and_saveexec_b64 s[22:23], s[24:25]
	s_cbranch_execz .LBB9_72
; %bb.69:                               ;   in Loop: Header=BB9_22 Depth=1
	v_mbcnt_lo_u32_b32 v3, exec_lo, 0
	v_mbcnt_hi_u32_b32 v3, exec_hi, v3
	v_cmp_eq_u32_e32 vcc, 0, v3
	s_and_saveexec_b64 s[24:25], vcc
	s_cbranch_execz .LBB9_71
; %bb.70:                               ;   in Loop: Header=BB9_22 Depth=1
	v_mov_b32_e32 v3, s21
	global_atomic_smin v19, v3, s[14:15]
.LBB9_71:                               ;   in Loop: Header=BB9_22 Depth=1
	s_or_b64 exec, exec, s[24:25]
	v_mov_b32_e32 v3, 1.0
.LBB9_72:                               ;   in Loop: Header=BB9_22 Depth=1
	s_or_b64 exec, exec, s[22:23]
	ds_read2_b64 v[20:23], v19 offset0:27 offset1:28
	ds_read2_b32 v[24:25], v9 offset1:1
	ds_read_b32 v32, v11 offset:24
	ds_read2_b32 v[26:27], v9 offset0:2 offset1:3
	ds_read2_b32 v[28:29], v9 offset0:4 offset1:5
	ds_read_b64 v[30:31], v19 offset:232
	s_waitcnt lgkmcnt(3)
	v_fmac_f32_e32 v32, v20, v24
	v_fmac_f32_e32 v32, v21, v25
	s_waitcnt lgkmcnt(2)
	v_fmac_f32_e32 v32, v22, v26
	v_fmac_f32_e32 v32, v23, v27
	;; [unrolled: 3-line block ×3, first 2 shown]
	v_sub_f32_e32 v2, v2, v32
	v_div_scale_f32 v20, s[22:23], v3, v3, v2
	v_rcp_f32_e32 v21, v20
	v_fma_f32 v22, -v20, v21, 1.0
	v_fmac_f32_e32 v21, v22, v21
	v_div_scale_f32 v22, vcc, v2, v3, v2
	v_mul_f32_e32 v23, v22, v21
	v_fma_f32 v24, -v20, v23, v22
	v_fmac_f32_e32 v23, v24, v21
	v_fma_f32 v20, -v20, v23, v22
	v_div_fmas_f32 v20, v20, v21, v23
	v_div_fixup_f32 v2, v20, v3, v2
	ds_write_b32 v9, v2 offset:24
	s_waitcnt lgkmcnt(0)
	ds_read_b32 v3, v17 offset:24
	ds_read_b32 v20, v5
	s_waitcnt lgkmcnt(0)
	v_fmac_f32_e32 v20, v2, v3
	ds_write_b32 v5, v20
	s_waitcnt lgkmcnt(0)
	ds_read_b32 v3, v19 offset:280
	ds_read_b32 v2, v9 offset:28
	s_waitcnt lgkmcnt(1)
	v_cmp_neq_f32_e32 vcc, 0, v3
	s_or_b64 s[22:23], vcc, s[0:1]
	v_cndmask_b32_e32 v3, 1.0, v3, vcc
	s_xor_b64 s[24:25], s[22:23], -1
	s_and_saveexec_b64 s[22:23], s[24:25]
	s_cbranch_execz .LBB9_20
; %bb.73:                               ;   in Loop: Header=BB9_22 Depth=1
	v_mbcnt_lo_u32_b32 v3, exec_lo, 0
	v_mbcnt_hi_u32_b32 v3, exec_hi, v3
	v_cmp_eq_u32_e32 vcc, 0, v3
	s_and_saveexec_b64 s[24:25], vcc
	s_cbranch_execz .LBB9_19
; %bb.74:                               ;   in Loop: Header=BB9_22 Depth=1
	v_mov_b32_e32 v3, s21
	global_atomic_smin v19, v3, s[14:15]
	s_branch .LBB9_19
.LBB9_75:
	s_waitcnt lgkmcnt(0)
	s_cmp_eq_u32 s33, 0
	s_cselect_b64 vcc, -1, 0
	v_cndmask_b32_e32 v0, v7, v14, vcc
	v_lshl_add_u32 v0, s30, 6, v0
	v_ashrrev_i32_e32 v1, 31, v0
	v_lshlrev_b64 v[0:1], 2, v[0:1]
	v_mov_b32_e32 v2, s3
	v_add_co_u32_e32 v0, vcc, s2, v0
	v_addc_co_u32_e32 v1, vcc, v2, v1, vcc
	global_load_dword v2, v[0:1], off
	v_cmp_ne_u32_e32 vcc, 0, v13
	v_cmp_eq_u32_e64 s[0:1], 0, v13
	s_waitcnt vmcnt(0)
	ds_write_b32 v6, v2 offset:576
	s_waitcnt lgkmcnt(0)
	s_and_saveexec_b64 s[4:5], s[0:1]
	s_cbranch_execz .LBB9_77
; %bb.76:
	v_mov_b32_e32 v7, 0
	ds_read2_b32 v[2:3], v7 offset0:144 offset1:216
	s_mov_b32 s2, 0xf800000
	s_waitcnt lgkmcnt(0)
	v_sub_f32_e32 v2, v2, v3
	v_cmp_gt_f32_e64 s[0:1], 0, v2
	v_cndmask_b32_e64 v2, v2, -v2, s[0:1]
	v_mul_f32_e32 v3, 0x4f800000, v2
	v_cmp_gt_f32_e64 s[0:1], s2, v2
	v_cndmask_b32_e64 v2, v2, v3, s[0:1]
	v_sqrt_f32_e32 v3, v2
	v_add_u32_e32 v8, -1, v3
	v_add_u32_e32 v9, 1, v3
	v_fma_f32 v10, -v8, v3, v2
	v_fma_f32 v11, -v9, v3, v2
	v_cmp_ge_f32_e64 s[2:3], 0, v10
	v_cndmask_b32_e64 v3, v3, v8, s[2:3]
	v_cmp_lt_f32_e64 s[2:3], 0, v11
	v_cndmask_b32_e64 v3, v3, v9, s[2:3]
	v_mul_f32_e32 v8, 0x37800000, v3
	v_cndmask_b32_e64 v3, v3, v8, s[0:1]
	v_mov_b32_e32 v8, 0x260
	v_cmp_class_f32_e64 s[0:1], v2, v8
	v_cndmask_b32_e64 v2, v3, v2, s[0:1]
	ds_write_b32 v7, v2 offset:576
.LBB9_77:
	s_or_b64 exec, exec, s[4:5]
	v_mov_b32_e32 v2, 0
	s_waitcnt lgkmcnt(0)
	ds_read_b32 v2, v2 offset:576
	v_cmp_ne_u32_e64 s[0:1], 0, v4
	s_add_i32 s16, s12, s13
	s_waitcnt lgkmcnt(0)
	v_cmp_neq_f32_e64 s[2:3], 0, v2
	v_cndmask_b32_e64 v2, 1.0, v2, s[2:3]
	s_or_b64 s[2:3], s[2:3], s[0:1]
	s_xor_b64 s[2:3], s[2:3], -1
	s_and_saveexec_b64 s[4:5], s[2:3]
	s_cbranch_execz .LBB9_81
; %bb.78:
	v_mbcnt_lo_u32_b32 v2, exec_lo, 0
	v_mbcnt_hi_u32_b32 v2, exec_hi, v2
	v_cmp_eq_u32_e64 s[2:3], 0, v2
	s_and_saveexec_b64 s[8:9], s[2:3]
	s_cbranch_execz .LBB9_80
; %bb.79:
	v_mov_b32_e32 v2, 0
	v_mov_b32_e32 v3, s16
	global_atomic_smin v2, v3, s[14:15]
.LBB9_80:
	s_or_b64 exec, exec, s[8:9]
	v_mov_b32_e32 v2, 1.0
.LBB9_81:
	s_or_b64 exec, exec, s[4:5]
	s_and_saveexec_b64 s[2:3], vcc
	s_cbranch_execz .LBB9_83
; %bb.82:
	v_mul_u32_u24_e32 v3, 36, v13
	ds_read2_b32 v[8:9], v3 offset0:144 offset1:216
	v_mul_u32_u24_e32 v10, 36, v12
	s_waitcnt lgkmcnt(0)
	v_sub_f32_e32 v7, v8, v9
	v_div_scale_f32 v8, s[4:5], v2, v2, v7
	v_rcp_f32_e32 v9, v8
	v_div_scale_f32 v11, vcc, v7, v2, v7
	v_fma_f32 v14, -v8, v9, 1.0
	v_fmac_f32_e32 v9, v14, v9
	v_mul_f32_e32 v14, v11, v9
	v_fma_f32 v15, -v8, v14, v11
	v_fmac_f32_e32 v14, v15, v9
	v_fma_f32 v8, -v8, v14, v11
	v_div_fmas_f32 v8, v8, v9, v14
	v_div_fixup_f32 v2, v8, v2, v7
	ds_write_b32 v3, v2 offset:576
	s_waitcnt lgkmcnt(0)
	ds_read_b32 v3, v10 offset:576
	ds_read_b32 v7, v5
	s_waitcnt lgkmcnt(0)
	v_fmac_f32_e32 v7, v2, v3
	ds_write_b32 v5, v7
.LBB9_83:
	s_or_b64 exec, exec, s[2:3]
	v_cmp_eq_u32_e32 vcc, 1, v13
	s_waitcnt lgkmcnt(0)
	s_and_saveexec_b64 s[4:5], vcc
	s_cbranch_execz .LBB9_85
; %bb.84:
	v_mov_b32_e32 v7, 0
	ds_read2_b32 v[2:3], v7 offset0:154 offset1:226
	s_mov_b32 s2, 0xf800000
	s_waitcnt lgkmcnt(0)
	v_sub_f32_e32 v2, v2, v3
	v_cmp_gt_f32_e32 vcc, 0, v2
	v_cndmask_b32_e64 v2, v2, -v2, vcc
	v_mul_f32_e32 v3, 0x4f800000, v2
	v_cmp_gt_f32_e32 vcc, s2, v2
	v_cndmask_b32_e32 v2, v2, v3, vcc
	v_sqrt_f32_e32 v3, v2
	v_add_u32_e32 v8, -1, v3
	v_add_u32_e32 v9, 1, v3
	v_fma_f32 v10, -v8, v3, v2
	v_fma_f32 v11, -v9, v3, v2
	v_cmp_ge_f32_e64 s[2:3], 0, v10
	v_cndmask_b32_e64 v3, v3, v8, s[2:3]
	v_cmp_lt_f32_e64 s[2:3], 0, v11
	v_cndmask_b32_e64 v3, v3, v9, s[2:3]
	v_mul_f32_e32 v8, 0x37800000, v3
	v_cndmask_b32_e32 v3, v3, v8, vcc
	v_mov_b32_e32 v8, 0x260
	v_cmp_class_f32_e32 vcc, v2, v8
	v_cndmask_b32_e32 v2, v3, v2, vcc
	ds_write_b32 v7, v2 offset:616
.LBB9_85:
	s_or_b64 exec, exec, s[4:5]
	v_mov_b32_e32 v2, 0
	s_waitcnt lgkmcnt(0)
	ds_read_b32 v2, v2 offset:616
	s_waitcnt lgkmcnt(0)
	v_cmp_neq_f32_e32 vcc, 0, v2
	s_or_b64 s[2:3], vcc, s[0:1]
	v_cndmask_b32_e32 v2, 1.0, v2, vcc
	s_xor_b64 s[4:5], s[2:3], -1
	s_and_saveexec_b64 s[2:3], s[4:5]
	s_cbranch_execz .LBB9_89
; %bb.86:
	v_mbcnt_lo_u32_b32 v2, exec_lo, 0
	v_mbcnt_hi_u32_b32 v2, exec_hi, v2
	v_cmp_eq_u32_e32 vcc, 0, v2
	s_and_saveexec_b64 s[4:5], vcc
	s_cbranch_execz .LBB9_88
; %bb.87:
	v_mov_b32_e32 v2, 0
	v_mov_b32_e32 v3, s16
	global_atomic_smin v2, v3, s[14:15]
.LBB9_88:
	s_or_b64 exec, exec, s[4:5]
	v_mov_b32_e32 v2, 1.0
.LBB9_89:
	s_or_b64 exec, exec, s[2:3]
	v_cmp_lt_u32_e32 vcc, 1, v13
	s_and_saveexec_b64 s[2:3], vcc
	s_cbranch_execz .LBB9_91
; %bb.90:
	v_mul_u32_u24_e32 v3, 36, v13
	ds_read2_b32 v[8:9], v3 offset0:145 offset1:217
	v_mul_u32_u24_e32 v10, 36, v12
	s_waitcnt lgkmcnt(0)
	v_sub_f32_e32 v7, v8, v9
	v_div_scale_f32 v8, s[4:5], v2, v2, v7
	v_rcp_f32_e32 v9, v8
	v_div_scale_f32 v11, vcc, v7, v2, v7
	v_fma_f32 v14, -v8, v9, 1.0
	v_fmac_f32_e32 v9, v14, v9
	v_mul_f32_e32 v14, v11, v9
	v_fma_f32 v15, -v8, v14, v11
	v_fmac_f32_e32 v14, v15, v9
	v_fma_f32 v8, -v8, v14, v11
	v_div_fmas_f32 v8, v8, v9, v14
	v_div_fixup_f32 v2, v8, v2, v7
	ds_write_b32 v3, v2 offset:580
	s_waitcnt lgkmcnt(0)
	ds_read_b32 v3, v10 offset:580
	ds_read_b32 v7, v5
	s_waitcnt lgkmcnt(0)
	v_fmac_f32_e32 v7, v2, v3
	ds_write_b32 v5, v7
.LBB9_91:
	s_or_b64 exec, exec, s[2:3]
	v_cmp_eq_u32_e32 vcc, 2, v13
	s_waitcnt lgkmcnt(0)
	s_and_saveexec_b64 s[4:5], vcc
	s_cbranch_execz .LBB9_93
; %bb.92:
	v_mov_b32_e32 v7, 0
	ds_read2_b32 v[2:3], v7 offset0:164 offset1:236
	s_mov_b32 s2, 0xf800000
	s_waitcnt lgkmcnt(0)
	v_sub_f32_e32 v2, v2, v3
	v_cmp_gt_f32_e32 vcc, 0, v2
	v_cndmask_b32_e64 v2, v2, -v2, vcc
	v_mul_f32_e32 v3, 0x4f800000, v2
	v_cmp_gt_f32_e32 vcc, s2, v2
	v_cndmask_b32_e32 v2, v2, v3, vcc
	v_sqrt_f32_e32 v3, v2
	v_add_u32_e32 v8, -1, v3
	v_add_u32_e32 v9, 1, v3
	v_fma_f32 v10, -v8, v3, v2
	v_fma_f32 v11, -v9, v3, v2
	v_cmp_ge_f32_e64 s[2:3], 0, v10
	v_cndmask_b32_e64 v3, v3, v8, s[2:3]
	v_cmp_lt_f32_e64 s[2:3], 0, v11
	v_cndmask_b32_e64 v3, v3, v9, s[2:3]
	v_mul_f32_e32 v8, 0x37800000, v3
	v_cndmask_b32_e32 v3, v3, v8, vcc
	v_mov_b32_e32 v8, 0x260
	v_cmp_class_f32_e32 vcc, v2, v8
	v_cndmask_b32_e32 v2, v3, v2, vcc
	ds_write_b32 v7, v2 offset:656
.LBB9_93:
	s_or_b64 exec, exec, s[4:5]
	v_mov_b32_e32 v2, 0
	s_waitcnt lgkmcnt(0)
	ds_read_b32 v2, v2 offset:656
	s_waitcnt lgkmcnt(0)
	v_cmp_neq_f32_e32 vcc, 0, v2
	s_or_b64 s[2:3], vcc, s[0:1]
	v_cndmask_b32_e32 v2, 1.0, v2, vcc
	s_xor_b64 s[4:5], s[2:3], -1
	s_and_saveexec_b64 s[2:3], s[4:5]
	s_cbranch_execz .LBB9_97
; %bb.94:
	v_mbcnt_lo_u32_b32 v2, exec_lo, 0
	v_mbcnt_hi_u32_b32 v2, exec_hi, v2
	v_cmp_eq_u32_e32 vcc, 0, v2
	s_and_saveexec_b64 s[4:5], vcc
	s_cbranch_execz .LBB9_96
; %bb.95:
	v_mov_b32_e32 v2, 0
	v_mov_b32_e32 v3, s16
	global_atomic_smin v2, v3, s[14:15]
.LBB9_96:
	s_or_b64 exec, exec, s[4:5]
	v_mov_b32_e32 v2, 1.0
.LBB9_97:
	s_or_b64 exec, exec, s[2:3]
	v_cmp_lt_u32_e32 vcc, 2, v13
	s_and_saveexec_b64 s[2:3], vcc
	s_cbranch_execz .LBB9_99
; %bb.98:
	v_mul_u32_u24_e32 v3, 36, v13
	ds_read2_b32 v[8:9], v3 offset0:146 offset1:218
	v_mul_u32_u24_e32 v10, 36, v12
	s_waitcnt lgkmcnt(0)
	v_sub_f32_e32 v7, v8, v9
	v_div_scale_f32 v8, s[4:5], v2, v2, v7
	v_rcp_f32_e32 v9, v8
	v_div_scale_f32 v11, vcc, v7, v2, v7
	v_fma_f32 v14, -v8, v9, 1.0
	v_fmac_f32_e32 v9, v14, v9
	v_mul_f32_e32 v14, v11, v9
	v_fma_f32 v15, -v8, v14, v11
	v_fmac_f32_e32 v14, v15, v9
	v_fma_f32 v8, -v8, v14, v11
	v_div_fmas_f32 v8, v8, v9, v14
	v_div_fixup_f32 v2, v8, v2, v7
	ds_write_b32 v3, v2 offset:584
	s_waitcnt lgkmcnt(0)
	ds_read_b32 v3, v10 offset:584
	ds_read_b32 v7, v5
	s_waitcnt lgkmcnt(0)
	v_fmac_f32_e32 v7, v2, v3
	ds_write_b32 v5, v7
.LBB9_99:
	s_or_b64 exec, exec, s[2:3]
	v_cmp_eq_u32_e32 vcc, 3, v13
	s_waitcnt lgkmcnt(0)
	s_and_saveexec_b64 s[4:5], vcc
	s_cbranch_execz .LBB9_101
; %bb.100:
	v_mov_b32_e32 v7, 0
	ds_read2_b32 v[2:3], v7 offset0:174 offset1:246
	s_mov_b32 s2, 0xf800000
	s_waitcnt lgkmcnt(0)
	v_sub_f32_e32 v2, v2, v3
	v_cmp_gt_f32_e32 vcc, 0, v2
	v_cndmask_b32_e64 v2, v2, -v2, vcc
	v_mul_f32_e32 v3, 0x4f800000, v2
	v_cmp_gt_f32_e32 vcc, s2, v2
	v_cndmask_b32_e32 v2, v2, v3, vcc
	v_sqrt_f32_e32 v3, v2
	v_add_u32_e32 v8, -1, v3
	v_add_u32_e32 v9, 1, v3
	v_fma_f32 v10, -v8, v3, v2
	v_fma_f32 v11, -v9, v3, v2
	v_cmp_ge_f32_e64 s[2:3], 0, v10
	v_cndmask_b32_e64 v3, v3, v8, s[2:3]
	v_cmp_lt_f32_e64 s[2:3], 0, v11
	v_cndmask_b32_e64 v3, v3, v9, s[2:3]
	v_mul_f32_e32 v8, 0x37800000, v3
	v_cndmask_b32_e32 v3, v3, v8, vcc
	v_mov_b32_e32 v8, 0x260
	v_cmp_class_f32_e32 vcc, v2, v8
	v_cndmask_b32_e32 v2, v3, v2, vcc
	ds_write_b32 v7, v2 offset:696
.LBB9_101:
	s_or_b64 exec, exec, s[4:5]
	v_mov_b32_e32 v2, 0
	s_waitcnt lgkmcnt(0)
	ds_read_b32 v2, v2 offset:696
	s_waitcnt lgkmcnt(0)
	v_cmp_neq_f32_e32 vcc, 0, v2
	s_or_b64 s[2:3], vcc, s[0:1]
	v_cndmask_b32_e32 v2, 1.0, v2, vcc
	s_xor_b64 s[4:5], s[2:3], -1
	s_and_saveexec_b64 s[2:3], s[4:5]
	s_cbranch_execz .LBB9_105
; %bb.102:
	v_mbcnt_lo_u32_b32 v2, exec_lo, 0
	v_mbcnt_hi_u32_b32 v2, exec_hi, v2
	v_cmp_eq_u32_e32 vcc, 0, v2
	s_and_saveexec_b64 s[4:5], vcc
	s_cbranch_execz .LBB9_104
; %bb.103:
	v_mov_b32_e32 v2, 0
	v_mov_b32_e32 v3, s16
	global_atomic_smin v2, v3, s[14:15]
.LBB9_104:
	s_or_b64 exec, exec, s[4:5]
	v_mov_b32_e32 v2, 1.0
.LBB9_105:
	s_or_b64 exec, exec, s[2:3]
	v_cmp_lt_u32_e32 vcc, 3, v13
	s_and_saveexec_b64 s[2:3], vcc
	s_cbranch_execz .LBB9_107
; %bb.106:
	v_mul_u32_u24_e32 v3, 36, v13
	ds_read2_b32 v[8:9], v3 offset0:147 offset1:219
	v_mul_u32_u24_e32 v10, 36, v12
	s_waitcnt lgkmcnt(0)
	v_sub_f32_e32 v7, v8, v9
	v_div_scale_f32 v8, s[4:5], v2, v2, v7
	v_rcp_f32_e32 v9, v8
	v_div_scale_f32 v11, vcc, v7, v2, v7
	v_fma_f32 v14, -v8, v9, 1.0
	v_fmac_f32_e32 v9, v14, v9
	v_mul_f32_e32 v14, v11, v9
	v_fma_f32 v15, -v8, v14, v11
	v_fmac_f32_e32 v14, v15, v9
	v_fma_f32 v8, -v8, v14, v11
	v_div_fmas_f32 v8, v8, v9, v14
	v_div_fixup_f32 v2, v8, v2, v7
	ds_write_b32 v3, v2 offset:588
	s_waitcnt lgkmcnt(0)
	ds_read_b32 v3, v10 offset:588
	ds_read_b32 v7, v5
	s_waitcnt lgkmcnt(0)
	v_fmac_f32_e32 v7, v2, v3
	ds_write_b32 v5, v7
.LBB9_107:
	s_or_b64 exec, exec, s[2:3]
	v_cmp_eq_u32_e32 vcc, 4, v13
	s_waitcnt lgkmcnt(0)
	s_and_saveexec_b64 s[4:5], vcc
	s_cbranch_execz .LBB9_109
; %bb.108:
	s_movk_i32 s2, 0x200
	v_add_u32_e64 v2, s2, 0
	ds_read2_b32 v[2:3], v2 offset0:56 offset1:128
	s_mov_b32 s2, 0xf800000
	v_mov_b32_e32 v7, 0
	s_waitcnt lgkmcnt(0)
	v_sub_f32_e32 v2, v2, v3
	v_cmp_gt_f32_e32 vcc, 0, v2
	v_cndmask_b32_e64 v2, v2, -v2, vcc
	v_mul_f32_e32 v3, 0x4f800000, v2
	v_cmp_gt_f32_e32 vcc, s2, v2
	v_cndmask_b32_e32 v2, v2, v3, vcc
	v_sqrt_f32_e32 v3, v2
	v_add_u32_e32 v8, -1, v3
	v_add_u32_e32 v9, 1, v3
	v_fma_f32 v10, -v8, v3, v2
	v_fma_f32 v11, -v9, v3, v2
	v_cmp_ge_f32_e64 s[2:3], 0, v10
	v_cndmask_b32_e64 v3, v3, v8, s[2:3]
	v_cmp_lt_f32_e64 s[2:3], 0, v11
	v_cndmask_b32_e64 v3, v3, v9, s[2:3]
	v_mul_f32_e32 v8, 0x37800000, v3
	v_cndmask_b32_e32 v3, v3, v8, vcc
	v_mov_b32_e32 v8, 0x260
	v_cmp_class_f32_e32 vcc, v2, v8
	v_cndmask_b32_e32 v2, v3, v2, vcc
	ds_write_b32 v7, v2 offset:736
.LBB9_109:
	s_or_b64 exec, exec, s[4:5]
	v_mov_b32_e32 v2, 0
	s_waitcnt lgkmcnt(0)
	ds_read_b32 v2, v2 offset:736
	s_waitcnt lgkmcnt(0)
	v_cmp_neq_f32_e32 vcc, 0, v2
	s_or_b64 s[2:3], vcc, s[0:1]
	v_cndmask_b32_e32 v2, 1.0, v2, vcc
	s_xor_b64 s[4:5], s[2:3], -1
	s_and_saveexec_b64 s[2:3], s[4:5]
	s_cbranch_execz .LBB9_113
; %bb.110:
	v_mbcnt_lo_u32_b32 v2, exec_lo, 0
	v_mbcnt_hi_u32_b32 v2, exec_hi, v2
	v_cmp_eq_u32_e32 vcc, 0, v2
	s_and_saveexec_b64 s[4:5], vcc
	s_cbranch_execz .LBB9_112
; %bb.111:
	v_mov_b32_e32 v2, 0
	v_mov_b32_e32 v3, s16
	global_atomic_smin v2, v3, s[14:15]
.LBB9_112:
	s_or_b64 exec, exec, s[4:5]
	v_mov_b32_e32 v2, 1.0
.LBB9_113:
	s_or_b64 exec, exec, s[2:3]
	v_cmp_lt_u32_e32 vcc, 4, v13
	s_and_saveexec_b64 s[2:3], vcc
	s_cbranch_execz .LBB9_115
; %bb.114:
	v_mul_u32_u24_e32 v3, 36, v13
	ds_read2_b32 v[8:9], v3 offset0:148 offset1:220
	v_mul_u32_u24_e32 v10, 36, v12
	s_waitcnt lgkmcnt(0)
	v_sub_f32_e32 v7, v8, v9
	v_div_scale_f32 v8, s[4:5], v2, v2, v7
	v_rcp_f32_e32 v9, v8
	v_div_scale_f32 v11, vcc, v7, v2, v7
	v_fma_f32 v14, -v8, v9, 1.0
	v_fmac_f32_e32 v9, v14, v9
	v_mul_f32_e32 v14, v11, v9
	v_fma_f32 v15, -v8, v14, v11
	v_fmac_f32_e32 v14, v15, v9
	v_fma_f32 v8, -v8, v14, v11
	v_div_fmas_f32 v8, v8, v9, v14
	v_div_fixup_f32 v2, v8, v2, v7
	ds_write_b32 v3, v2 offset:592
	s_waitcnt lgkmcnt(0)
	ds_read_b32 v3, v10 offset:592
	ds_read_b32 v7, v5
	s_waitcnt lgkmcnt(0)
	v_fmac_f32_e32 v7, v2, v3
	ds_write_b32 v5, v7
.LBB9_115:
	s_or_b64 exec, exec, s[2:3]
	v_cmp_eq_u32_e32 vcc, 5, v13
	s_waitcnt lgkmcnt(0)
	s_and_saveexec_b64 s[4:5], vcc
	s_cbranch_execz .LBB9_117
; %bb.116:
	s_movk_i32 s2, 0x200
	v_add_u32_e64 v2, s2, 0
	ds_read2_b32 v[2:3], v2 offset0:66 offset1:138
	s_mov_b32 s2, 0xf800000
	v_mov_b32_e32 v7, 0
	s_waitcnt lgkmcnt(0)
	v_sub_f32_e32 v2, v2, v3
	v_cmp_gt_f32_e32 vcc, 0, v2
	v_cndmask_b32_e64 v2, v2, -v2, vcc
	v_mul_f32_e32 v3, 0x4f800000, v2
	v_cmp_gt_f32_e32 vcc, s2, v2
	v_cndmask_b32_e32 v2, v2, v3, vcc
	v_sqrt_f32_e32 v3, v2
	v_add_u32_e32 v8, -1, v3
	v_add_u32_e32 v9, 1, v3
	v_fma_f32 v10, -v8, v3, v2
	v_fma_f32 v11, -v9, v3, v2
	v_cmp_ge_f32_e64 s[2:3], 0, v10
	v_cndmask_b32_e64 v3, v3, v8, s[2:3]
	v_cmp_lt_f32_e64 s[2:3], 0, v11
	v_cndmask_b32_e64 v3, v3, v9, s[2:3]
	v_mul_f32_e32 v8, 0x37800000, v3
	v_cndmask_b32_e32 v3, v3, v8, vcc
	v_mov_b32_e32 v8, 0x260
	v_cmp_class_f32_e32 vcc, v2, v8
	v_cndmask_b32_e32 v2, v3, v2, vcc
	ds_write_b32 v7, v2 offset:776
.LBB9_117:
	s_or_b64 exec, exec, s[4:5]
	v_mov_b32_e32 v2, 0
	s_waitcnt lgkmcnt(0)
	ds_read_b32 v2, v2 offset:776
	s_waitcnt lgkmcnt(0)
	v_cmp_neq_f32_e32 vcc, 0, v2
	s_or_b64 s[2:3], vcc, s[0:1]
	v_cndmask_b32_e32 v2, 1.0, v2, vcc
	s_xor_b64 s[4:5], s[2:3], -1
	s_and_saveexec_b64 s[2:3], s[4:5]
	s_cbranch_execz .LBB9_121
; %bb.118:
	v_mbcnt_lo_u32_b32 v2, exec_lo, 0
	v_mbcnt_hi_u32_b32 v2, exec_hi, v2
	v_cmp_eq_u32_e32 vcc, 0, v2
	s_and_saveexec_b64 s[4:5], vcc
	s_cbranch_execz .LBB9_120
; %bb.119:
	v_mov_b32_e32 v2, 0
	v_mov_b32_e32 v3, s16
	global_atomic_smin v2, v3, s[14:15]
.LBB9_120:
	s_or_b64 exec, exec, s[4:5]
	v_mov_b32_e32 v2, 1.0
.LBB9_121:
	s_or_b64 exec, exec, s[2:3]
	v_cmp_lt_u32_e32 vcc, 5, v13
	s_and_saveexec_b64 s[2:3], vcc
	s_cbranch_execz .LBB9_123
; %bb.122:
	v_mul_u32_u24_e32 v3, 36, v13
	ds_read2_b32 v[8:9], v3 offset0:149 offset1:221
	v_mul_u32_u24_e32 v10, 36, v12
	s_waitcnt lgkmcnt(0)
	v_sub_f32_e32 v7, v8, v9
	v_div_scale_f32 v8, s[4:5], v2, v2, v7
	v_rcp_f32_e32 v9, v8
	v_div_scale_f32 v11, vcc, v7, v2, v7
	v_fma_f32 v14, -v8, v9, 1.0
	v_fmac_f32_e32 v9, v14, v9
	v_mul_f32_e32 v14, v11, v9
	v_fma_f32 v15, -v8, v14, v11
	v_fmac_f32_e32 v14, v15, v9
	v_fma_f32 v8, -v8, v14, v11
	v_div_fmas_f32 v8, v8, v9, v14
	v_div_fixup_f32 v2, v8, v2, v7
	ds_write_b32 v3, v2 offset:596
	s_waitcnt lgkmcnt(0)
	ds_read_b32 v3, v10 offset:596
	ds_read_b32 v7, v5
	s_waitcnt lgkmcnt(0)
	v_fmac_f32_e32 v7, v2, v3
	ds_write_b32 v5, v7
.LBB9_123:
	s_or_b64 exec, exec, s[2:3]
	v_cmp_eq_u32_e32 vcc, 6, v13
	s_waitcnt lgkmcnt(0)
	s_and_saveexec_b64 s[4:5], vcc
	s_cbranch_execz .LBB9_125
; %bb.124:
	s_movk_i32 s2, 0x200
	v_add_u32_e64 v2, s2, 0
	ds_read2_b32 v[2:3], v2 offset0:76 offset1:148
	s_mov_b32 s2, 0xf800000
	v_mov_b32_e32 v7, 0
	s_waitcnt lgkmcnt(0)
	v_sub_f32_e32 v2, v2, v3
	v_cmp_gt_f32_e32 vcc, 0, v2
	v_cndmask_b32_e64 v2, v2, -v2, vcc
	v_mul_f32_e32 v3, 0x4f800000, v2
	v_cmp_gt_f32_e32 vcc, s2, v2
	v_cndmask_b32_e32 v2, v2, v3, vcc
	v_sqrt_f32_e32 v3, v2
	v_add_u32_e32 v8, -1, v3
	v_add_u32_e32 v9, 1, v3
	v_fma_f32 v10, -v8, v3, v2
	v_fma_f32 v11, -v9, v3, v2
	v_cmp_ge_f32_e64 s[2:3], 0, v10
	v_cndmask_b32_e64 v3, v3, v8, s[2:3]
	v_cmp_lt_f32_e64 s[2:3], 0, v11
	v_cndmask_b32_e64 v3, v3, v9, s[2:3]
	v_mul_f32_e32 v8, 0x37800000, v3
	v_cndmask_b32_e32 v3, v3, v8, vcc
	v_mov_b32_e32 v8, 0x260
	v_cmp_class_f32_e32 vcc, v2, v8
	v_cndmask_b32_e32 v2, v3, v2, vcc
	ds_write_b32 v7, v2 offset:816
.LBB9_125:
	s_or_b64 exec, exec, s[4:5]
	v_mov_b32_e32 v2, 0
	s_waitcnt lgkmcnt(0)
	ds_read_b32 v2, v2 offset:816
	s_waitcnt lgkmcnt(0)
	v_cmp_neq_f32_e32 vcc, 0, v2
	s_or_b64 s[2:3], vcc, s[0:1]
	v_cndmask_b32_e32 v2, 1.0, v2, vcc
	s_xor_b64 s[4:5], s[2:3], -1
	s_and_saveexec_b64 s[2:3], s[4:5]
	s_cbranch_execz .LBB9_129
; %bb.126:
	v_mbcnt_lo_u32_b32 v2, exec_lo, 0
	v_mbcnt_hi_u32_b32 v2, exec_hi, v2
	v_cmp_eq_u32_e32 vcc, 0, v2
	s_and_saveexec_b64 s[4:5], vcc
	s_cbranch_execz .LBB9_128
; %bb.127:
	v_mov_b32_e32 v2, 0
	v_mov_b32_e32 v3, s16
	global_atomic_smin v2, v3, s[14:15]
.LBB9_128:
	s_or_b64 exec, exec, s[4:5]
	v_mov_b32_e32 v2, 1.0
.LBB9_129:
	s_or_b64 exec, exec, s[2:3]
	v_cmp_lt_u32_e32 vcc, 6, v13
	s_and_saveexec_b64 s[2:3], vcc
	s_cbranch_execz .LBB9_131
; %bb.130:
	v_mul_u32_u24_e32 v3, 36, v13
	ds_read2_b32 v[8:9], v3 offset0:150 offset1:222
	v_mul_u32_u24_e32 v10, 36, v12
	s_waitcnt lgkmcnt(0)
	v_sub_f32_e32 v7, v8, v9
	v_div_scale_f32 v8, s[4:5], v2, v2, v7
	v_rcp_f32_e32 v9, v8
	v_div_scale_f32 v11, vcc, v7, v2, v7
	v_fma_f32 v14, -v8, v9, 1.0
	v_fmac_f32_e32 v9, v14, v9
	v_mul_f32_e32 v14, v11, v9
	v_fma_f32 v15, -v8, v14, v11
	v_fmac_f32_e32 v14, v15, v9
	v_fma_f32 v8, -v8, v14, v11
	v_div_fmas_f32 v8, v8, v9, v14
	v_div_fixup_f32 v2, v8, v2, v7
	ds_write_b32 v3, v2 offset:600
	s_waitcnt lgkmcnt(0)
	ds_read_b32 v3, v10 offset:600
	ds_read_b32 v7, v5
	s_waitcnt lgkmcnt(0)
	v_fmac_f32_e32 v7, v2, v3
	ds_write_b32 v5, v7
.LBB9_131:
	s_or_b64 exec, exec, s[2:3]
	v_cmp_eq_u32_e32 vcc, 7, v13
	s_waitcnt lgkmcnt(0)
	s_and_saveexec_b64 s[4:5], vcc
	s_cbranch_execz .LBB9_133
; %bb.132:
	s_movk_i32 s2, 0x200
	v_add_u32_e64 v2, s2, 0
	ds_read2_b32 v[2:3], v2 offset0:86 offset1:158
	s_mov_b32 s2, 0xf800000
	v_mov_b32_e32 v7, 0
	s_waitcnt lgkmcnt(0)
	v_sub_f32_e32 v2, v2, v3
	v_cmp_gt_f32_e32 vcc, 0, v2
	v_cndmask_b32_e64 v2, v2, -v2, vcc
	v_mul_f32_e32 v3, 0x4f800000, v2
	v_cmp_gt_f32_e32 vcc, s2, v2
	v_cndmask_b32_e32 v2, v2, v3, vcc
	v_sqrt_f32_e32 v3, v2
	v_add_u32_e32 v8, -1, v3
	v_add_u32_e32 v9, 1, v3
	v_fma_f32 v10, -v8, v3, v2
	v_fma_f32 v11, -v9, v3, v2
	v_cmp_ge_f32_e64 s[2:3], 0, v10
	v_cndmask_b32_e64 v3, v3, v8, s[2:3]
	v_cmp_lt_f32_e64 s[2:3], 0, v11
	v_cndmask_b32_e64 v3, v3, v9, s[2:3]
	v_mul_f32_e32 v8, 0x37800000, v3
	v_cndmask_b32_e32 v3, v3, v8, vcc
	v_mov_b32_e32 v8, 0x260
	v_cmp_class_f32_e32 vcc, v2, v8
	v_cndmask_b32_e32 v2, v3, v2, vcc
	ds_write_b32 v7, v2 offset:856
.LBB9_133:
	s_or_b64 exec, exec, s[4:5]
	v_mov_b32_e32 v2, 0
	s_waitcnt lgkmcnt(0)
	ds_read_b32 v2, v2 offset:856
	s_waitcnt lgkmcnt(0)
	v_cmp_neq_f32_e32 vcc, 0, v2
	s_or_b64 s[0:1], vcc, s[0:1]
	v_cndmask_b32_e32 v2, 1.0, v2, vcc
	s_xor_b64 s[2:3], s[0:1], -1
	s_and_saveexec_b64 s[0:1], s[2:3]
	s_cbranch_execz .LBB9_137
; %bb.134:
	v_mbcnt_lo_u32_b32 v2, exec_lo, 0
	v_mbcnt_hi_u32_b32 v2, exec_hi, v2
	v_cmp_eq_u32_e32 vcc, 0, v2
	s_and_saveexec_b64 s[2:3], vcc
	s_cbranch_execz .LBB9_136
; %bb.135:
	v_mov_b32_e32 v2, 0
	v_mov_b32_e32 v3, s16
	global_atomic_smin v2, v3, s[14:15]
.LBB9_136:
	s_or_b64 exec, exec, s[2:3]
	v_mov_b32_e32 v2, 1.0
.LBB9_137:
	s_or_b64 exec, exec, s[0:1]
	v_add_u32_e32 v3, 0x240, v6
	v_cmp_lt_u32_e32 vcc, 7, v13
	s_and_saveexec_b64 s[0:1], vcc
	s_cbranch_execz .LBB9_139
; %bb.138:
	v_mul_u32_u24_e32 v8, 36, v13
	ds_read2_b32 v[6:7], v8 offset0:151 offset1:223
	v_mul_u32_u24_e32 v10, 36, v12
	s_waitcnt lgkmcnt(0)
	v_sub_f32_e32 v6, v6, v7
	v_div_scale_f32 v7, s[2:3], v2, v2, v6
	v_rcp_f32_e32 v9, v7
	v_div_scale_f32 v11, vcc, v6, v2, v6
	v_fma_f32 v14, -v7, v9, 1.0
	v_fmac_f32_e32 v9, v14, v9
	v_mul_f32_e32 v14, v11, v9
	v_fma_f32 v15, -v7, v14, v11
	v_fmac_f32_e32 v14, v15, v9
	v_fma_f32 v7, -v7, v14, v11
	v_div_fmas_f32 v7, v7, v9, v14
	v_div_fixup_f32 v2, v7, v2, v6
	ds_write_b32 v8, v2 offset:604
	s_waitcnt lgkmcnt(0)
	ds_read_b32 v6, v10 offset:604
	ds_read_b32 v7, v5
	s_waitcnt lgkmcnt(0)
	v_fmac_f32_e32 v7, v2, v6
	ds_write_b32 v5, v7
.LBB9_139:
	s_or_b64 exec, exec, s[0:1]
	s_waitcnt lgkmcnt(0)
	ds_read_b32 v2, v3
	v_cmp_eq_u32_e64 s[0:1], 0, v4
	s_waitcnt lgkmcnt(0)
	global_store_dword v[0:1], v2, off
	s_branch .LBB9_145
.LBB9_140:
	v_or_b32_e32 v0, v12, v13
	v_cmp_eq_u32_e32 vcc, 0, v0
	s_and_saveexec_b64 s[2:3], vcc
	s_cbranch_execz .LBB9_144
; %bb.141:
	v_mbcnt_lo_u32_b32 v0, exec_lo, 0
	v_mbcnt_hi_u32_b32 v0, exec_hi, v0
	v_cmp_eq_u32_e32 vcc, 0, v0
	s_and_saveexec_b64 s[4:5], vcc
	s_cbranch_execz .LBB9_143
; %bb.142:
	s_add_i32 s8, s12, s13
	v_mov_b32_e32 v0, 0
	v_mov_b32_e32 v1, s8
	global_atomic_smin v0, v1, s[14:15]
.LBB9_143:
	s_or_b64 exec, exec, s[4:5]
	s_or_b64 s[0:1], s[0:1], exec
.LBB9_144:
	s_or_b64 exec, exec, s[2:3]
.LBB9_145:
	s_and_saveexec_b64 s[2:3], s[0:1]
	s_cbranch_execnz .LBB9_147
; %bb.146:
	s_endpgm
.LBB9_147:
	s_add_u32 s0, s10, s6
	s_addc_u32 s1, s11, s7
	v_mov_b32_e32 v0, 0
	v_mov_b32_e32 v1, 1
	s_waitcnt vmcnt(0)
	global_store_dword v0, v1, s[0:1]
	s_endpgm
	.section	.rodata,"a",@progbits
	.p2align	6, 0x0
	.amdhsa_kernel _ZN9rocsparseL26bsric0_2_8_unrolled_kernelILi64ELi32ELi8EfEEv20rocsparse_direction_iiPKiS3_PT2_S3_PiS3_S6_21rocsparse_index_base_
		.amdhsa_group_segment_fixed_size 1536
		.amdhsa_private_segment_fixed_size 0
		.amdhsa_kernarg_size 76
		.amdhsa_user_sgpr_count 6
		.amdhsa_user_sgpr_private_segment_buffer 1
		.amdhsa_user_sgpr_dispatch_ptr 0
		.amdhsa_user_sgpr_queue_ptr 0
		.amdhsa_user_sgpr_kernarg_segment_ptr 1
		.amdhsa_user_sgpr_dispatch_id 0
		.amdhsa_user_sgpr_flat_scratch_init 0
		.amdhsa_user_sgpr_kernarg_preload_length 0
		.amdhsa_user_sgpr_kernarg_preload_offset 0
		.amdhsa_user_sgpr_private_segment_size 0
		.amdhsa_uses_dynamic_stack 0
		.amdhsa_system_sgpr_private_segment_wavefront_offset 0
		.amdhsa_system_sgpr_workgroup_id_x 1
		.amdhsa_system_sgpr_workgroup_id_y 0
		.amdhsa_system_sgpr_workgroup_id_z 0
		.amdhsa_system_sgpr_workgroup_info 0
		.amdhsa_system_vgpr_workitem_id 1
		.amdhsa_next_free_vgpr 72
		.amdhsa_next_free_sgpr 40
		.amdhsa_accum_offset 72
		.amdhsa_reserve_vcc 1
		.amdhsa_reserve_flat_scratch 0
		.amdhsa_float_round_mode_32 0
		.amdhsa_float_round_mode_16_64 0
		.amdhsa_float_denorm_mode_32 3
		.amdhsa_float_denorm_mode_16_64 3
		.amdhsa_dx10_clamp 1
		.amdhsa_ieee_mode 1
		.amdhsa_fp16_overflow 0
		.amdhsa_tg_split 0
		.amdhsa_exception_fp_ieee_invalid_op 0
		.amdhsa_exception_fp_denorm_src 0
		.amdhsa_exception_fp_ieee_div_zero 0
		.amdhsa_exception_fp_ieee_overflow 0
		.amdhsa_exception_fp_ieee_underflow 0
		.amdhsa_exception_fp_ieee_inexact 0
		.amdhsa_exception_int_div_zero 0
	.end_amdhsa_kernel
	.section	.text._ZN9rocsparseL26bsric0_2_8_unrolled_kernelILi64ELi32ELi8EfEEv20rocsparse_direction_iiPKiS3_PT2_S3_PiS3_S6_21rocsparse_index_base_,"axG",@progbits,_ZN9rocsparseL26bsric0_2_8_unrolled_kernelILi64ELi32ELi8EfEEv20rocsparse_direction_iiPKiS3_PT2_S3_PiS3_S6_21rocsparse_index_base_,comdat
.Lfunc_end9:
	.size	_ZN9rocsparseL26bsric0_2_8_unrolled_kernelILi64ELi32ELi8EfEEv20rocsparse_direction_iiPKiS3_PT2_S3_PiS3_S6_21rocsparse_index_base_, .Lfunc_end9-_ZN9rocsparseL26bsric0_2_8_unrolled_kernelILi64ELi32ELi8EfEEv20rocsparse_direction_iiPKiS3_PT2_S3_PiS3_S6_21rocsparse_index_base_
                                        ; -- End function
	.section	.AMDGPU.csdata,"",@progbits
; Kernel info:
; codeLenInByte = 9212
; NumSgprs: 44
; NumVgprs: 72
; NumAgprs: 0
; TotalNumVgprs: 72
; ScratchSize: 0
; MemoryBound: 0
; FloatMode: 240
; IeeeMode: 1
; LDSByteSize: 1536 bytes/workgroup (compile time only)
; SGPRBlocks: 5
; VGPRBlocks: 8
; NumSGPRsForWavesPerEU: 44
; NumVGPRsForWavesPerEU: 72
; AccumOffset: 72
; Occupancy: 7
; WaveLimiterHint : 1
; COMPUTE_PGM_RSRC2:SCRATCH_EN: 0
; COMPUTE_PGM_RSRC2:USER_SGPR: 6
; COMPUTE_PGM_RSRC2:TRAP_HANDLER: 0
; COMPUTE_PGM_RSRC2:TGID_X_EN: 1
; COMPUTE_PGM_RSRC2:TGID_Y_EN: 0
; COMPUTE_PGM_RSRC2:TGID_Z_EN: 0
; COMPUTE_PGM_RSRC2:TIDIG_COMP_CNT: 1
; COMPUTE_PGM_RSRC3_GFX90A:ACCUM_OFFSET: 17
; COMPUTE_PGM_RSRC3_GFX90A:TG_SPLIT: 0
	.section	.text._ZN9rocsparseL18bsric0_9_16_kernelILi64ELi32ELi16EfEEv20rocsparse_direction_iiPKiS3_PT2_S3_PiS3_S6_21rocsparse_index_base_,"axG",@progbits,_ZN9rocsparseL18bsric0_9_16_kernelILi64ELi32ELi16EfEEv20rocsparse_direction_iiPKiS3_PT2_S3_PiS3_S6_21rocsparse_index_base_,comdat
	.globl	_ZN9rocsparseL18bsric0_9_16_kernelILi64ELi32ELi16EfEEv20rocsparse_direction_iiPKiS3_PT2_S3_PiS3_S6_21rocsparse_index_base_ ; -- Begin function _ZN9rocsparseL18bsric0_9_16_kernelILi64ELi32ELi16EfEEv20rocsparse_direction_iiPKiS3_PT2_S3_PiS3_S6_21rocsparse_index_base_
	.p2align	8
	.type	_ZN9rocsparseL18bsric0_9_16_kernelILi64ELi32ELi16EfEEv20rocsparse_direction_iiPKiS3_PT2_S3_PiS3_S6_21rocsparse_index_base_,@function
_ZN9rocsparseL18bsric0_9_16_kernelILi64ELi32ELi16EfEEv20rocsparse_direction_iiPKiS3_PT2_S3_PiS3_S6_21rocsparse_index_base_: ; @_ZN9rocsparseL18bsric0_9_16_kernelILi64ELi32ELi16EfEEv20rocsparse_direction_iiPKiS3_PT2_S3_PiS3_S6_21rocsparse_index_base_
; %bb.0:
	s_load_dwordx8 s[16:23], s[4:5], 0x28
	s_mov_b32 s7, 0
	s_lshl_b64 s[0:1], s[6:7], 2
	v_and_b32_e32 v14, 0x3ff, v0
	v_bfe_u32 v0, v0, 10, 10
	s_waitcnt lgkmcnt(0)
	s_add_u32 s0, s20, s0
	s_addc_u32 s1, s21, s1
	s_load_dword s20, s[0:1], 0x0
	s_waitcnt lgkmcnt(0)
	s_ashr_i32 s21, s20, 31
	s_lshl_b64 s[14:15], s[20:21], 2
	s_add_u32 s0, s16, s14
	s_addc_u32 s1, s17, s15
	s_load_dword s33, s[0:1], 0x0
	s_load_dword s21, s[4:5], 0x48
	s_waitcnt lgkmcnt(0)
	s_cmp_lg_u32 s33, -1
	s_cbranch_scc0 .LBB10_283
; %bb.1:
	s_load_dwordx4 s[24:27], s[4:5], 0x10
	v_lshlrev_b32_e32 v15, 2, v0
	v_add_u32_e32 v1, v15, v14
	s_waitcnt lgkmcnt(0)
	s_add_u32 s0, s24, s14
	s_addc_u32 s1, s25, s15
	s_load_dword s28, s[0:1], 0x0
	s_waitcnt lgkmcnt(0)
	s_sub_i32 s57, s28, s21
	v_add_u32_e32 v2, s57, v1
	v_cmp_ge_i32_e32 vcc, s33, v2
	s_and_saveexec_b64 s[2:3], vcc
	s_cbranch_execz .LBB10_16
; %bb.2:
	v_add_u32_e32 v1, s28, v1
	v_subrev_u32_e32 v1, s21, v1
	v_add_u32_e32 v1, 64, v1
	s_add_i32 s0, s33, 1
	v_max_i32_e32 v1, s0, v1
	v_not_b32_e32 v3, v14
	v_add3_u32 v1, v1, s21, v3
	v_add_u32_e32 v3, s28, v15
	v_sub_u32_e32 v1, v1, v3
	s_movk_i32 s0, 0x640
	v_cmp_gt_u32_e32 vcc, s0, v1
	s_movk_i32 s0, 0x63f
	v_cmp_lt_u32_e64 s[0:1], s0, v1
	s_and_saveexec_b64 s[6:7], s[0:1]
	s_cbranch_execz .LBB10_13
; %bb.3:
	v_and_b32_e32 v3, 0xffffffc0, v1
	v_add_u32_e32 v3, v2, v3
	v_cmp_ge_i32_e64 s[0:1], v3, v2
	s_mov_b64 s[10:11], -1
	s_and_saveexec_b64 s[8:9], s[0:1]
	s_cbranch_execz .LBB10_12
; %bb.4:
	v_lshrrev_b32_e32 v1, 6, v1
	v_add_u32_e32 v4, -1, v1
	v_add_u32_e32 v3, 64, v2
	v_lshrrev_b32_e32 v5, 1, v4
	v_add_u32_e32 v16, 1, v5
	v_cmp_lt_u32_e64 s[0:1], 13, v4
	v_pk_mov_b32 v[4:5], v[2:3], v[2:3] op_sel:[0,1]
	s_and_saveexec_b64 s[10:11], s[0:1]
	s_cbranch_execz .LBB10_8
; %bb.5:
	v_and_b32_e32 v17, -8, v16
	s_mov_b64 s[12:13], 0
	v_mov_b32_e32 v18, s27
	v_pk_mov_b32 v[4:5], v[2:3], v[2:3] op_sel:[0,1]
.LBB10_6:                               ; =>This Inner Loop Header: Depth=1
	v_ashrrev_i32_e32 v23, 31, v4
	v_mov_b32_e32 v22, v4
	v_lshlrev_b64 v[22:23], 2, v[22:23]
	v_ashrrev_i32_e32 v21, 31, v5
	v_mov_b32_e32 v20, v5
	v_add_co_u32_e64 v22, s[0:1], s26, v22
	v_add_u32_e32 v6, 0x80, v4
	v_lshlrev_b64 v[20:21], 2, v[20:21]
	v_addc_co_u32_e64 v23, s[0:1], v18, v23, s[0:1]
	v_ashrrev_i32_e32 v7, 31, v6
	v_add_co_u32_e64 v20, s[0:1], s26, v20
	v_add_u32_e32 v8, 0x80, v5
	v_addc_co_u32_e64 v21, s[0:1], v18, v21, s[0:1]
	v_lshlrev_b64 v[44:45], 2, v[6:7]
	v_ashrrev_i32_e32 v9, 31, v8
	global_load_dword v3, v[22:23], off
	global_load_dword v7, v[20:21], off
	v_add_co_u32_e64 v20, s[0:1], s26, v44
	v_add_u32_e32 v10, 0x100, v4
	v_lshlrev_b64 v[46:47], 2, v[8:9]
	v_addc_co_u32_e64 v21, s[0:1], v18, v45, s[0:1]
	v_ashrrev_i32_e32 v11, 31, v10
	v_add_co_u32_e64 v22, s[0:1], s26, v46
	v_add_u32_e32 v12, 0x100, v5
	v_lshlrev_b64 v[48:49], 2, v[10:11]
	v_addc_co_u32_e64 v23, s[0:1], v18, v47, s[0:1]
	v_ashrrev_i32_e32 v13, 31, v12
	v_add_co_u32_e64 v44, s[0:1], s26, v48
	v_add_u32_e32 v24, 0x180, v4
	v_lshlrev_b64 v[50:51], 2, v[12:13]
	v_addc_co_u32_e64 v45, s[0:1], v18, v49, s[0:1]
	v_ashrrev_i32_e32 v25, 31, v24
	v_add_co_u32_e64 v46, s[0:1], s26, v50
	v_add_u32_e32 v26, 0x180, v5
	v_lshlrev_b64 v[52:53], 2, v[24:25]
	v_addc_co_u32_e64 v47, s[0:1], v18, v51, s[0:1]
	v_ashrrev_i32_e32 v27, 31, v26
	v_add_co_u32_e64 v48, s[0:1], s26, v52
	v_add_u32_e32 v28, 0x200, v4
	v_lshlrev_b64 v[54:55], 2, v[26:27]
	v_addc_co_u32_e64 v49, s[0:1], v18, v53, s[0:1]
	v_ashrrev_i32_e32 v29, 31, v28
	v_add_co_u32_e64 v50, s[0:1], s26, v54
	v_add_u32_e32 v30, 0x200, v5
	v_lshlrev_b64 v[56:57], 2, v[28:29]
	v_addc_co_u32_e64 v51, s[0:1], v18, v55, s[0:1]
	v_ashrrev_i32_e32 v31, 31, v30
	v_add_co_u32_e64 v52, s[0:1], s26, v56
	v_add_u32_e32 v32, 0x280, v4
	v_lshlrev_b64 v[58:59], 2, v[30:31]
	v_addc_co_u32_e64 v53, s[0:1], v18, v57, s[0:1]
	v_ashrrev_i32_e32 v33, 31, v32
	v_add_co_u32_e64 v54, s[0:1], s26, v58
	v_add_u32_e32 v34, 0x280, v5
	v_lshlrev_b64 v[60:61], 2, v[32:33]
	v_addc_co_u32_e64 v55, s[0:1], v18, v59, s[0:1]
	v_ashrrev_i32_e32 v35, 31, v34
	v_add_co_u32_e64 v56, s[0:1], s26, v60
	v_add_u32_e32 v36, 0x300, v4
	v_lshlrev_b64 v[62:63], 2, v[34:35]
	v_addc_co_u32_e64 v57, s[0:1], v18, v61, s[0:1]
	v_ashrrev_i32_e32 v37, 31, v36
	v_add_co_u32_e64 v58, s[0:1], s26, v62
	v_add_u32_e32 v38, 0x300, v5
	v_lshlrev_b64 v[64:65], 2, v[36:37]
	v_addc_co_u32_e64 v59, s[0:1], v18, v63, s[0:1]
	v_ashrrev_i32_e32 v39, 31, v38
	v_add_co_u32_e64 v60, s[0:1], s26, v64
	v_add_u32_e32 v40, 0x380, v4
	v_lshlrev_b64 v[66:67], 2, v[38:39]
	v_addc_co_u32_e64 v61, s[0:1], v18, v65, s[0:1]
	v_ashrrev_i32_e32 v41, 31, v40
	v_add_co_u32_e64 v62, s[0:1], s26, v66
	v_add_u32_e32 v42, 0x380, v5
	v_lshlrev_b64 v[68:69], 2, v[40:41]
	v_addc_co_u32_e64 v63, s[0:1], v18, v67, s[0:1]
	v_ashrrev_i32_e32 v43, 31, v42
	v_add_co_u32_e64 v64, s[0:1], s26, v68
	v_lshlrev_b64 v[70:71], 2, v[42:43]
	v_addc_co_u32_e64 v65, s[0:1], v18, v69, s[0:1]
	v_add_co_u32_e64 v66, s[0:1], s26, v70
	v_addc_co_u32_e64 v67, s[0:1], v18, v71, s[0:1]
	global_load_dword v9, v[22:23], off
	global_load_dword v11, v[20:21], off
	;; [unrolled: 1-line block ×14, first 2 shown]
	v_subrev_u32_e32 v21, s57, v4
	v_add_u32_e32 v17, -8, v17
	v_subrev_u32_e32 v20, s57, v5
	v_lshlrev_b32_e32 v21, 2, v21
	v_subrev_u32_e32 v6, s57, v6
	v_cmp_eq_u32_e64 s[0:1], 0, v17
	s_waitcnt vmcnt(14)
	v_subrev_u32_e32 v7, s21, v7
	v_subrev_u32_e32 v3, s21, v3
	v_add_u32_e32 v5, 0x400, v5
	v_add_u32_e32 v4, 0x400, v4
	v_lshlrev_b32_e32 v20, 2, v20
	v_subrev_u32_e32 v8, s57, v8
	v_subrev_u32_e32 v12, s57, v12
	;; [unrolled: 1-line block ×13, first 2 shown]
	v_lshlrev_b32_e32 v6, 2, v6
	s_or_b64 s[12:13], s[0:1], s[12:13]
	ds_write_b32 v21, v3 offset:4608
	ds_write_b32 v20, v7 offset:4608
	v_lshlrev_b32_e32 v8, 2, v8
	v_lshlrev_b32_e32 v10, 2, v10
	;; [unrolled: 1-line block ×13, first 2 shown]
	s_waitcnt vmcnt(13)
	v_subrev_u32_e32 v3, s21, v9
	s_waitcnt vmcnt(12)
	v_subrev_u32_e32 v7, s21, v11
	;; [unrolled: 2-line block ×14, first 2 shown]
	ds_write_b32 v6, v7 offset:4608
	ds_write_b32 v8, v3 offset:4608
	;; [unrolled: 1-line block ×14, first 2 shown]
	s_andn2_b64 exec, exec, s[12:13]
	s_cbranch_execnz .LBB10_6
; %bb.7:
	s_or_b64 exec, exec, s[12:13]
.LBB10_8:
	s_or_b64 exec, exec, s[10:11]
	v_and_b32_e32 v3, 7, v16
	v_cmp_ne_u32_e64 s[0:1], 0, v3
	s_and_saveexec_b64 s[10:11], s[0:1]
	s_cbranch_execz .LBB10_11
; %bb.9:
	s_mov_b64 s[12:13], 0
	v_mov_b32_e32 v6, s27
.LBB10_10:                              ; =>This Inner Loop Header: Depth=1
	v_ashrrev_i32_e32 v11, 31, v4
	v_mov_b32_e32 v10, v4
	v_lshlrev_b64 v[10:11], 2, v[10:11]
	v_ashrrev_i32_e32 v9, 31, v5
	v_mov_b32_e32 v8, v5
	v_add_co_u32_e64 v10, s[0:1], s26, v10
	v_lshlrev_b64 v[8:9], 2, v[8:9]
	v_addc_co_u32_e64 v11, s[0:1], v6, v11, s[0:1]
	v_add_co_u32_e64 v8, s[0:1], s26, v8
	v_addc_co_u32_e64 v9, s[0:1], v6, v9, s[0:1]
	global_load_dword v7, v[8:9], off
	global_load_dword v12, v[10:11], off
	v_add_u32_e32 v3, -1, v3
	v_subrev_u32_e32 v9, s57, v4
	v_cmp_eq_u32_e64 s[0:1], 0, v3
	v_subrev_u32_e32 v8, s57, v5
	v_add_u32_e32 v5, 0x80, v5
	v_add_u32_e32 v4, 0x80, v4
	v_lshlrev_b32_e32 v9, 2, v9
	s_or_b64 s[12:13], s[0:1], s[12:13]
	v_lshlrev_b32_e32 v8, 2, v8
	s_waitcnt vmcnt(1)
	v_subrev_u32_e32 v7, s21, v7
	s_waitcnt vmcnt(0)
	v_subrev_u32_e32 v10, s21, v12
	ds_write_b32 v9, v10 offset:4608
	ds_write_b32 v8, v7 offset:4608
	s_andn2_b64 exec, exec, s[12:13]
	s_cbranch_execnz .LBB10_10
.LBB10_11:
	s_or_b64 exec, exec, s[10:11]
	v_add_u32_e32 v1, 1, v1
	v_and_b32_e32 v3, 0x7fffffe, v1
	v_cmp_ne_u32_e64 s[0:1], v1, v3
	v_lshl_add_u32 v2, v3, 6, v2
	s_orn2_b64 s[10:11], s[0:1], exec
.LBB10_12:
	s_or_b64 exec, exec, s[8:9]
	s_andn2_b64 s[0:1], vcc, exec
	s_and_b64 s[8:9], s[10:11], exec
	s_or_b64 vcc, s[0:1], s[8:9]
.LBB10_13:
	s_or_b64 exec, exec, s[6:7]
	s_and_b64 exec, exec, vcc
	s_cbranch_execz .LBB10_16
; %bb.14:
	v_add_u32_e32 v1, s21, v2
	v_subrev_u32_e32 v1, s28, v1
	v_mov_b32_e32 v3, 0x1200
	v_lshl_add_u32 v1, v1, 2, v3
	s_mov_b64 s[0:1], 0
	v_mov_b32_e32 v4, s27
.LBB10_15:                              ; =>This Inner Loop Header: Depth=1
	v_ashrrev_i32_e32 v3, 31, v2
	v_lshlrev_b64 v[6:7], 2, v[2:3]
	v_add_co_u32_e32 v6, vcc, s26, v6
	v_addc_co_u32_e32 v7, vcc, v4, v7, vcc
	global_load_dword v3, v[6:7], off
	v_add_u32_e32 v2, 64, v2
	v_cmp_lt_i32_e32 vcc, s33, v2
	s_or_b64 s[0:1], vcc, s[0:1]
	s_waitcnt vmcnt(0)
	v_subrev_u32_e32 v3, s21, v3
	ds_write_b32 v1, v3
	v_add_u32_e32 v1, 0x100, v1
	s_andn2_b64 exec, exec, s[0:1]
	s_cbranch_execnz .LBB10_15
.LBB10_16:
	s_or_b64 exec, exec, s[2:3]
	s_load_dwordx2 s[28:29], s[4:5], 0x20
	v_cmp_gt_u32_e32 vcc, 16, v14
	v_lshlrev_b32_e32 v6, 2, v14
	s_and_saveexec_b64 s[2:3], vcc
	s_cbranch_execz .LBB10_23
; %bb.17:
	v_sub_u32_e64 v1, 12, v14 clamp
	v_add_u32_e32 v1, 3, v1
	v_lshrrev_b32_e32 v2, 2, v1
	v_add_u32_e32 v1, 2, v2
	v_mul_u32_u24_e32 v4, 0x44, v0
	v_lshlrev_b32_e32 v5, 2, v14
	s_movk_i32 s0, 0xcc0
	v_and_b32_e32 v3, 14, v1
	v_mov_b32_e32 v1, v2
	v_add3_u32 v4, v4, v5, s0
	s_mov_b32 s10, 0
	s_mov_b64 s[6:7], 0
	v_mov_b32_e32 v5, 0
	s_branch .LBB10_19
.LBB10_18:                              ;   in Loop: Header=BB10_19 Depth=1
	s_or_b64 exec, exec, s[0:1]
	s_add_i32 s10, s10, 2
	v_cmp_eq_u32_e32 vcc, s10, v3
	s_or_b64 s[6:7], vcc, s[6:7]
	v_add_u32_e32 v4, 32, v4
	s_andn2_b64 exec, exec, s[6:7]
	s_cbranch_execz .LBB10_23
.LBB10_19:                              ; =>This Inner Loop Header: Depth=1
	s_or_b32 s0, s10, 1
	v_cmp_le_u32_e32 vcc, s0, v1
	v_cmp_le_u32_e64 s[0:1], s10, v2
	s_and_saveexec_b64 s[8:9], s[0:1]
	s_cbranch_execz .LBB10_21
; %bb.20:                               ;   in Loop: Header=BB10_19 Depth=1
	ds_write_b32 v4, v5
.LBB10_21:                              ;   in Loop: Header=BB10_19 Depth=1
	s_or_b64 exec, exec, s[8:9]
	s_and_saveexec_b64 s[0:1], vcc
	s_cbranch_execz .LBB10_18
; %bb.22:                               ;   in Loop: Header=BB10_19 Depth=1
	ds_write_b32 v4, v5 offset:16
	s_branch .LBB10_18
.LBB10_23:
	s_or_b64 exec, exec, s[2:3]
	s_load_dword s56, s[4:5], 0x8
	s_load_dword s58, s[4:5], 0x0
	s_cmp_ge_i32 s57, s33
	s_waitcnt lgkmcnt(0)
	v_cmp_gt_i32_e64 s[0:1], s56, v14
	v_xad_u32 v1, v14, -1, s56
	s_cbranch_scc1 .LBB10_232
; %bb.24:
	v_or_b32_e32 v2, v14, v0
	v_cmp_ne_u32_e64 s[4:5], 0, v2
	s_movk_i32 s60, 0x44
	v_mov_b32_e32 v2, 0xcc0
	v_lshlrev_b32_e32 v8, 2, v14
	v_mad_u32_u24 v9, v0, s60, v2
	v_lshlrev_b32_e32 v5, 2, v1
	v_add_u32_e32 v2, v9, v8
	s_movk_i32 s10, 0x43
	v_and_b32_e32 v5, -16, v5
	s_cmp_lg_u32 s58, 0
	v_cmp_lt_u32_e32 vcc, s10, v1
	s_brev_b32 s10, -4
	v_add_u32_e32 v5, v2, v5
	s_cselect_b64 s[30:31], -1, 0
	s_cmp_gt_i32 s56, 0
	v_cmp_lt_u32_e64 s[10:11], s10, v1
	v_cmp_lt_u32_e64 s[12:13], v5, v2
	s_cselect_b64 s[34:35], -1, 0
	s_or_b64 s[10:11], s[12:13], s[10:11]
	s_xor_b64 s[12:13], s[10:11], -1
	s_and_b64 s[36:37], vcc, s[12:13]
	s_mul_i32 s12, s56, s57
	v_add_u32_e32 v2, s12, v0
	v_lshrrev_b32_e32 v3, 2, v1
	v_mul_lo_u32 v18, s56, v2
	v_mov_b32_e32 v2, 0x440
	v_add_u32_e32 v3, 1, v3
	v_mad_u32_u24 v19, v0, s60, v2
	v_mov_b32_e32 v2, 0x880
	v_and_b32_e32 v4, 3, v3
	v_and_b32_e32 v10, 0x7ffffffe, v3
	v_mad_u32_u24 v13, v0, s60, v8
	v_mad_u32_u24 v21, v0, s60, v2
	;; [unrolled: 1-line block ×3, first 2 shown]
	v_cndmask_b32_e64 v2, 0, 1, s[30:31]
	v_cmp_gt_i32_e64 s[2:3], s56, v0
	s_mul_i32 s59, s56, s56
	v_mul_lo_u32 v7, v0, s56
	v_cmp_ne_u32_e64 s[6:7], 0, v4
	v_cmp_lt_u32_e64 s[8:9], 11, v1
	v_lshl_add_u32 v11, v10, 2, v14
	v_cmp_ne_u32_e64 s[10:11], v3, v10
	v_mul_u32_u24_e32 v12, 0x44, v0
	v_add_u32_e32 v16, 0x440, v13
	v_lshlrev_b32_e32 v17, 2, v4
	v_mul_lo_u32 v20, v14, s56
	s_lshl_b32 s61, s56, 2
	v_mul_u32_u24_e32 v22, 0x44, v14
	v_add_u32_e32 v24, 0xcc0, v13
	v_add_u32_e32 v25, 0x880, v13
	v_cmp_ne_u32_e64 s[12:13], 1, v2
	v_mov_b32_e32 v26, 0
	s_mov_b32 s38, s57
	s_branch .LBB10_26
.LBB10_25:                              ;   in Loop: Header=BB10_26 Depth=1
	s_or_b64 exec, exec, s[40:41]
	s_add_i32 s38, s38, 1
	s_cmp_ge_i32 s38, s33
	s_waitcnt vmcnt(0)
	buffer_wbinvl1_vol
	v_add_u32_e32 v18, s59, v18
	s_cselect_b64 s[40:41], -1, 0
	s_and_b64 vcc, exec, s[40:41]
	s_cbranch_vccnz .LBB10_232
.LBB10_26:                              ; =>This Loop Header: Depth=1
                                        ;     Child Loop BB10_31 Depth 2
                                        ;     Child Loop BB10_46 Depth 2
	;; [unrolled: 1-line block ×7, first 2 shown]
                                        ;       Child Loop BB10_164 Depth 3
                                        ;     Child Loop BB10_177 Depth 2
                                        ;       Child Loop BB10_183 Depth 3
                                        ;       Child Loop BB10_187 Depth 3
	;; [unrolled: 1-line block ×3, first 2 shown]
                                        ;     Child Loop BB10_199 Depth 2
                                        ;     Child Loop BB10_209 Depth 2
	s_ashr_i32 s39, s38, 31
	s_lshl_b64 s[40:41], s[38:39], 2
	s_add_u32 s40, s26, s40
	s_addc_u32 s41, s27, s41
	s_load_dword s62, s[40:41], 0x0
	s_waitcnt lgkmcnt(0)
	s_sub_i32 s42, s62, s21
	s_ashr_i32 s43, s42, 31
	s_lshl_b64 s[40:41], s[42:43], 2
	s_add_u32 s44, s16, s40
	s_addc_u32 s45, s17, s41
	s_load_dword s43, s[44:45], 0x0
	s_waitcnt lgkmcnt(0)
	s_cmp_eq_u32 s43, -1
	s_cbranch_scc1 .LBB10_41
; %bb.27:                               ;   in Loop: Header=BB10_26 Depth=1
	s_add_u32 s44, s24, s40
	s_addc_u32 s45, s25, s41
	s_load_dword s63, s[44:45], 0x0
	s_mul_i32 s39, s38, s56
	s_and_saveexec_b64 s[44:45], s[0:1]
	s_cbranch_execz .LBB10_86
; %bb.28:                               ;   in Loop: Header=BB10_26 Depth=1
	v_mov_b32_e32 v4, v14
	s_and_saveexec_b64 s[46:47], s[6:7]
	s_cbranch_execz .LBB10_43
; %bb.29:                               ;   in Loop: Header=BB10_26 Depth=1
	s_mov_b64 s[48:49], 0
	v_mov_b32_e32 v5, v17
	v_mov_b32_e32 v27, v16
	;; [unrolled: 1-line block ×3, first 2 shown]
	s_branch .LBB10_31
.LBB10_30:                              ;   in Loop: Header=BB10_31 Depth=2
	s_or_b64 exec, exec, s[52:53]
	v_add_u32_e32 v5, -4, v5
	v_cmp_eq_u32_e32 vcc, 0, v5
	s_waitcnt vmcnt(0)
	ds_write_b32 v27, v3 offset:1088
	ds_write_b32 v27, v26
	v_add_u32_e32 v4, 4, v4
	s_or_b64 s[48:49], vcc, s[48:49]
	v_add_u32_e32 v27, 16, v27
	s_andn2_b64 exec, exec, s[48:49]
	s_cbranch_execz .LBB10_42
.LBB10_31:                              ;   Parent Loop BB10_26 Depth=1
                                        ; =>  This Inner Loop Header: Depth=2
	s_and_b64 vcc, exec, s[12:13]
	s_cbranch_vccnz .LBB10_36
; %bb.32:                               ;   in Loop: Header=BB10_31 Depth=2
	s_mov_b64 s[52:53], 0
	s_mov_b64 s[50:51], 0
                                        ; implicit-def: $vgpr2
	s_and_saveexec_b64 s[54:55], s[2:3]
; %bb.33:                               ;   in Loop: Header=BB10_31 Depth=2
	v_add_u32_e32 v2, s39, v4
	s_mov_b64 s[50:51], exec
	v_mad_u64_u32 v[2:3], s[64:65], v2, s56, v[0:1]
; %bb.34:                               ;   in Loop: Header=BB10_31 Depth=2
	s_or_b64 exec, exec, s[54:55]
	s_mov_b32 s54, 0
	s_and_b64 vcc, exec, s[52:53]
	s_cbranch_vccnz .LBB10_37
.LBB10_35:                              ;   in Loop: Header=BB10_31 Depth=2
	v_mov_b32_e32 v3, s54
	s_and_saveexec_b64 s[52:53], s[50:51]
	s_cbranch_execz .LBB10_30
	s_branch .LBB10_40
.LBB10_36:                              ;   in Loop: Header=BB10_31 Depth=2
	s_mov_b64 s[50:51], 0
                                        ; implicit-def: $vgpr2
                                        ; implicit-def: $sgpr54
	s_cbranch_execz .LBB10_35
.LBB10_37:                              ;   in Loop: Header=BB10_31 Depth=2
                                        ; implicit-def: $vgpr2
	s_and_saveexec_b64 s[52:53], s[2:3]
; %bb.38:                               ;   in Loop: Header=BB10_31 Depth=2
	v_add_u32_e32 v2, v18, v4
	s_or_b64 s[50:51], s[50:51], exec
; %bb.39:                               ;   in Loop: Header=BB10_31 Depth=2
	s_or_b64 exec, exec, s[52:53]
	s_mov_b32 s54, 0
	v_mov_b32_e32 v3, s54
	s_and_saveexec_b64 s[52:53], s[50:51]
	s_cbranch_execz .LBB10_30
.LBB10_40:                              ;   in Loop: Header=BB10_31 Depth=2
	v_ashrrev_i32_e32 v3, 31, v2
	v_lshlrev_b64 v[2:3], 2, v[2:3]
	v_mov_b32_e32 v28, s29
	v_add_co_u32_e32 v2, vcc, s28, v2
	v_addc_co_u32_e32 v3, vcc, v28, v3, vcc
	global_load_dword v3, v[2:3], off
	s_branch .LBB10_30
.LBB10_41:                              ;   in Loop: Header=BB10_26 Depth=1
                                        ; implicit-def: $sgpr38
                                        ; implicit-def: $vgpr18
	s_cbranch_execz .LBB10_26
	s_branch .LBB10_232
.LBB10_42:                              ;   in Loop: Header=BB10_26 Depth=1
	s_or_b64 exec, exec, s[48:49]
.LBB10_43:                              ;   in Loop: Header=BB10_26 Depth=1
	s_or_b64 exec, exec, s[46:47]
	s_and_b64 exec, exec, s[8:9]
	s_cbranch_execz .LBB10_86
; %bb.44:                               ;   in Loop: Header=BB10_26 Depth=1
	v_lshl_add_u32 v5, v4, 2, v19
	s_mov_b64 s[46:47], 0
	s_branch .LBB10_46
.LBB10_45:                              ;   in Loop: Header=BB10_46 Depth=2
	s_or_b64 exec, exec, s[50:51]
	v_add_u32_e32 v4, 16, v4
	v_cmp_le_i32_e32 vcc, s56, v4
	s_waitcnt vmcnt(0)
	ds_write_b32 v5, v3 offset:1136
	ds_write_b32 v5, v26 offset:48
	s_or_b64 s[46:47], vcc, s[46:47]
	v_add_u32_e32 v5, 64, v5
	s_andn2_b64 exec, exec, s[46:47]
	s_cbranch_execz .LBB10_86
.LBB10_46:                              ;   Parent Loop BB10_26 Depth=1
                                        ; =>  This Inner Loop Header: Depth=2
	s_and_b64 vcc, exec, s[30:31]
	s_cbranch_vccz .LBB10_69
; %bb.47:                               ;   in Loop: Header=BB10_46 Depth=2
	s_mov_b64 s[50:51], 0
	s_mov_b64 s[48:49], 0
                                        ; implicit-def: $vgpr2
	s_and_saveexec_b64 s[52:53], s[2:3]
	s_xor_b64 s[52:53], exec, s[52:53]
; %bb.48:                               ;   in Loop: Header=BB10_46 Depth=2
	v_add_u32_e32 v2, s39, v4
	s_mov_b64 s[48:49], exec
	v_mad_u64_u32 v[2:3], s[54:55], v2, s56, v[0:1]
; %bb.49:                               ;   in Loop: Header=BB10_46 Depth=2
	s_or_b64 exec, exec, s[52:53]
	s_mov_b32 s52, 0
	s_and_b64 vcc, exec, s[50:51]
	s_cbranch_vccnz .LBB10_70
.LBB10_50:                              ;   in Loop: Header=BB10_46 Depth=2
	v_mov_b32_e32 v3, s52
	s_and_saveexec_b64 s[50:51], s[48:49]
	s_cbranch_execz .LBB10_52
.LBB10_51:                              ;   in Loop: Header=BB10_46 Depth=2
	v_ashrrev_i32_e32 v3, 31, v2
	v_lshlrev_b64 v[2:3], 2, v[2:3]
	v_mov_b32_e32 v27, s29
	v_add_co_u32_e32 v2, vcc, s28, v2
	v_addc_co_u32_e32 v3, vcc, v27, v3, vcc
	global_load_dword v3, v[2:3], off
.LBB10_52:                              ;   in Loop: Header=BB10_46 Depth=2
	s_or_b64 exec, exec, s[50:51]
	s_and_b64 vcc, exec, s[12:13]
	s_waitcnt vmcnt(0)
	ds_write_b32 v5, v3 offset:1088
	ds_write_b32 v5, v26
	s_cbranch_vccnz .LBB10_73
; %bb.53:                               ;   in Loop: Header=BB10_46 Depth=2
	s_mov_b64 s[50:51], 0
	s_mov_b64 s[48:49], 0
                                        ; implicit-def: $vgpr2
	s_and_saveexec_b64 s[52:53], s[2:3]
; %bb.54:                               ;   in Loop: Header=BB10_46 Depth=2
	v_add3_u32 v2, v4, s39, 4
	s_mov_b64 s[48:49], exec
	v_mad_u64_u32 v[2:3], s[54:55], v2, s56, v[0:1]
; %bb.55:                               ;   in Loop: Header=BB10_46 Depth=2
	s_or_b64 exec, exec, s[52:53]
	s_mov_b32 s52, 0
	s_and_b64 vcc, exec, s[50:51]
	s_cbranch_vccnz .LBB10_74
.LBB10_56:                              ;   in Loop: Header=BB10_46 Depth=2
	v_mov_b32_e32 v3, s52
	s_and_saveexec_b64 s[50:51], s[48:49]
	s_cbranch_execz .LBB10_58
.LBB10_57:                              ;   in Loop: Header=BB10_46 Depth=2
	v_ashrrev_i32_e32 v3, 31, v2
	v_lshlrev_b64 v[2:3], 2, v[2:3]
	v_mov_b32_e32 v27, s29
	v_add_co_u32_e32 v2, vcc, s28, v2
	v_addc_co_u32_e32 v3, vcc, v27, v3, vcc
	global_load_dword v3, v[2:3], off
.LBB10_58:                              ;   in Loop: Header=BB10_46 Depth=2
	s_or_b64 exec, exec, s[50:51]
	s_and_b64 vcc, exec, s[12:13]
	s_waitcnt vmcnt(0)
	ds_write_b32 v5, v3 offset:1104
	ds_write_b32 v5, v26 offset:16
	s_cbranch_vccnz .LBB10_77
; %bb.59:                               ;   in Loop: Header=BB10_46 Depth=2
	s_mov_b64 s[50:51], 0
	s_mov_b64 s[48:49], 0
                                        ; implicit-def: $vgpr2
	s_and_saveexec_b64 s[52:53], s[2:3]
; %bb.60:                               ;   in Loop: Header=BB10_46 Depth=2
	v_add3_u32 v2, v4, s39, 8
	s_mov_b64 s[48:49], exec
	v_mad_u64_u32 v[2:3], s[54:55], v2, s56, v[0:1]
; %bb.61:                               ;   in Loop: Header=BB10_46 Depth=2
	s_or_b64 exec, exec, s[52:53]
	s_mov_b32 s52, 0
	s_and_b64 vcc, exec, s[50:51]
	s_cbranch_vccnz .LBB10_78
.LBB10_62:                              ;   in Loop: Header=BB10_46 Depth=2
	v_mov_b32_e32 v3, s52
	s_and_saveexec_b64 s[50:51], s[48:49]
	s_cbranch_execz .LBB10_64
.LBB10_63:                              ;   in Loop: Header=BB10_46 Depth=2
	v_ashrrev_i32_e32 v3, 31, v2
	v_lshlrev_b64 v[2:3], 2, v[2:3]
	v_mov_b32_e32 v27, s29
	v_add_co_u32_e32 v2, vcc, s28, v2
	v_addc_co_u32_e32 v3, vcc, v27, v3, vcc
	global_load_dword v3, v[2:3], off
.LBB10_64:                              ;   in Loop: Header=BB10_46 Depth=2
	s_or_b64 exec, exec, s[50:51]
	s_and_b64 vcc, exec, s[12:13]
	s_waitcnt vmcnt(0)
	ds_write_b32 v5, v3 offset:1120
	ds_write_b32 v5, v26 offset:32
	s_cbranch_vccnz .LBB10_81
; %bb.65:                               ;   in Loop: Header=BB10_46 Depth=2
	s_mov_b64 s[50:51], 0
	s_mov_b64 s[48:49], 0
                                        ; implicit-def: $vgpr2
	s_and_saveexec_b64 s[52:53], s[2:3]
; %bb.66:                               ;   in Loop: Header=BB10_46 Depth=2
	v_add3_u32 v2, v4, s39, 12
	s_mov_b64 s[48:49], exec
	v_mad_u64_u32 v[2:3], s[54:55], v2, s56, v[0:1]
; %bb.67:                               ;   in Loop: Header=BB10_46 Depth=2
	s_or_b64 exec, exec, s[52:53]
	s_mov_b32 s52, 0
	s_and_b64 vcc, exec, s[50:51]
	s_cbranch_vccnz .LBB10_82
.LBB10_68:                              ;   in Loop: Header=BB10_46 Depth=2
	v_mov_b32_e32 v3, s52
	s_and_saveexec_b64 s[50:51], s[48:49]
	s_cbranch_execz .LBB10_45
	s_branch .LBB10_85
.LBB10_69:                              ;   in Loop: Header=BB10_46 Depth=2
	s_mov_b64 s[48:49], 0
                                        ; implicit-def: $vgpr2
                                        ; implicit-def: $sgpr52
	s_cbranch_execz .LBB10_50
.LBB10_70:                              ;   in Loop: Header=BB10_46 Depth=2
                                        ; implicit-def: $vgpr2
	s_and_saveexec_b64 s[50:51], s[2:3]
; %bb.71:                               ;   in Loop: Header=BB10_46 Depth=2
	v_add_u32_e32 v2, v18, v4
	s_or_b64 s[48:49], s[48:49], exec
; %bb.72:                               ;   in Loop: Header=BB10_46 Depth=2
	s_or_b64 exec, exec, s[50:51]
	s_mov_b32 s52, 0
	v_mov_b32_e32 v3, s52
	s_and_saveexec_b64 s[50:51], s[48:49]
	s_cbranch_execnz .LBB10_51
	s_branch .LBB10_52
.LBB10_73:                              ;   in Loop: Header=BB10_46 Depth=2
	s_mov_b64 s[48:49], 0
                                        ; implicit-def: $vgpr2
                                        ; implicit-def: $sgpr52
	s_cbranch_execz .LBB10_56
.LBB10_74:                              ;   in Loop: Header=BB10_46 Depth=2
                                        ; implicit-def: $vgpr2
	s_and_saveexec_b64 s[50:51], s[2:3]
; %bb.75:                               ;   in Loop: Header=BB10_46 Depth=2
	v_add3_u32 v2, v18, v4, 4
	s_or_b64 s[48:49], s[48:49], exec
; %bb.76:                               ;   in Loop: Header=BB10_46 Depth=2
	s_or_b64 exec, exec, s[50:51]
	s_mov_b32 s52, 0
	v_mov_b32_e32 v3, s52
	s_and_saveexec_b64 s[50:51], s[48:49]
	s_cbranch_execnz .LBB10_57
	s_branch .LBB10_58
.LBB10_77:                              ;   in Loop: Header=BB10_46 Depth=2
	s_mov_b64 s[48:49], 0
                                        ; implicit-def: $vgpr2
                                        ; implicit-def: $sgpr52
	s_cbranch_execz .LBB10_62
.LBB10_78:                              ;   in Loop: Header=BB10_46 Depth=2
                                        ; implicit-def: $vgpr2
	s_and_saveexec_b64 s[50:51], s[2:3]
; %bb.79:                               ;   in Loop: Header=BB10_46 Depth=2
	v_add3_u32 v2, v18, v4, 8
	s_or_b64 s[48:49], s[48:49], exec
; %bb.80:                               ;   in Loop: Header=BB10_46 Depth=2
	s_or_b64 exec, exec, s[50:51]
	s_mov_b32 s52, 0
	v_mov_b32_e32 v3, s52
	s_and_saveexec_b64 s[50:51], s[48:49]
	s_cbranch_execnz .LBB10_63
	s_branch .LBB10_64
.LBB10_81:                              ;   in Loop: Header=BB10_46 Depth=2
	s_mov_b64 s[48:49], 0
                                        ; implicit-def: $vgpr2
                                        ; implicit-def: $sgpr52
	s_cbranch_execz .LBB10_68
.LBB10_82:                              ;   in Loop: Header=BB10_46 Depth=2
                                        ; implicit-def: $vgpr2
	s_and_saveexec_b64 s[50:51], s[2:3]
; %bb.83:                               ;   in Loop: Header=BB10_46 Depth=2
	v_add3_u32 v2, v18, v4, 12
	s_or_b64 s[48:49], s[48:49], exec
; %bb.84:                               ;   in Loop: Header=BB10_46 Depth=2
	s_or_b64 exec, exec, s[50:51]
	s_mov_b32 s52, 0
	v_mov_b32_e32 v3, s52
	s_and_saveexec_b64 s[50:51], s[48:49]
	s_cbranch_execz .LBB10_45
.LBB10_85:                              ;   in Loop: Header=BB10_46 Depth=2
	v_ashrrev_i32_e32 v3, 31, v2
	v_lshlrev_b64 v[2:3], 2, v[2:3]
	v_mov_b32_e32 v27, s29
	v_add_co_u32_e32 v2, vcc, s28, v2
	v_addc_co_u32_e32 v3, vcc, v27, v3, vcc
	global_load_dword v3, v[2:3], off
	s_branch .LBB10_45
.LBB10_86:                              ;   in Loop: Header=BB10_26 Depth=1
	s_or_b64 exec, exec, s[44:45]
	ds_read_b32 v2, v26 offset:4608
	s_waitcnt lgkmcnt(0)
	s_sub_i32 s44, s63, s21
	s_cmp_le_i32 s44, s43
	s_cselect_b64 s[46:47], -1, 0
	s_mov_b32 s52, 0
	v_cmp_ge_i32_e32 vcc, s42, v2
	s_and_b64 s[46:47], s[46:47], vcc
	s_andn2_b64 vcc, exec, s[46:47]
	s_cbranch_vccnz .LBB10_98
; %bb.87:                               ;   in Loop: Header=BB10_26 Depth=1
	s_mov_b32 s48, 0
	s_mov_b32 s49, 0
.LBB10_88:                              ;   Parent Loop BB10_26 Depth=1
                                        ; =>  This Inner Loop Header: Depth=2
	s_ashr_i32 s45, s44, 31
	s_lshl_b64 s[46:47], s[44:45], 2
	s_add_u32 s46, s26, s46
	s_addc_u32 s47, s27, s47
	s_load_dword s45, s[46:47], 0x0
	s_lshl_b32 s46, s49, 2
	v_mov_b32_e32 v2, s46
	ds_read_b32 v2, v2 offset:4608
	s_mov_b64 s[46:47], -1
	s_waitcnt lgkmcnt(0)
	s_sub_i32 s53, s45, s21
                                        ; implicit-def: $sgpr52
                                        ; implicit-def: $sgpr51
                                        ; implicit-def: $sgpr50
	v_cmp_ge_i32_e32 vcc, s53, v2
	v_readfirstlane_b32 s45, v2
	s_cbranch_vccz .LBB10_94
; %bb.89:                               ;   in Loop: Header=BB10_88 Depth=2
	s_cmp_le_i32 s53, s45
                                        ; implicit-def: $sgpr52
                                        ; implicit-def: $sgpr51
                                        ; implicit-def: $sgpr50
	s_cbranch_scc0 .LBB10_91
; %bb.90:                               ;   in Loop: Header=BB10_88 Depth=2
	s_add_i32 s46, s49, s57
	s_mul_i32 s46, s46, s59
	s_lshl_b32 s47, s48, 2
	v_mov_b32_e32 v2, s47
	v_mov_b32_e32 v3, s46
	s_mul_i32 s46, s44, s59
	v_mov_b32_e32 v4, s46
	v_add_u32_e32 v2, 0x1000, v2
	ds_write2_b32 v2, v4, v3 offset0:64 offset1:96
	s_add_i32 s50, s49, 1
	s_add_i32 s51, s44, 1
	;; [unrolled: 1-line block ×3, first 2 shown]
	s_mov_b64 s[46:47], 0
.LBB10_91:                              ;   in Loop: Header=BB10_88 Depth=2
	s_andn2_b64 vcc, exec, s[46:47]
	s_cbranch_vccnz .LBB10_93
; %bb.92:                               ;   in Loop: Header=BB10_88 Depth=2
	s_add_i32 s50, s49, 1
	s_mov_b32 s52, s48
	s_mov_b32 s51, s44
.LBB10_93:                              ;   in Loop: Header=BB10_88 Depth=2
	s_mov_b64 s[46:47], 0
.LBB10_94:                              ;   in Loop: Header=BB10_88 Depth=2
	s_andn2_b64 vcc, exec, s[46:47]
	s_cbranch_vccnz .LBB10_96
; %bb.95:                               ;   in Loop: Header=BB10_88 Depth=2
	s_add_i32 s51, s44, 1
	s_mov_b32 s50, s49
	s_mov_b32 s52, s48
.LBB10_96:                              ;   in Loop: Header=BB10_88 Depth=2
	s_cmp_le_i32 s51, s43
	s_cselect_b64 s[46:47], -1, 0
	s_cmp_le_i32 s45, s42
	s_cselect_b64 s[44:45], -1, 0
	s_and_b64 s[44:45], s[46:47], s[44:45]
	s_and_b64 vcc, exec, s[44:45]
	s_cbranch_vccz .LBB10_98
; %bb.97:                               ;   in Loop: Header=BB10_88 Depth=2
	s_mov_b32 s48, s52
	s_mov_b32 s44, s51
	;; [unrolled: 1-line block ×3, first 2 shown]
	s_branch .LBB10_88
.LBB10_98:                              ;   in Loop: Header=BB10_26 Depth=1
	s_add_u32 s40, s18, s40
	s_addc_u32 s41, s19, s41
	s_waitcnt lgkmcnt(0)
.LBB10_99:                              ;   Parent Loop BB10_26 Depth=1
                                        ; =>  This Inner Loop Header: Depth=2
	global_load_dword v2, v26, s[40:41] glc
	s_waitcnt vmcnt(0)
	v_cmp_eq_u32_e32 vcc, 0, v2
	s_cbranch_vccnz .LBB10_99
; %bb.100:                              ;   in Loop: Header=BB10_26 Depth=1
	buffer_wbinvl1_vol
	s_and_saveexec_b64 s[40:41], s[0:1]
	s_cbranch_execz .LBB10_158
; %bb.101:                              ;   in Loop: Header=BB10_26 Depth=1
	s_mul_i32 s53, s43, s56
	v_add_u32_e32 v2, s53, v0
	v_mul_lo_u32 v4, v2, s56
	v_mov_b32_e32 v5, v14
	s_and_saveexec_b64 s[42:43], s[6:7]
	s_cbranch_execz .LBB10_115
; %bb.102:                              ;   in Loop: Header=BB10_26 Depth=1
	s_mov_b64 s[44:45], 0
	v_mov_b32_e32 v27, v17
	v_mov_b32_e32 v28, v13
	;; [unrolled: 1-line block ×3, first 2 shown]
	s_branch .LBB10_104
.LBB10_103:                             ;   in Loop: Header=BB10_104 Depth=2
	s_or_b64 exec, exec, s[48:49]
	v_add_u32_e32 v27, -4, v27
	v_cmp_eq_u32_e32 vcc, 0, v27
	s_waitcnt vmcnt(0)
	ds_write_b32 v28, v3
	v_add_u32_e32 v5, 4, v5
	s_or_b64 s[44:45], vcc, s[44:45]
	v_add_u32_e32 v28, 16, v28
	s_andn2_b64 exec, exec, s[44:45]
	s_cbranch_execz .LBB10_114
.LBB10_104:                             ;   Parent Loop BB10_26 Depth=1
                                        ; =>  This Inner Loop Header: Depth=2
	s_and_b64 vcc, exec, s[12:13]
	s_cbranch_vccnz .LBB10_109
; %bb.105:                              ;   in Loop: Header=BB10_104 Depth=2
	s_mov_b64 s[48:49], 0
	s_mov_b64 s[46:47], 0
                                        ; implicit-def: $vgpr2
	s_and_saveexec_b64 s[50:51], s[2:3]
; %bb.106:                              ;   in Loop: Header=BB10_104 Depth=2
	v_add_u32_e32 v2, s53, v5
	s_mov_b64 s[46:47], exec
	v_mad_u64_u32 v[2:3], s[54:55], v2, s56, v[0:1]
; %bb.107:                              ;   in Loop: Header=BB10_104 Depth=2
	s_or_b64 exec, exec, s[50:51]
	s_mov_b32 s50, 0
	s_and_b64 vcc, exec, s[48:49]
	s_cbranch_vccnz .LBB10_110
.LBB10_108:                             ;   in Loop: Header=BB10_104 Depth=2
	v_mov_b32_e32 v3, s50
	s_and_saveexec_b64 s[48:49], s[46:47]
	s_cbranch_execz .LBB10_103
	s_branch .LBB10_113
.LBB10_109:                             ;   in Loop: Header=BB10_104 Depth=2
	s_mov_b64 s[46:47], 0
                                        ; implicit-def: $vgpr2
                                        ; implicit-def: $sgpr50
	s_cbranch_execz .LBB10_108
.LBB10_110:                             ;   in Loop: Header=BB10_104 Depth=2
                                        ; implicit-def: $vgpr2
	s_and_saveexec_b64 s[48:49], s[2:3]
; %bb.111:                              ;   in Loop: Header=BB10_104 Depth=2
	v_add_u32_e32 v2, v4, v5
	s_or_b64 s[46:47], s[46:47], exec
; %bb.112:                              ;   in Loop: Header=BB10_104 Depth=2
	s_or_b64 exec, exec, s[48:49]
	s_mov_b32 s50, 0
	v_mov_b32_e32 v3, s50
	s_and_saveexec_b64 s[48:49], s[46:47]
	s_cbranch_execz .LBB10_103
.LBB10_113:                             ;   in Loop: Header=BB10_104 Depth=2
	v_ashrrev_i32_e32 v3, 31, v2
	v_lshlrev_b64 v[2:3], 2, v[2:3]
	v_mov_b32_e32 v29, s29
	v_add_co_u32_e32 v2, vcc, s28, v2
	v_addc_co_u32_e32 v3, vcc, v29, v3, vcc
	global_load_dword v3, v[2:3], off
	s_branch .LBB10_103
.LBB10_114:                             ;   in Loop: Header=BB10_26 Depth=1
	s_or_b64 exec, exec, s[44:45]
.LBB10_115:                             ;   in Loop: Header=BB10_26 Depth=1
	s_or_b64 exec, exec, s[42:43]
	s_and_b64 exec, exec, s[8:9]
	s_cbranch_execz .LBB10_158
; %bb.116:                              ;   in Loop: Header=BB10_26 Depth=1
	v_lshl_add_u32 v27, v5, 2, v12
	s_mov_b64 s[42:43], 0
	s_branch .LBB10_118
.LBB10_117:                             ;   in Loop: Header=BB10_118 Depth=2
	s_or_b64 exec, exec, s[46:47]
	v_add_u32_e32 v5, 16, v5
	v_cmp_le_i32_e32 vcc, s56, v5
	s_waitcnt vmcnt(0)
	ds_write_b32 v27, v3 offset:48
	s_or_b64 s[42:43], vcc, s[42:43]
	v_add_u32_e32 v27, 64, v27
	s_andn2_b64 exec, exec, s[42:43]
	s_cbranch_execz .LBB10_158
.LBB10_118:                             ;   Parent Loop BB10_26 Depth=1
                                        ; =>  This Inner Loop Header: Depth=2
	s_and_b64 vcc, exec, s[30:31]
	s_cbranch_vccz .LBB10_138
; %bb.119:                              ;   in Loop: Header=BB10_118 Depth=2
	s_mov_b64 s[46:47], 0
	s_mov_b64 s[44:45], 0
                                        ; implicit-def: $vgpr2
	s_and_saveexec_b64 s[48:49], s[2:3]
	s_xor_b64 s[48:49], exec, s[48:49]
; %bb.120:                              ;   in Loop: Header=BB10_118 Depth=2
	v_add_u32_e32 v2, s53, v5
	s_mov_b64 s[44:45], exec
	v_mad_u64_u32 v[2:3], s[50:51], v2, s56, v[0:1]
; %bb.121:                              ;   in Loop: Header=BB10_118 Depth=2
	s_or_b64 exec, exec, s[48:49]
	s_mov_b32 s48, 0
	s_and_b64 vcc, exec, s[46:47]
	s_cbranch_vccnz .LBB10_139
.LBB10_122:                             ;   in Loop: Header=BB10_118 Depth=2
	v_mov_b32_e32 v3, s48
	s_and_saveexec_b64 s[46:47], s[44:45]
	s_cbranch_execnz .LBB10_142
.LBB10_123:                             ;   in Loop: Header=BB10_118 Depth=2
	s_or_b64 exec, exec, s[46:47]
	s_and_b64 vcc, exec, s[12:13]
	ds_write_b32 v27, v3
	s_cbranch_vccnz .LBB10_143
.LBB10_124:                             ;   in Loop: Header=BB10_118 Depth=2
	s_mov_b64 s[46:47], 0
	s_mov_b64 s[44:45], 0
                                        ; implicit-def: $vgpr2
	s_and_saveexec_b64 s[48:49], s[2:3]
; %bb.125:                              ;   in Loop: Header=BB10_118 Depth=2
	v_add3_u32 v2, v5, s53, 4
	s_mov_b64 s[44:45], exec
	v_mad_u64_u32 v[2:3], s[50:51], v2, s56, v[0:1]
; %bb.126:                              ;   in Loop: Header=BB10_118 Depth=2
	s_or_b64 exec, exec, s[48:49]
	s_mov_b32 s48, 0
	s_and_b64 vcc, exec, s[46:47]
	s_cbranch_vccnz .LBB10_144
.LBB10_127:                             ;   in Loop: Header=BB10_118 Depth=2
	v_mov_b32_e32 v3, s48
	s_and_saveexec_b64 s[46:47], s[44:45]
	s_cbranch_execnz .LBB10_147
.LBB10_128:                             ;   in Loop: Header=BB10_118 Depth=2
	s_or_b64 exec, exec, s[46:47]
	s_and_b64 vcc, exec, s[12:13]
	ds_write_b32 v27, v3 offset:16
	s_cbranch_vccnz .LBB10_148
.LBB10_129:                             ;   in Loop: Header=BB10_118 Depth=2
	s_mov_b64 s[46:47], 0
	s_mov_b64 s[44:45], 0
                                        ; implicit-def: $vgpr2
	s_and_saveexec_b64 s[48:49], s[2:3]
; %bb.130:                              ;   in Loop: Header=BB10_118 Depth=2
	v_add3_u32 v2, v5, s53, 8
	s_mov_b64 s[44:45], exec
	v_mad_u64_u32 v[2:3], s[50:51], v2, s56, v[0:1]
; %bb.131:                              ;   in Loop: Header=BB10_118 Depth=2
	s_or_b64 exec, exec, s[48:49]
	s_mov_b32 s48, 0
	s_and_b64 vcc, exec, s[46:47]
	s_cbranch_vccnz .LBB10_149
.LBB10_132:                             ;   in Loop: Header=BB10_118 Depth=2
	v_mov_b32_e32 v3, s48
	s_and_saveexec_b64 s[46:47], s[44:45]
	s_cbranch_execnz .LBB10_152
.LBB10_133:                             ;   in Loop: Header=BB10_118 Depth=2
	s_or_b64 exec, exec, s[46:47]
	s_and_b64 vcc, exec, s[12:13]
	ds_write_b32 v27, v3 offset:32
	s_cbranch_vccnz .LBB10_153
.LBB10_134:                             ;   in Loop: Header=BB10_118 Depth=2
	s_mov_b64 s[46:47], 0
	s_mov_b64 s[44:45], 0
                                        ; implicit-def: $vgpr2
	s_and_saveexec_b64 s[48:49], s[2:3]
; %bb.135:                              ;   in Loop: Header=BB10_118 Depth=2
	v_add3_u32 v2, v5, s53, 12
	s_mov_b64 s[44:45], exec
	v_mad_u64_u32 v[2:3], s[50:51], v2, s56, v[0:1]
; %bb.136:                              ;   in Loop: Header=BB10_118 Depth=2
	s_or_b64 exec, exec, s[48:49]
	s_mov_b32 s48, 0
	s_and_b64 vcc, exec, s[46:47]
	s_cbranch_vccnz .LBB10_154
.LBB10_137:                             ;   in Loop: Header=BB10_118 Depth=2
	v_mov_b32_e32 v3, s48
	s_and_saveexec_b64 s[46:47], s[44:45]
	s_cbranch_execz .LBB10_117
	s_branch .LBB10_157
.LBB10_138:                             ;   in Loop: Header=BB10_118 Depth=2
	s_mov_b64 s[44:45], 0
                                        ; implicit-def: $vgpr2
                                        ; implicit-def: $sgpr48
	s_cbranch_execz .LBB10_122
.LBB10_139:                             ;   in Loop: Header=BB10_118 Depth=2
                                        ; implicit-def: $vgpr2
	s_and_saveexec_b64 s[46:47], s[2:3]
; %bb.140:                              ;   in Loop: Header=BB10_118 Depth=2
	v_add_u32_e32 v2, v4, v5
	s_or_b64 s[44:45], s[44:45], exec
; %bb.141:                              ;   in Loop: Header=BB10_118 Depth=2
	s_or_b64 exec, exec, s[46:47]
	s_mov_b32 s48, 0
	v_mov_b32_e32 v3, s48
	s_and_saveexec_b64 s[46:47], s[44:45]
	s_cbranch_execz .LBB10_123
.LBB10_142:                             ;   in Loop: Header=BB10_118 Depth=2
	v_ashrrev_i32_e32 v3, 31, v2
	v_lshlrev_b64 v[2:3], 2, v[2:3]
	v_mov_b32_e32 v28, s29
	v_add_co_u32_e32 v2, vcc, s28, v2
	v_addc_co_u32_e32 v3, vcc, v28, v3, vcc
	global_load_dword v3, v[2:3], off
	s_or_b64 exec, exec, s[46:47]
	s_and_b64 vcc, exec, s[12:13]
	s_waitcnt vmcnt(0)
	ds_write_b32 v27, v3
	s_cbranch_vccz .LBB10_124
.LBB10_143:                             ;   in Loop: Header=BB10_118 Depth=2
	s_mov_b64 s[44:45], 0
                                        ; implicit-def: $vgpr2
                                        ; implicit-def: $sgpr48
	s_cbranch_execz .LBB10_127
.LBB10_144:                             ;   in Loop: Header=BB10_118 Depth=2
                                        ; implicit-def: $vgpr2
	s_and_saveexec_b64 s[46:47], s[2:3]
; %bb.145:                              ;   in Loop: Header=BB10_118 Depth=2
	v_add3_u32 v2, v4, v5, 4
	s_or_b64 s[44:45], s[44:45], exec
; %bb.146:                              ;   in Loop: Header=BB10_118 Depth=2
	s_or_b64 exec, exec, s[46:47]
	s_mov_b32 s48, 0
	v_mov_b32_e32 v3, s48
	s_and_saveexec_b64 s[46:47], s[44:45]
	s_cbranch_execz .LBB10_128
.LBB10_147:                             ;   in Loop: Header=BB10_118 Depth=2
	v_ashrrev_i32_e32 v3, 31, v2
	v_lshlrev_b64 v[2:3], 2, v[2:3]
	v_mov_b32_e32 v28, s29
	v_add_co_u32_e32 v2, vcc, s28, v2
	v_addc_co_u32_e32 v3, vcc, v28, v3, vcc
	global_load_dword v3, v[2:3], off
	s_or_b64 exec, exec, s[46:47]
	s_and_b64 vcc, exec, s[12:13]
	s_waitcnt vmcnt(0)
	ds_write_b32 v27, v3 offset:16
	s_cbranch_vccz .LBB10_129
.LBB10_148:                             ;   in Loop: Header=BB10_118 Depth=2
	s_mov_b64 s[44:45], 0
                                        ; implicit-def: $vgpr2
                                        ; implicit-def: $sgpr48
	s_cbranch_execz .LBB10_132
.LBB10_149:                             ;   in Loop: Header=BB10_118 Depth=2
                                        ; implicit-def: $vgpr2
	s_and_saveexec_b64 s[46:47], s[2:3]
; %bb.150:                              ;   in Loop: Header=BB10_118 Depth=2
	v_add3_u32 v2, v4, v5, 8
	s_or_b64 s[44:45], s[44:45], exec
; %bb.151:                              ;   in Loop: Header=BB10_118 Depth=2
	s_or_b64 exec, exec, s[46:47]
	s_mov_b32 s48, 0
	v_mov_b32_e32 v3, s48
	s_and_saveexec_b64 s[46:47], s[44:45]
	s_cbranch_execz .LBB10_133
.LBB10_152:                             ;   in Loop: Header=BB10_118 Depth=2
	v_ashrrev_i32_e32 v3, 31, v2
	v_lshlrev_b64 v[2:3], 2, v[2:3]
	v_mov_b32_e32 v28, s29
	v_add_co_u32_e32 v2, vcc, s28, v2
	v_addc_co_u32_e32 v3, vcc, v28, v3, vcc
	global_load_dword v3, v[2:3], off
	s_or_b64 exec, exec, s[46:47]
	s_and_b64 vcc, exec, s[12:13]
	s_waitcnt vmcnt(0)
	ds_write_b32 v27, v3 offset:32
	s_cbranch_vccz .LBB10_134
.LBB10_153:                             ;   in Loop: Header=BB10_118 Depth=2
	s_mov_b64 s[44:45], 0
                                        ; implicit-def: $vgpr2
                                        ; implicit-def: $sgpr48
	s_cbranch_execz .LBB10_137
.LBB10_154:                             ;   in Loop: Header=BB10_118 Depth=2
                                        ; implicit-def: $vgpr2
	s_and_saveexec_b64 s[46:47], s[2:3]
; %bb.155:                              ;   in Loop: Header=BB10_118 Depth=2
	v_add3_u32 v2, v4, v5, 12
	s_or_b64 s[44:45], s[44:45], exec
; %bb.156:                              ;   in Loop: Header=BB10_118 Depth=2
	s_or_b64 exec, exec, s[46:47]
	s_mov_b32 s48, 0
	v_mov_b32_e32 v3, s48
	s_and_saveexec_b64 s[46:47], s[44:45]
	s_cbranch_execz .LBB10_117
.LBB10_157:                             ;   in Loop: Header=BB10_118 Depth=2
	v_ashrrev_i32_e32 v3, 31, v2
	v_lshlrev_b64 v[2:3], 2, v[2:3]
	v_mov_b32_e32 v28, s29
	v_add_co_u32_e32 v2, vcc, s28, v2
	v_addc_co_u32_e32 v3, vcc, v28, v3, vcc
	global_load_dword v3, v[2:3], off
	s_branch .LBB10_117
.LBB10_158:                             ;   in Loop: Header=BB10_26 Depth=1
	s_or_b64 exec, exec, s[40:41]
	s_cmp_lt_i32 s52, 2
	s_cbranch_scc1 .LBB10_174
; %bb.159:                              ;   in Loop: Header=BB10_26 Depth=1
	s_add_i32 s46, s52, -2
	s_mov_b32 s47, 0
	s_branch .LBB10_161
.LBB10_160:                             ;   in Loop: Header=BB10_161 Depth=2
	s_or_b64 exec, exec, s[40:41]
	s_add_i32 s40, s47, 1
	s_cmp_eq_u32 s47, s46
	s_mov_b32 s47, s40
	s_cbranch_scc1 .LBB10_174
.LBB10_161:                             ;   Parent Loop BB10_26 Depth=1
                                        ; =>  This Loop Header: Depth=2
                                        ;       Child Loop BB10_164 Depth 3
	s_and_saveexec_b64 s[40:41], s[0:1]
	s_cbranch_execz .LBB10_160
; %bb.162:                              ;   in Loop: Header=BB10_161 Depth=2
	s_lshl_b32 s42, s47, 2
	v_mov_b32_e32 v2, s42
	v_add_u32_e32 v2, 0x1000, v2
	ds_read2_b32 v[2:3], v2 offset0:64 offset1:96
	s_mov_b64 s[42:43], 0
	v_mov_b32_e32 v31, v14
	s_waitcnt lgkmcnt(0)
	v_add_u32_e32 v27, v3, v7
	v_add_u32_e32 v28, v0, v3
	;; [unrolled: 1-line block ×4, first 2 shown]
	s_branch .LBB10_164
.LBB10_163:                             ;   in Loop: Header=BB10_164 Depth=3
	v_lshlrev_b32_e32 v2, 2, v31
	v_mad_u32_u24 v2, v0, s60, v2
	ds_read_b32 v4, v2 offset:1088
	v_add_u32_e32 v31, 4, v31
	v_cmp_le_i32_e32 vcc, s56, v31
	v_add_u32_e32 v29, 4, v29
	s_or_b64 s[42:43], vcc, s[42:43]
	s_waitcnt lgkmcnt(0)
	v_add_f32_e32 v3, v3, v4
	v_add_u32_e32 v30, s61, v30
	ds_write_b32 v2, v3 offset:1088
	s_andn2_b64 exec, exec, s[42:43]
	s_cbranch_execz .LBB10_160
.LBB10_164:                             ;   Parent Loop BB10_26 Depth=1
                                        ;     Parent Loop BB10_161 Depth=2
                                        ; =>    This Inner Loop Header: Depth=3
	s_mov_b32 s48, 0
	v_mov_b32_e32 v32, 0
	v_mov_b32_e32 v2, v29
	;; [unrolled: 1-line block ×3, first 2 shown]
	s_and_b64 vcc, exec, s[30:31]
	s_cbranch_vccz .LBB10_168
.LBB10_165:                             ;   in Loop: Header=BB10_164 Depth=3
	v_ashrrev_i32_e32 v3, 31, v2
	v_lshlrev_b64 v[34:35], 2, v[2:3]
	v_mov_b32_e32 v3, s29
	v_add_co_u32_e32 v34, vcc, s28, v34
	v_addc_co_u32_e32 v35, vcc, v3, v35, vcc
	global_load_dword v3, v[34:35], off
	v_mov_b32_e32 v5, 0
	s_and_saveexec_b64 s[44:45], s[2:3]
	s_cbranch_execz .LBB10_167
; %bb.166:                              ;   in Loop: Header=BB10_164 Depth=3
	v_ashrrev_i32_e32 v5, 31, v4
	v_lshlrev_b64 v[34:35], 2, v[4:5]
	v_mov_b32_e32 v5, s29
	v_add_co_u32_e32 v34, vcc, s28, v34
	v_addc_co_u32_e32 v35, vcc, v5, v35, vcc
	global_load_dword v5, v[34:35], off
.LBB10_167:                             ;   in Loop: Header=BB10_164 Depth=3
	s_or_b64 exec, exec, s[44:45]
	s_waitcnt vmcnt(0)
	v_fma_f32 v3, v3, v5, v32
	s_branch .LBB10_172
.LBB10_168:                             ;   in Loop: Header=BB10_164 Depth=3
                                        ; implicit-def: $vgpr3
	s_cbranch_execz .LBB10_172
; %bb.169:                              ;   in Loop: Header=BB10_164 Depth=3
	v_add_u32_e32 v34, s48, v30
	v_ashrrev_i32_e32 v35, 31, v34
	v_lshlrev_b64 v[34:35], 2, v[34:35]
	v_mov_b32_e32 v3, s29
	v_add_co_u32_e32 v34, vcc, s28, v34
	v_addc_co_u32_e32 v35, vcc, v3, v35, vcc
	global_load_dword v3, v[34:35], off
	v_mov_b32_e32 v5, 0
	s_and_saveexec_b64 s[44:45], s[2:3]
	s_cbranch_execz .LBB10_171
; %bb.170:                              ;   in Loop: Header=BB10_164 Depth=3
	v_add_u32_e32 v34, s48, v27
	v_ashrrev_i32_e32 v35, 31, v34
	v_lshlrev_b64 v[34:35], 2, v[34:35]
	v_mov_b32_e32 v5, s29
	v_add_co_u32_e32 v34, vcc, s28, v34
	v_addc_co_u32_e32 v35, vcc, v5, v35, vcc
	global_load_dword v5, v[34:35], off
.LBB10_171:                             ;   in Loop: Header=BB10_164 Depth=3
	s_or_b64 exec, exec, s[44:45]
	s_waitcnt vmcnt(0)
	v_fmac_f32_e32 v32, v3, v5
	v_mov_b32_e32 v3, v32
.LBB10_172:                             ;   in Loop: Header=BB10_164 Depth=3
	s_add_i32 s48, s48, 1
	v_add_u32_e32 v4, s56, v4
	s_cmp_eq_u32 s56, s48
	v_add_u32_e32 v2, s56, v2
	s_cbranch_scc1 .LBB10_163
; %bb.173:                              ;   in Loop: Header=BB10_164 Depth=3
	v_mov_b32_e32 v32, v3
	s_and_b64 vcc, exec, s[30:31]
	s_cbranch_vccnz .LBB10_165
	s_branch .LBB10_168
.LBB10_174:                             ;   in Loop: Header=BB10_26 Depth=1
	s_andn2_b64 vcc, exec, s[34:35]
	s_waitcnt lgkmcnt(0)
	s_cbranch_vccnz .LBB10_194
; %bb.175:                              ;   in Loop: Header=BB10_26 Depth=1
	s_mov_b32 s48, 0
	s_mov_b32 s49, 0
	s_movk_i32 s50, 0x880
	v_mov_b32_e32 v4, v23
	s_branch .LBB10_177
.LBB10_176:                             ;   in Loop: Header=BB10_177 Depth=2
	s_or_b64 exec, exec, s[40:41]
	s_add_i32 s49, s49, 1
	s_addk_i32 s48, 0x44
	s_add_i32 s50, s50, 4
	s_cmp_eq_u32 s49, s56
	v_add_u32_e32 v4, 4, v4
	s_waitcnt lgkmcnt(0)
	s_cbranch_scc1 .LBB10_194
.LBB10_177:                             ;   Parent Loop BB10_26 Depth=1
                                        ; =>  This Loop Header: Depth=2
                                        ;       Child Loop BB10_183 Depth 3
                                        ;       Child Loop BB10_187 Depth 3
	;; [unrolled: 1-line block ×3, first 2 shown]
	s_lshl_b32 s40, s49, 2
	s_mul_i32 s41, s49, 0x44
	s_add_i32 s41, s40, s41
	v_mov_b32_e32 v2, s41
	ds_read_b32 v5, v2
	v_mov_b32_e32 v2, s40
	v_mad_u32_u24 v3, v0, s60, v2
	ds_read_b32 v2, v3 offset:2176
	s_waitcnt lgkmcnt(1)
	v_cmp_neq_f32_e32 vcc, 0, v5
	s_or_b64 s[40:41], vcc, s[4:5]
	v_cndmask_b32_e32 v5, 1.0, v5, vcc
	s_xor_b64 s[42:43], s[40:41], -1
	s_and_saveexec_b64 s[40:41], s[42:43]
	s_cbranch_execz .LBB10_181
; %bb.178:                              ;   in Loop: Header=BB10_177 Depth=2
	v_mbcnt_lo_u32_b32 v5, exec_lo, 0
	v_mbcnt_hi_u32_b32 v5, exec_hi, v5
	v_cmp_eq_u32_e32 vcc, 0, v5
	s_and_saveexec_b64 s[42:43], vcc
	s_cbranch_execz .LBB10_180
; %bb.179:                              ;   in Loop: Header=BB10_177 Depth=2
	v_mov_b32_e32 v5, s62
	global_atomic_smin v26, v5, s[22:23]
.LBB10_180:                             ;   in Loop: Header=BB10_177 Depth=2
	s_or_b64 exec, exec, s[42:43]
	v_mov_b32_e32 v5, 1.0
.LBB10_181:                             ;   in Loop: Header=BB10_177 Depth=2
	s_or_b64 exec, exec, s[40:41]
	v_lshl_add_u32 v27, s49, 2, v12
	ds_read_b32 v27, v27 offset:1088
	s_cmp_eq_u32 s49, 0
	s_cbranch_scc1 .LBB10_184
; %bb.182:                              ;   in Loop: Header=BB10_177 Depth=2
	s_mov_b32 s40, 0
	v_mov_b32_e32 v28, v21
	s_mov_b32 s41, s48
.LBB10_183:                             ;   Parent Loop BB10_26 Depth=1
                                        ;     Parent Loop BB10_177 Depth=2
                                        ; =>    This Inner Loop Header: Depth=3
	v_mov_b32_e32 v29, s41
	ds_read_b32 v30, v28
	ds_read_b32 v29, v29
	s_add_i32 s40, s40, 1
	s_add_i32 s41, s41, 4
	v_add_u32_e32 v28, 4, v28
	s_cmp_ge_u32 s40, s49
	s_waitcnt lgkmcnt(0)
	v_fmac_f32_e32 v27, v29, v30
	s_cbranch_scc0 .LBB10_183
.LBB10_184:                             ;   in Loop: Header=BB10_177 Depth=2
	s_waitcnt lgkmcnt(0)
	v_sub_f32_e32 v2, v2, v27
	v_div_scale_f32 v27, s[40:41], v5, v5, v2
	v_rcp_f32_e32 v28, v27
	v_div_scale_f32 v29, vcc, v2, v5, v2
	v_add_u32_e32 v3, 0x880, v3
	v_fma_f32 v30, -v27, v28, 1.0
	v_fmac_f32_e32 v28, v30, v28
	v_mul_f32_e32 v30, v29, v28
	v_fma_f32 v31, -v27, v30, v29
	v_fmac_f32_e32 v30, v31, v28
	v_fma_f32 v27, -v27, v30, v29
	v_div_fmas_f32 v27, v27, v28, v30
	v_div_fixup_f32 v2, v27, v5, v2
	ds_write_b32 v3, v2
	s_waitcnt lgkmcnt(0)
	s_and_saveexec_b64 s[40:41], s[0:1]
	s_cbranch_execz .LBB10_176
; %bb.185:                              ;   in Loop: Header=BB10_177 Depth=2
	s_mov_b64 s[44:45], -1
	v_mov_b32_e32 v3, v14
	v_mov_b32_e32 v5, v22
	;; [unrolled: 1-line block ×3, first 2 shown]
	s_and_saveexec_b64 s[42:43], s[36:37]
	s_cbranch_execz .LBB10_191
; %bb.186:                              ;   in Loop: Header=BB10_177 Depth=2
	v_mov_b32_e32 v3, v2
	s_mov_b64 s[44:45], 0
	v_mov_b32_e32 v5, v10
	v_mov_b32_e32 v27, v24
	;; [unrolled: 1-line block ×3, first 2 shown]
.LBB10_187:                             ;   Parent Loop BB10_26 Depth=1
                                        ;     Parent Loop BB10_177 Depth=2
                                        ; =>    This Inner Loop Header: Depth=3
	ds_read2_b32 v[30:31], v28 offset1:68
	ds_read2_b32 v[32:33], v27 offset1:4
	v_add_u32_e32 v5, -2, v5
	v_cmp_eq_u32_e32 vcc, 0, v5
	v_add_u32_e32 v28, 0x220, v28
	s_or_b64 s[44:45], vcc, s[44:45]
	s_waitcnt lgkmcnt(0)
	v_pk_fma_f32 v[30:31], v[2:3], v[30:31], v[32:33]
	ds_write2_b32 v27, v30, v31 offset1:4
	v_add_u32_e32 v27, 32, v27
	s_andn2_b64 exec, exec, s[44:45]
	s_cbranch_execnz .LBB10_187
; %bb.188:                              ;   in Loop: Header=BB10_177 Depth=2
	s_or_b64 exec, exec, s[44:45]
	s_mov_b64 s[44:45], 0
                                        ; implicit-def: $vgpr5
                                        ; implicit-def: $vgpr27
	s_and_saveexec_b64 s[46:47], s[10:11]
	s_xor_b64 s[46:47], exec, s[46:47]
; %bb.189:                              ;   in Loop: Header=BB10_177 Depth=2
	s_mov_b64 s[44:45], exec
	v_mul_lo_u32 v5, v11, s60
	v_lshlrev_b32_e32 v27, 2, v11
; %bb.190:                              ;   in Loop: Header=BB10_177 Depth=2
	s_or_b64 exec, exec, s[46:47]
	s_orn2_b64 s[44:45], s[44:45], exec
	v_mov_b32_e32 v3, v11
.LBB10_191:                             ;   in Loop: Header=BB10_177 Depth=2
	s_or_b64 exec, exec, s[42:43]
	s_and_b64 exec, exec, s[44:45]
	s_cbranch_execz .LBB10_176
; %bb.192:                              ;   in Loop: Header=BB10_177 Depth=2
	v_add_u32_e32 v5, s50, v5
	v_add_u32_e32 v27, v9, v27
	s_mov_b64 s[42:43], 0
.LBB10_193:                             ;   Parent Loop BB10_26 Depth=1
                                        ;     Parent Loop BB10_177 Depth=2
                                        ; =>    This Inner Loop Header: Depth=3
	ds_read_b32 v28, v5
	ds_read_b32 v29, v27
	v_add_u32_e32 v3, 4, v3
	v_cmp_le_i32_e32 vcc, s56, v3
	v_add_u32_e32 v5, 0x110, v5
	s_or_b64 s[42:43], vcc, s[42:43]
	s_waitcnt lgkmcnt(0)
	v_fmac_f32_e32 v29, v2, v28
	ds_write_b32 v27, v29
	v_add_u32_e32 v27, 16, v27
	s_andn2_b64 exec, exec, s[42:43]
	s_cbranch_execnz .LBB10_193
	s_branch .LBB10_176
.LBB10_194:                             ;   in Loop: Header=BB10_26 Depth=1
	s_and_saveexec_b64 s[40:41], s[0:1]
	s_cbranch_execz .LBB10_25
; %bb.195:                              ;   in Loop: Header=BB10_26 Depth=1
	v_mov_b32_e32 v4, v14
	s_and_saveexec_b64 s[42:43], s[6:7]
	s_cbranch_execz .LBB10_205
; %bb.196:                              ;   in Loop: Header=BB10_26 Depth=1
	s_mov_b64 s[44:45], 0
	v_mov_b32_e32 v5, v17
	v_mov_b32_e32 v27, v25
	;; [unrolled: 1-line block ×3, first 2 shown]
	s_branch .LBB10_199
.LBB10_197:                             ;   in Loop: Header=BB10_199 Depth=2
	v_ashrrev_i32_e32 v3, 31, v2
	v_lshlrev_b64 v[2:3], 2, v[2:3]
	v_mov_b32_e32 v29, s29
	v_add_co_u32_e32 v2, vcc, s28, v2
	v_addc_co_u32_e32 v3, vcc, v29, v3, vcc
	s_waitcnt lgkmcnt(0)
	global_store_dword v[2:3], v28, off
.LBB10_198:                             ;   in Loop: Header=BB10_199 Depth=2
	s_or_b64 exec, exec, s[46:47]
	v_add_u32_e32 v5, -4, v5
	v_cmp_eq_u32_e32 vcc, 0, v5
	v_add_u32_e32 v4, 4, v4
	s_or_b64 s[44:45], vcc, s[44:45]
	v_add_u32_e32 v27, 16, v27
	s_andn2_b64 exec, exec, s[44:45]
	s_cbranch_execz .LBB10_204
.LBB10_199:                             ;   Parent Loop BB10_26 Depth=1
                                        ; =>  This Inner Loop Header: Depth=2
	s_and_saveexec_b64 s[46:47], s[2:3]
	s_cbranch_execz .LBB10_198
; %bb.200:                              ;   in Loop: Header=BB10_199 Depth=2
	ds_read_b32 v28, v27
	s_and_b64 vcc, exec, s[12:13]
	s_cbranch_vccnz .LBB10_202
; %bb.201:                              ;   in Loop: Header=BB10_199 Depth=2
	v_add_u32_e32 v2, s39, v4
	v_mad_u64_u32 v[2:3], s[48:49], v2, s56, v[0:1]
	s_cbranch_execnz .LBB10_197
	s_branch .LBB10_203
.LBB10_202:                             ;   in Loop: Header=BB10_199 Depth=2
                                        ; implicit-def: $vgpr2
.LBB10_203:                             ;   in Loop: Header=BB10_199 Depth=2
	v_add_u32_e32 v2, v18, v4
	s_branch .LBB10_197
.LBB10_204:                             ;   in Loop: Header=BB10_26 Depth=1
	s_or_b64 exec, exec, s[44:45]
.LBB10_205:                             ;   in Loop: Header=BB10_26 Depth=1
	s_or_b64 exec, exec, s[42:43]
	s_and_b64 exec, exec, s[8:9]
	s_cbranch_execz .LBB10_25
; %bb.206:                              ;   in Loop: Header=BB10_26 Depth=1
	v_lshl_add_u32 v5, v4, 2, v21
	s_mov_b64 s[42:43], 0
	s_branch .LBB10_209
.LBB10_207:                             ;   in Loop: Header=BB10_209 Depth=2
	v_ashrrev_i32_e32 v3, 31, v2
	v_lshlrev_b64 v[2:3], 2, v[2:3]
	v_mov_b32_e32 v28, s29
	v_add_co_u32_e32 v2, vcc, s28, v2
	v_addc_co_u32_e32 v3, vcc, v28, v3, vcc
	s_waitcnt lgkmcnt(0)
	global_store_dword v[2:3], v27, off
.LBB10_208:                             ;   in Loop: Header=BB10_209 Depth=2
	s_or_b64 exec, exec, s[44:45]
	v_add_u32_e32 v4, 16, v4
	v_cmp_le_i32_e32 vcc, s56, v4
	s_or_b64 s[42:43], vcc, s[42:43]
	v_add_u32_e32 v5, 64, v5
	s_andn2_b64 exec, exec, s[42:43]
	s_cbranch_execz .LBB10_25
.LBB10_209:                             ;   Parent Loop BB10_26 Depth=1
                                        ; =>  This Inner Loop Header: Depth=2
	s_and_saveexec_b64 s[44:45], s[2:3]
	s_cbranch_execnz .LBB10_213
; %bb.210:                              ;   in Loop: Header=BB10_209 Depth=2
	s_or_b64 exec, exec, s[44:45]
	s_and_saveexec_b64 s[44:45], s[2:3]
	s_cbranch_execnz .LBB10_217
.LBB10_211:                             ;   in Loop: Header=BB10_209 Depth=2
	s_or_b64 exec, exec, s[44:45]
	s_and_saveexec_b64 s[44:45], s[2:3]
	s_cbranch_execnz .LBB10_221
.LBB10_212:                             ;   in Loop: Header=BB10_209 Depth=2
	s_or_b64 exec, exec, s[44:45]
	s_and_saveexec_b64 s[44:45], s[2:3]
	s_cbranch_execz .LBB10_208
	s_branch .LBB10_225
.LBB10_213:                             ;   in Loop: Header=BB10_209 Depth=2
	ds_read_b32 v27, v5
	s_and_b64 vcc, exec, s[30:31]
	s_cbranch_vccz .LBB10_227
; %bb.214:                              ;   in Loop: Header=BB10_209 Depth=2
	v_add_u32_e32 v2, s39, v4
	v_mad_u64_u32 v[2:3], s[46:47], v2, s56, v[0:1]
	s_cbranch_execnz .LBB10_216
.LBB10_215:                             ;   in Loop: Header=BB10_209 Depth=2
	v_add_u32_e32 v2, v18, v4
.LBB10_216:                             ;   in Loop: Header=BB10_209 Depth=2
	v_ashrrev_i32_e32 v3, 31, v2
	v_lshlrev_b64 v[2:3], 2, v[2:3]
	v_mov_b32_e32 v28, s29
	v_add_co_u32_e32 v2, vcc, s28, v2
	v_addc_co_u32_e32 v3, vcc, v28, v3, vcc
	s_waitcnt lgkmcnt(0)
	global_store_dword v[2:3], v27, off
	s_or_b64 exec, exec, s[44:45]
	s_and_saveexec_b64 s[44:45], s[2:3]
	s_cbranch_execz .LBB10_211
.LBB10_217:                             ;   in Loop: Header=BB10_209 Depth=2
	ds_read_b32 v27, v5 offset:16
	s_and_b64 vcc, exec, s[12:13]
	s_cbranch_vccnz .LBB10_228
; %bb.218:                              ;   in Loop: Header=BB10_209 Depth=2
	v_add3_u32 v2, v4, s39, 4
	v_mad_u64_u32 v[2:3], s[46:47], v2, s56, v[0:1]
	s_cbranch_execnz .LBB10_220
.LBB10_219:                             ;   in Loop: Header=BB10_209 Depth=2
	v_add3_u32 v2, v18, v4, 4
.LBB10_220:                             ;   in Loop: Header=BB10_209 Depth=2
	v_ashrrev_i32_e32 v3, 31, v2
	v_lshlrev_b64 v[2:3], 2, v[2:3]
	v_mov_b32_e32 v28, s29
	v_add_co_u32_e32 v2, vcc, s28, v2
	v_addc_co_u32_e32 v3, vcc, v28, v3, vcc
	s_waitcnt lgkmcnt(0)
	global_store_dword v[2:3], v27, off
	s_or_b64 exec, exec, s[44:45]
	s_and_saveexec_b64 s[44:45], s[2:3]
	s_cbranch_execz .LBB10_212
.LBB10_221:                             ;   in Loop: Header=BB10_209 Depth=2
	ds_read_b32 v27, v5 offset:32
	s_and_b64 vcc, exec, s[12:13]
	s_cbranch_vccnz .LBB10_229
; %bb.222:                              ;   in Loop: Header=BB10_209 Depth=2
	v_add3_u32 v2, v4, s39, 8
	v_mad_u64_u32 v[2:3], s[46:47], v2, s56, v[0:1]
	s_cbranch_execnz .LBB10_224
.LBB10_223:                             ;   in Loop: Header=BB10_209 Depth=2
	v_add3_u32 v2, v18, v4, 8
.LBB10_224:                             ;   in Loop: Header=BB10_209 Depth=2
	v_ashrrev_i32_e32 v3, 31, v2
	v_lshlrev_b64 v[2:3], 2, v[2:3]
	v_mov_b32_e32 v28, s29
	v_add_co_u32_e32 v2, vcc, s28, v2
	v_addc_co_u32_e32 v3, vcc, v28, v3, vcc
	s_waitcnt lgkmcnt(0)
	global_store_dword v[2:3], v27, off
	s_or_b64 exec, exec, s[44:45]
	s_and_saveexec_b64 s[44:45], s[2:3]
	s_cbranch_execz .LBB10_208
.LBB10_225:                             ;   in Loop: Header=BB10_209 Depth=2
	ds_read_b32 v27, v5 offset:48
	s_and_b64 vcc, exec, s[12:13]
	s_cbranch_vccnz .LBB10_230
; %bb.226:                              ;   in Loop: Header=BB10_209 Depth=2
	v_add3_u32 v2, v4, s39, 12
	v_mad_u64_u32 v[2:3], s[46:47], v2, s56, v[0:1]
	s_cbranch_execnz .LBB10_207
	s_branch .LBB10_231
.LBB10_227:                             ;   in Loop: Header=BB10_209 Depth=2
                                        ; implicit-def: $vgpr2
	s_branch .LBB10_215
.LBB10_228:                             ;   in Loop: Header=BB10_209 Depth=2
                                        ; implicit-def: $vgpr2
	s_branch .LBB10_219
.LBB10_229:                             ;   in Loop: Header=BB10_209 Depth=2
                                        ; implicit-def: $vgpr2
	s_branch .LBB10_223
.LBB10_230:                             ;   in Loop: Header=BB10_209 Depth=2
                                        ; implicit-def: $vgpr2
.LBB10_231:                             ;   in Loop: Header=BB10_209 Depth=2
	v_add3_u32 v2, v18, v4, 12
	s_branch .LBB10_207
.LBB10_232:
	v_cmp_gt_i32_e64 s[0:1], s56, v14
	s_and_saveexec_b64 s[4:5], s[0:1]
	s_cbranch_execz .LBB10_245
; %bb.233:
	s_mul_i32 s24, s33, s56
	v_add_u32_e32 v2, s24, v0
	s_cmp_lg_u32 s58, 0
	v_mul_lo_u32 v4, v2, s56
	v_mul_u32_u24_e32 v2, 0x44, v0
	v_lshlrev_b32_e32 v3, 2, v14
	s_movk_i32 s8, 0x880
	s_cselect_b64 s[6:7], -1, 0
	v_cmp_gt_i32_e64 s[2:3], s56, v0
	v_add3_u32 v5, v2, v3, s8
	s_mov_b64 s[8:9], 0
	v_mov_b32_e32 v7, v14
	s_branch .LBB10_235
.LBB10_234:                             ;   in Loop: Header=BB10_235 Depth=1
	s_or_b64 exec, exec, s[12:13]
	v_add_u32_e32 v7, 4, v7
	v_cmp_le_i32_e32 vcc, s56, v7
	s_waitcnt vmcnt(0)
	ds_write_b32 v5, v3
	s_or_b64 s[8:9], vcc, s[8:9]
	v_add_u32_e32 v5, 16, v5
	s_andn2_b64 exec, exec, s[8:9]
	s_cbranch_execz .LBB10_245
.LBB10_235:                             ; =>This Inner Loop Header: Depth=1
	s_and_b64 vcc, exec, s[6:7]
	s_cbranch_vccz .LBB10_240
; %bb.236:                              ;   in Loop: Header=BB10_235 Depth=1
	s_mov_b64 s[12:13], 0
	s_mov_b64 s[10:11], 0
                                        ; implicit-def: $vgpr2
	s_and_saveexec_b64 s[16:17], s[2:3]
	s_xor_b64 s[16:17], exec, s[16:17]
; %bb.237:                              ;   in Loop: Header=BB10_235 Depth=1
	v_add_u32_e32 v2, s24, v7
	s_mov_b64 s[10:11], exec
	v_mad_u64_u32 v[2:3], s[26:27], v2, s56, v[0:1]
; %bb.238:                              ;   in Loop: Header=BB10_235 Depth=1
	s_or_b64 exec, exec, s[16:17]
	s_mov_b32 s16, 0
	s_and_b64 vcc, exec, s[12:13]
	s_cbranch_vccnz .LBB10_241
.LBB10_239:                             ;   in Loop: Header=BB10_235 Depth=1
	v_mov_b32_e32 v3, s16
	s_and_saveexec_b64 s[12:13], s[10:11]
	s_cbranch_execz .LBB10_234
	s_branch .LBB10_244
.LBB10_240:                             ;   in Loop: Header=BB10_235 Depth=1
	s_mov_b64 s[10:11], 0
                                        ; implicit-def: $vgpr2
                                        ; implicit-def: $sgpr16
	s_cbranch_execz .LBB10_239
.LBB10_241:                             ;   in Loop: Header=BB10_235 Depth=1
                                        ; implicit-def: $vgpr2
	s_and_saveexec_b64 s[12:13], s[2:3]
; %bb.242:                              ;   in Loop: Header=BB10_235 Depth=1
	v_add_u32_e32 v2, v4, v7
	s_or_b64 s[10:11], s[10:11], exec
; %bb.243:                              ;   in Loop: Header=BB10_235 Depth=1
	s_or_b64 exec, exec, s[12:13]
	s_mov_b32 s16, 0
	v_mov_b32_e32 v3, s16
	s_and_saveexec_b64 s[12:13], s[10:11]
	s_cbranch_execz .LBB10_234
.LBB10_244:                             ;   in Loop: Header=BB10_235 Depth=1
	v_ashrrev_i32_e32 v3, 31, v2
	v_lshlrev_b64 v[2:3], 2, v[2:3]
	v_mov_b32_e32 v8, s29
	v_add_co_u32_e32 v2, vcc, s28, v2
	v_addc_co_u32_e32 v3, vcc, v8, v3, vcc
	global_load_dword v3, v[2:3], off
	s_branch .LBB10_234
.LBB10_245:
	s_or_b64 exec, exec, s[4:5]
; %bb.246:
	s_cmp_lt_i32 s56, 1
	s_waitcnt lgkmcnt(0)
	s_cbranch_scc1 .LBB10_271
; %bb.247:
	v_or_b32_e32 v2, v14, v0
	v_cmp_ne_u32_e64 s[2:3], 0, v2
	s_movk_i32 s34, 0x44
	v_mov_b32_e32 v2, 0xcc0
	v_mad_u32_u24 v7, v0, s34, v2
	v_lshrrev_b32_e32 v2, 2, v1
	v_add_u32_e32 v3, 1, v2
	v_add_u32_e32 v2, -1, v2
	v_lshrrev_b32_e32 v9, 1, v2
	s_movk_i32 s4, 0x43
	v_add_u32_e32 v11, 1, v9
	v_cmp_lt_u32_e32 vcc, s4, v1
	v_lshlrev_b32_e32 v9, 2, v1
	s_brev_b32 s4, -4
	v_and_b32_e32 v9, -16, v9
	v_cmp_lt_u32_e64 s[4:5], s4, v1
	v_add_u32_e32 v1, v7, v6
	v_add_u32_e32 v9, v1, v9
	v_cmp_lt_u32_e64 s[6:7], v9, v1
	s_or_b64 s[4:5], s[6:7], s[4:5]
	v_and_b32_e32 v12, 0x7ffffffe, v3
	v_mul_u32_u24_e32 v4, 0x44, v0
	s_movk_i32 s35, 0x880
	s_xor_b64 s[10:11], s[4:5], -1
	v_lshl_add_u32 v9, v12, 2, v14
	v_and_b32_e32 v10, 7, v11
	v_cmp_lt_u32_e64 s[4:5], 13, v2
	v_mov_b32_e32 v2, 0x880
	s_mov_b32 s30, 0
	s_add_i32 s31, s20, s21
	v_add3_u32 v5, v4, v15, s35
	v_add_u32_e32 v8, v7, v15
	v_and_b32_e32 v11, -8, v11
	v_cmp_ne_u32_e64 s[6:7], 0, v10
	v_cmp_ne_u32_e64 s[8:9], v3, v12
	s_and_b64 s[12:13], vcc, s[10:11]
	v_mul_u32_u24_e32 v12, 0x44, v14
	v_mad_u32_u24 v13, v14, s34, v2
	s_mov_b32 s36, 0xf800000
	v_mov_b32_e32 v15, 0x260
	v_mov_b32_e32 v16, 0
	s_movk_i32 s37, 0x110
	v_mul_lo_u32 v17, v9, s34
	v_lshlrev_b32_e32 v18, 2, v9
	s_branch .LBB10_249
.LBB10_248:                             ;   in Loop: Header=BB10_249 Depth=1
	s_or_b64 exec, exec, s[10:11]
	s_add_i32 s30, s30, 1
	s_add_i32 s35, s35, 4
	s_cmp_eq_u32 s30, s56
	v_add_u32_e32 v13, 4, v13
	s_waitcnt lgkmcnt(0)
	s_cbranch_scc1 .LBB10_271
.LBB10_249:                             ; =>This Loop Header: Depth=1
                                        ;     Child Loop BB10_260 Depth 2
                                        ;     Child Loop BB10_264 Depth 2
	;; [unrolled: 1-line block ×3, first 2 shown]
	v_cmp_eq_u32_e32 vcc, s30, v0
	s_and_saveexec_b64 s[16:17], vcc
	s_cbranch_execz .LBB10_251
; %bb.250:                              ;   in Loop: Header=BB10_249 Depth=1
	ds_read_b32 v2, v5
	ds_read_b32 v3, v8
	s_waitcnt lgkmcnt(0)
	v_sub_f32_e32 v2, v2, v3
	v_cmp_gt_f32_e32 vcc, 0, v2
	v_cndmask_b32_e64 v2, v2, -v2, vcc
	v_mul_f32_e32 v3, 0x4f800000, v2
	v_cmp_gt_f32_e32 vcc, s36, v2
	v_cndmask_b32_e32 v2, v2, v3, vcc
	v_sqrt_f32_e32 v3, v2
	v_add_u32_e32 v19, -1, v3
	v_add_u32_e32 v20, 1, v3
	v_fma_f32 v21, -v19, v3, v2
	v_fma_f32 v22, -v20, v3, v2
	v_cmp_ge_f32_e64 s[10:11], 0, v21
	v_cndmask_b32_e64 v3, v3, v19, s[10:11]
	v_cmp_lt_f32_e64 s[10:11], 0, v22
	v_cndmask_b32_e64 v3, v3, v20, s[10:11]
	v_mul_f32_e32 v19, 0x37800000, v3
	v_cndmask_b32_e32 v3, v3, v19, vcc
	v_cmp_class_f32_e32 vcc, v2, v15
	v_cndmask_b32_e32 v2, v3, v2, vcc
	ds_write_b32 v5, v2
.LBB10_251:                             ;   in Loop: Header=BB10_249 Depth=1
	s_or_b64 exec, exec, s[16:17]
	s_lshl_b32 s10, s30, 2
	s_mul_i32 s11, s30, 0x44
	s_add_i32 s11, s11, s10
	v_mov_b32_e32 v2, s11
	s_waitcnt lgkmcnt(0)
	ds_read_b32 v19, v2 offset:2176
	v_mov_b32_e32 v2, s10
	v_mad_u32_u24 v2, v0, s34, v2
	ds_read_b32 v3, v2 offset:2176
	s_waitcnt lgkmcnt(1)
	v_cmp_neq_f32_e32 vcc, 0, v19
	s_or_b64 s[10:11], vcc, s[2:3]
	v_cndmask_b32_e32 v19, 1.0, v19, vcc
	s_xor_b64 s[16:17], s[10:11], -1
	s_and_saveexec_b64 s[10:11], s[16:17]
	s_cbranch_execz .LBB10_255
; %bb.252:                              ;   in Loop: Header=BB10_249 Depth=1
	v_mbcnt_lo_u32_b32 v19, exec_lo, 0
	v_mbcnt_hi_u32_b32 v19, exec_hi, v19
	v_cmp_eq_u32_e32 vcc, 0, v19
	s_and_saveexec_b64 s[16:17], vcc
	s_cbranch_execz .LBB10_254
; %bb.253:                              ;   in Loop: Header=BB10_249 Depth=1
	v_mov_b32_e32 v19, s31
	global_atomic_smin v16, v19, s[22:23]
.LBB10_254:                             ;   in Loop: Header=BB10_249 Depth=1
	s_or_b64 exec, exec, s[16:17]
	v_mov_b32_e32 v19, 1.0
.LBB10_255:                             ;   in Loop: Header=BB10_249 Depth=1
	s_or_b64 exec, exec, s[10:11]
	v_cmp_lt_u32_e32 vcc, s30, v0
	s_and_saveexec_b64 s[10:11], vcc
	s_cbranch_execz .LBB10_248
; %bb.256:                              ;   in Loop: Header=BB10_249 Depth=1
	v_lshl_add_u32 v20, s30, 2, v4
	ds_read_b32 v20, v20 offset:3264
	v_add_u32_e32 v22, 0x880, v2
	s_waitcnt lgkmcnt(0)
	v_sub_f32_e32 v3, v3, v20
	v_div_scale_f32 v20, s[16:17], v19, v19, v3
	v_rcp_f32_e32 v21, v20
	v_div_scale_f32 v2, vcc, v3, v19, v3
	v_fma_f32 v23, -v20, v21, 1.0
	v_fmac_f32_e32 v21, v23, v21
	v_mul_f32_e32 v23, v2, v21
	v_fma_f32 v24, -v20, v23, v2
	v_fmac_f32_e32 v23, v24, v21
	v_fma_f32 v2, -v20, v23, v2
	v_div_fmas_f32 v2, v2, v21, v23
	v_div_fixup_f32 v2, v2, v19, v3
	ds_write_b32 v22, v2
	s_waitcnt lgkmcnt(0)
	s_and_b64 exec, exec, s[0:1]
	s_cbranch_execz .LBB10_248
; %bb.257:                              ;   in Loop: Header=BB10_249 Depth=1
	s_mov_b64 s[24:25], -1
	v_mov_b32_e32 v3, v14
	v_mov_b32_e32 v19, v12
	v_mov_b32_e32 v20, v6
	s_and_saveexec_b64 s[16:17], s[12:13]
	s_cbranch_execz .LBB10_268
; %bb.258:                              ;   in Loop: Header=BB10_249 Depth=1
	v_mov_b32_e32 v3, v2
	v_mov_b32_e32 v22, 0
	s_and_saveexec_b64 s[24:25], s[4:5]
	s_cbranch_execz .LBB10_262
; %bb.259:                              ;   in Loop: Header=BB10_249 Depth=1
	s_mov_b32 s38, 0
	s_mov_b64 s[26:27], 0
	v_mov_b32_e32 v19, v11
	v_mov_b32_e32 v20, v1
	v_mov_b32_e32 v21, v13
.LBB10_260:                             ;   Parent Loop BB10_249 Depth=1
                                        ; =>  This Inner Loop Header: Depth=2
	ds_read2_b32 v[22:23], v21 offset1:68
	ds_read2_b32 v[24:25], v20 offset1:4
	ds_read2_b32 v[26:27], v20 offset0:8 offset1:12
	ds_read2_b32 v[28:29], v21 offset0:136 offset1:204
	v_add_u32_e32 v34, 0x800, v21
	v_add_u32_e32 v19, -8, v19
	s_waitcnt lgkmcnt(2)
	v_pk_fma_f32 v[22:23], v[2:3], v[22:23], v[24:25]
	s_add_i32 s38, s38, 16
	s_waitcnt lgkmcnt(0)
	v_pk_fma_f32 v[24:25], v[2:3], v[28:29], v[26:27]
	ds_write2_b32 v20, v22, v23 offset1:4
	ds_write2_b32 v20, v24, v25 offset0:8 offset1:12
	v_add_u32_e32 v26, 0x400, v21
	ds_read2_b32 v[22:23], v26 offset0:16 offset1:84
	ds_read2_b32 v[24:25], v20 offset0:16 offset1:20
	;; [unrolled: 1-line block ×6, first 2 shown]
	v_cmp_eq_u32_e32 vcc, 0, v19
	s_waitcnt lgkmcnt(4)
	v_pk_fma_f32 v[22:23], v[2:3], v[22:23], v[24:25]
	ds_write2_b32 v20, v22, v23 offset0:16 offset1:20
	s_waitcnt lgkmcnt(3)
	v_pk_fma_f32 v[22:23], v[2:3], v[26:27], v[28:29]
	ds_write2_b32 v20, v22, v23 offset0:24 offset1:28
	;; [unrolled: 3-line block ×3, first 2 shown]
	ds_read2_b32 v[22:23], v34 offset0:168 offset1:236
	ds_read2_b32 v[24:25], v20 offset0:40 offset1:44
	v_add_u32_e32 v30, 0xc00, v21
	ds_read2_b32 v[26:27], v30 offset0:48 offset1:116
	ds_read2_b32 v[28:29], v20 offset0:48 offset1:52
	;; [unrolled: 1-line block ×4, first 2 shown]
	v_add_u32_e32 v21, 0x1100, v21
	s_or_b64 s[26:27], vcc, s[26:27]
	s_waitcnt lgkmcnt(4)
	v_pk_fma_f32 v[22:23], v[2:3], v[22:23], v[24:25]
	ds_write2_b32 v20, v22, v23 offset0:40 offset1:44
	s_waitcnt lgkmcnt(3)
	v_pk_fma_f32 v[22:23], v[2:3], v[26:27], v[28:29]
	ds_write2_b32 v20, v22, v23 offset0:48 offset1:52
	;; [unrolled: 3-line block ×3, first 2 shown]
	v_add_u32_e32 v20, 0x100, v20
	v_mov_b32_e32 v22, s38
	s_andn2_b64 exec, exec, s[26:27]
	s_cbranch_execnz .LBB10_260
; %bb.261:                              ;   in Loop: Header=BB10_249 Depth=1
	s_or_b64 exec, exec, s[26:27]
.LBB10_262:                             ;   in Loop: Header=BB10_249 Depth=1
	s_or_b64 exec, exec, s[24:25]
	s_and_saveexec_b64 s[24:25], s[6:7]
	s_cbranch_execz .LBB10_265
; %bb.263:                              ;   in Loop: Header=BB10_249 Depth=1
	v_lshl_add_u32 v19, v22, 4, v1
	v_mul_lo_u32 v20, v22, s37
	s_mov_b64 s[26:27], 0
	v_mov_b32_e32 v21, v10
.LBB10_264:                             ;   Parent Loop BB10_249 Depth=1
                                        ; =>  This Inner Loop Header: Depth=2
	v_add_u32_e32 v24, v13, v20
	ds_read2_b32 v[22:23], v19 offset1:4
	ds_read2_b32 v[24:25], v24 offset1:68
	v_add_u32_e32 v21, -1, v21
	v_cmp_eq_u32_e32 vcc, 0, v21
	s_or_b64 s[26:27], vcc, s[26:27]
	v_add_u32_e32 v20, 0x220, v20
	s_waitcnt lgkmcnt(0)
	v_pk_fma_f32 v[22:23], v[2:3], v[24:25], v[22:23]
	ds_write2_b32 v19, v22, v23 offset1:4
	v_add_u32_e32 v19, 32, v19
	s_andn2_b64 exec, exec, s[26:27]
	s_cbranch_execnz .LBB10_264
.LBB10_265:                             ;   in Loop: Header=BB10_249 Depth=1
	s_or_b64 exec, exec, s[24:25]
	s_mov_b64 s[24:25], 0
	s_and_saveexec_b64 s[26:27], s[8:9]
; %bb.266:                              ;   in Loop: Header=BB10_249 Depth=1
	s_mov_b64 s[24:25], exec
; %bb.267:                              ;   in Loop: Header=BB10_249 Depth=1
	s_or_b64 exec, exec, s[26:27]
	s_orn2_b64 s[24:25], s[24:25], exec
	v_mov_b32_e32 v3, v9
	v_mov_b32_e32 v19, v17
	;; [unrolled: 1-line block ×3, first 2 shown]
.LBB10_268:                             ;   in Loop: Header=BB10_249 Depth=1
	s_or_b64 exec, exec, s[16:17]
	s_and_b64 exec, exec, s[24:25]
	s_cbranch_execz .LBB10_248
; %bb.269:                              ;   in Loop: Header=BB10_249 Depth=1
	v_add_u32_e32 v19, s35, v19
	v_add_u32_e32 v20, v7, v20
	s_mov_b64 s[16:17], 0
.LBB10_270:                             ;   Parent Loop BB10_249 Depth=1
                                        ; =>  This Inner Loop Header: Depth=2
	ds_read_b32 v21, v19
	ds_read_b32 v22, v20
	v_add_u32_e32 v3, 4, v3
	v_cmp_le_i32_e32 vcc, s56, v3
	v_add_u32_e32 v19, 0x110, v19
	s_or_b64 s[16:17], vcc, s[16:17]
	s_waitcnt lgkmcnt(0)
	v_fmac_f32_e32 v22, v2, v21
	ds_write_b32 v20, v22
	v_add_u32_e32 v20, 16, v20
	s_andn2_b64 exec, exec, s[16:17]
	s_cbranch_execnz .LBB10_270
	s_branch .LBB10_248
.LBB10_271:
	s_and_saveexec_b64 s[2:3], s[0:1]
	s_cbranch_execz .LBB10_280
; %bb.272:
	s_mul_i32 s33, s33, s56
	s_cmp_lg_u32 s58, 0
	v_add_u32_e32 v1, s33, v0
	v_mul_u32_u24_e32 v2, 0x44, v0
	s_movk_i32 s6, 0x880
	v_cmp_gt_i32_e64 s[0:1], s56, v0
	s_cselect_b64 s[4:5], -1, 0
	v_mul_lo_u32 v1, v1, s56
	v_add3_u32 v4, v2, v6, s6
	s_mov_b64 s[6:7], 0
	v_mov_b32_e32 v5, v14
	s_branch .LBB10_275
.LBB10_273:                             ;   in Loop: Header=BB10_275 Depth=1
	v_ashrrev_i32_e32 v3, 31, v2
	v_lshlrev_b64 v[2:3], 2, v[2:3]
	v_mov_b32_e32 v7, s29
	v_add_co_u32_e32 v2, vcc, s28, v2
	v_addc_co_u32_e32 v3, vcc, v7, v3, vcc
	s_waitcnt lgkmcnt(0)
	global_store_dword v[2:3], v6, off
.LBB10_274:                             ;   in Loop: Header=BB10_275 Depth=1
	s_or_b64 exec, exec, s[8:9]
	v_add_u32_e32 v5, 4, v5
	v_cmp_le_i32_e32 vcc, s56, v5
	s_or_b64 s[6:7], vcc, s[6:7]
	v_add_u32_e32 v4, 16, v4
	s_andn2_b64 exec, exec, s[6:7]
	s_cbranch_execz .LBB10_280
.LBB10_275:                             ; =>This Inner Loop Header: Depth=1
	s_and_saveexec_b64 s[8:9], s[0:1]
	s_cbranch_execz .LBB10_274
; %bb.276:                              ;   in Loop: Header=BB10_275 Depth=1
	ds_read_b32 v6, v4
	s_and_b64 vcc, exec, s[4:5]
	s_cbranch_vccz .LBB10_278
; %bb.277:                              ;   in Loop: Header=BB10_275 Depth=1
	v_add_u32_e32 v2, s33, v5
	v_mad_u64_u32 v[2:3], s[10:11], v2, s56, v[0:1]
	s_cbranch_execnz .LBB10_273
	s_branch .LBB10_279
.LBB10_278:                             ;   in Loop: Header=BB10_275 Depth=1
                                        ; implicit-def: $vgpr2
.LBB10_279:                             ;   in Loop: Header=BB10_275 Depth=1
	v_add_u32_e32 v2, v1, v5
	s_branch .LBB10_273
.LBB10_280:
	s_or_b64 exec, exec, s[2:3]
	v_or_b32_e32 v1, v14, v0
	v_cmp_eq_u32_e64 s[0:1], 0, v1
.LBB10_281:
	s_and_saveexec_b64 s[2:3], s[0:1]
	s_cbranch_execnz .LBB10_289
.LBB10_282:
	s_endpgm
.LBB10_283:
	s_mov_b64 s[0:1], 0
	s_cbranch_execz .LBB10_281
; %bb.284:
	v_or_b32_e32 v0, v14, v0
	v_cmp_eq_u32_e32 vcc, 0, v0
	s_and_saveexec_b64 s[2:3], vcc
	s_cbranch_execz .LBB10_288
; %bb.285:
	v_mbcnt_lo_u32_b32 v0, exec_lo, 0
	v_mbcnt_hi_u32_b32 v0, exec_hi, v0
	v_cmp_eq_u32_e32 vcc, 0, v0
	s_and_saveexec_b64 s[4:5], vcc
	s_cbranch_execz .LBB10_287
; %bb.286:
	s_add_i32 s6, s20, s21
	v_mov_b32_e32 v0, 0
	v_mov_b32_e32 v1, s6
	global_atomic_smin v0, v1, s[22:23]
.LBB10_287:
	s_or_b64 exec, exec, s[4:5]
	s_or_b64 s[0:1], s[0:1], exec
.LBB10_288:
	s_or_b64 exec, exec, s[2:3]
	s_and_saveexec_b64 s[2:3], s[0:1]
	s_cbranch_execz .LBB10_282
.LBB10_289:
	s_add_u32 s0, s18, s14
	s_addc_u32 s1, s19, s15
	v_mov_b32_e32 v0, 0
	v_mov_b32_e32 v1, 1
	s_waitcnt vmcnt(0)
	global_store_dword v0, v1, s[0:1]
	s_endpgm
	.section	.rodata,"a",@progbits
	.p2align	6, 0x0
	.amdhsa_kernel _ZN9rocsparseL18bsric0_9_16_kernelILi64ELi32ELi16EfEEv20rocsparse_direction_iiPKiS3_PT2_S3_PiS3_S6_21rocsparse_index_base_
		.amdhsa_group_segment_fixed_size 4736
		.amdhsa_private_segment_fixed_size 0
		.amdhsa_kernarg_size 76
		.amdhsa_user_sgpr_count 6
		.amdhsa_user_sgpr_private_segment_buffer 1
		.amdhsa_user_sgpr_dispatch_ptr 0
		.amdhsa_user_sgpr_queue_ptr 0
		.amdhsa_user_sgpr_kernarg_segment_ptr 1
		.amdhsa_user_sgpr_dispatch_id 0
		.amdhsa_user_sgpr_flat_scratch_init 0
		.amdhsa_user_sgpr_kernarg_preload_length 0
		.amdhsa_user_sgpr_kernarg_preload_offset 0
		.amdhsa_user_sgpr_private_segment_size 0
		.amdhsa_uses_dynamic_stack 0
		.amdhsa_system_sgpr_private_segment_wavefront_offset 0
		.amdhsa_system_sgpr_workgroup_id_x 1
		.amdhsa_system_sgpr_workgroup_id_y 0
		.amdhsa_system_sgpr_workgroup_id_z 0
		.amdhsa_system_sgpr_workgroup_info 0
		.amdhsa_system_vgpr_workitem_id 1
		.amdhsa_next_free_vgpr 72
		.amdhsa_next_free_sgpr 66
		.amdhsa_accum_offset 72
		.amdhsa_reserve_vcc 1
		.amdhsa_reserve_flat_scratch 0
		.amdhsa_float_round_mode_32 0
		.amdhsa_float_round_mode_16_64 0
		.amdhsa_float_denorm_mode_32 3
		.amdhsa_float_denorm_mode_16_64 3
		.amdhsa_dx10_clamp 1
		.amdhsa_ieee_mode 1
		.amdhsa_fp16_overflow 0
		.amdhsa_tg_split 0
		.amdhsa_exception_fp_ieee_invalid_op 0
		.amdhsa_exception_fp_denorm_src 0
		.amdhsa_exception_fp_ieee_div_zero 0
		.amdhsa_exception_fp_ieee_overflow 0
		.amdhsa_exception_fp_ieee_underflow 0
		.amdhsa_exception_fp_ieee_inexact 0
		.amdhsa_exception_int_div_zero 0
	.end_amdhsa_kernel
	.section	.text._ZN9rocsparseL18bsric0_9_16_kernelILi64ELi32ELi16EfEEv20rocsparse_direction_iiPKiS3_PT2_S3_PiS3_S6_21rocsparse_index_base_,"axG",@progbits,_ZN9rocsparseL18bsric0_9_16_kernelILi64ELi32ELi16EfEEv20rocsparse_direction_iiPKiS3_PT2_S3_PiS3_S6_21rocsparse_index_base_,comdat
.Lfunc_end10:
	.size	_ZN9rocsparseL18bsric0_9_16_kernelILi64ELi32ELi16EfEEv20rocsparse_direction_iiPKiS3_PT2_S3_PiS3_S6_21rocsparse_index_base_, .Lfunc_end10-_ZN9rocsparseL18bsric0_9_16_kernelILi64ELi32ELi16EfEEv20rocsparse_direction_iiPKiS3_PT2_S3_PiS3_S6_21rocsparse_index_base_
                                        ; -- End function
	.section	.AMDGPU.csdata,"",@progbits
; Kernel info:
; codeLenInByte = 8492
; NumSgprs: 70
; NumVgprs: 72
; NumAgprs: 0
; TotalNumVgprs: 72
; ScratchSize: 0
; MemoryBound: 0
; FloatMode: 240
; IeeeMode: 1
; LDSByteSize: 4736 bytes/workgroup (compile time only)
; SGPRBlocks: 8
; VGPRBlocks: 8
; NumSGPRsForWavesPerEU: 70
; NumVGPRsForWavesPerEU: 72
; AccumOffset: 72
; Occupancy: 4
; WaveLimiterHint : 1
; COMPUTE_PGM_RSRC2:SCRATCH_EN: 0
; COMPUTE_PGM_RSRC2:USER_SGPR: 6
; COMPUTE_PGM_RSRC2:TRAP_HANDLER: 0
; COMPUTE_PGM_RSRC2:TGID_X_EN: 1
; COMPUTE_PGM_RSRC2:TGID_Y_EN: 0
; COMPUTE_PGM_RSRC2:TGID_Z_EN: 0
; COMPUTE_PGM_RSRC2:TIDIG_COMP_CNT: 1
; COMPUTE_PGM_RSRC3_GFX90A:ACCUM_OFFSET: 17
; COMPUTE_PGM_RSRC3_GFX90A:TG_SPLIT: 0
	.section	.text._ZN9rocsparseL19bsric0_17_32_kernelILi64ELi32ELi32EfEEv20rocsparse_direction_iiPKiS3_PT2_S3_PiS3_S6_21rocsparse_index_base_,"axG",@progbits,_ZN9rocsparseL19bsric0_17_32_kernelILi64ELi32ELi32EfEEv20rocsparse_direction_iiPKiS3_PT2_S3_PiS3_S6_21rocsparse_index_base_,comdat
	.globl	_ZN9rocsparseL19bsric0_17_32_kernelILi64ELi32ELi32EfEEv20rocsparse_direction_iiPKiS3_PT2_S3_PiS3_S6_21rocsparse_index_base_ ; -- Begin function _ZN9rocsparseL19bsric0_17_32_kernelILi64ELi32ELi32EfEEv20rocsparse_direction_iiPKiS3_PT2_S3_PiS3_S6_21rocsparse_index_base_
	.p2align	8
	.type	_ZN9rocsparseL19bsric0_17_32_kernelILi64ELi32ELi32EfEEv20rocsparse_direction_iiPKiS3_PT2_S3_PiS3_S6_21rocsparse_index_base_,@function
_ZN9rocsparseL19bsric0_17_32_kernelILi64ELi32ELi32EfEEv20rocsparse_direction_iiPKiS3_PT2_S3_PiS3_S6_21rocsparse_index_base_: ; @_ZN9rocsparseL19bsric0_17_32_kernelILi64ELi32ELi32EfEEv20rocsparse_direction_iiPKiS3_PT2_S3_PiS3_S6_21rocsparse_index_base_
; %bb.0:
	s_load_dwordx8 s[16:23], s[4:5], 0x28
	s_mov_b32 s7, 0
	s_lshl_b64 s[0:1], s[6:7], 2
	v_and_b32_e32 v1, 0x3ff, v0
	v_bfe_u32 v0, v0, 10, 10
	s_waitcnt lgkmcnt(0)
	s_add_u32 s0, s20, s0
	s_addc_u32 s1, s21, s1
	s_load_dword s20, s[0:1], 0x0
	s_waitcnt lgkmcnt(0)
	s_ashr_i32 s21, s20, 31
	s_lshl_b64 s[14:15], s[20:21], 2
	s_add_u32 s0, s16, s14
	s_addc_u32 s1, s17, s15
	s_load_dword s33, s[0:1], 0x0
	s_load_dword s21, s[4:5], 0x48
	s_waitcnt lgkmcnt(0)
	s_cmp_lg_u32 s33, -1
	s_cbranch_scc0 .LBB11_223
; %bb.1:
	s_load_dwordx4 s[24:27], s[4:5], 0x10
	v_lshlrev_b32_e32 v3, 1, v0
	v_add_u32_e32 v4, v3, v1
	s_waitcnt lgkmcnt(0)
	s_add_u32 s0, s24, s14
	s_addc_u32 s1, s25, s15
	s_load_dword s28, s[0:1], 0x0
	s_waitcnt lgkmcnt(0)
	s_sub_i32 s59, s28, s21
	v_add_u32_e32 v2, s59, v4
	v_cmp_ge_i32_e32 vcc, s33, v2
	s_and_saveexec_b64 s[2:3], vcc
	s_cbranch_execz .LBB11_16
; %bb.2:
	v_add_u32_e32 v4, s28, v4
	v_subrev_u32_e32 v4, s21, v4
	v_add_u32_e32 v4, 64, v4
	s_add_i32 s0, s33, 1
	v_max_i32_e32 v4, s0, v4
	v_not_b32_e32 v5, v1
	v_add3_u32 v4, v4, s21, v5
	v_add_u32_e32 v3, s28, v3
	v_sub_u32_e32 v3, v4, v3
	s_movk_i32 s0, 0x640
	v_cmp_gt_u32_e32 vcc, s0, v3
	s_movk_i32 s0, 0x63f
	v_cmp_lt_u32_e64 s[0:1], s0, v3
	s_and_saveexec_b64 s[6:7], s[0:1]
	s_cbranch_execz .LBB11_13
; %bb.3:
	v_and_b32_e32 v4, 0xffffffc0, v3
	v_add_u32_e32 v4, v2, v4
	v_cmp_ge_i32_e64 s[0:1], v4, v2
	s_mov_b64 s[10:11], -1
	s_and_saveexec_b64 s[8:9], s[0:1]
	s_cbranch_execz .LBB11_12
; %bb.4:
	v_lshrrev_b32_e32 v14, 6, v3
	v_add_u32_e32 v4, -1, v14
	v_add_u32_e32 v3, 64, v2
	v_lshrrev_b32_e32 v5, 1, v4
	v_add_u32_e32 v15, 1, v5
	v_cmp_lt_u32_e64 s[0:1], 13, v4
	v_pk_mov_b32 v[4:5], v[2:3], v[2:3] op_sel:[0,1]
	s_and_saveexec_b64 s[10:11], s[0:1]
	s_cbranch_execz .LBB11_8
; %bb.5:
	v_and_b32_e32 v16, -8, v15
	s_mov_b64 s[12:13], 0
	v_mov_b32_e32 v17, s27
	v_pk_mov_b32 v[4:5], v[2:3], v[2:3] op_sel:[0,1]
.LBB11_6:                               ; =>This Inner Loop Header: Depth=1
	v_ashrrev_i32_e32 v21, 31, v4
	v_mov_b32_e32 v20, v4
	v_lshlrev_b64 v[20:21], 2, v[20:21]
	v_ashrrev_i32_e32 v19, 31, v5
	v_mov_b32_e32 v18, v5
	v_add_co_u32_e64 v20, s[0:1], s26, v20
	v_add_u32_e32 v6, 0x80, v4
	v_lshlrev_b64 v[18:19], 2, v[18:19]
	v_addc_co_u32_e64 v21, s[0:1], v17, v21, s[0:1]
	v_ashrrev_i32_e32 v7, 31, v6
	v_add_co_u32_e64 v18, s[0:1], s26, v18
	v_add_u32_e32 v8, 0x80, v5
	v_addc_co_u32_e64 v19, s[0:1], v17, v19, s[0:1]
	v_lshlrev_b64 v[42:43], 2, v[6:7]
	v_ashrrev_i32_e32 v9, 31, v8
	global_load_dword v3, v[20:21], off
	global_load_dword v7, v[18:19], off
	v_add_co_u32_e64 v18, s[0:1], s26, v42
	v_add_u32_e32 v10, 0x100, v4
	v_lshlrev_b64 v[44:45], 2, v[8:9]
	v_addc_co_u32_e64 v19, s[0:1], v17, v43, s[0:1]
	v_ashrrev_i32_e32 v11, 31, v10
	v_add_co_u32_e64 v20, s[0:1], s26, v44
	v_add_u32_e32 v12, 0x100, v5
	v_lshlrev_b64 v[46:47], 2, v[10:11]
	v_addc_co_u32_e64 v21, s[0:1], v17, v45, s[0:1]
	v_ashrrev_i32_e32 v13, 31, v12
	;; [unrolled: 5-line block ×12, first 2 shown]
	v_add_co_u32_e64 v62, s[0:1], s26, v66
	v_lshlrev_b64 v[68:69], 2, v[40:41]
	v_addc_co_u32_e64 v63, s[0:1], v17, v67, s[0:1]
	v_add_co_u32_e64 v64, s[0:1], s26, v68
	v_addc_co_u32_e64 v65, s[0:1], v17, v69, s[0:1]
	global_load_dword v9, v[20:21], off
	global_load_dword v11, v[18:19], off
	;; [unrolled: 1-line block ×14, first 2 shown]
	v_subrev_u32_e32 v19, s59, v4
	v_add_u32_e32 v16, -8, v16
	v_subrev_u32_e32 v18, s59, v5
	v_lshlrev_b32_e32 v19, 2, v19
	v_subrev_u32_e32 v6, s59, v6
	v_cmp_eq_u32_e64 s[0:1], 0, v16
	s_waitcnt vmcnt(14)
	v_subrev_u32_e32 v7, s21, v7
	v_subrev_u32_e32 v3, s21, v3
	v_add_u32_e32 v5, 0x400, v5
	v_add_u32_e32 v4, 0x400, v4
	v_lshlrev_b32_e32 v18, 2, v18
	v_subrev_u32_e32 v8, s59, v8
	v_subrev_u32_e32 v12, s59, v12
	;; [unrolled: 1-line block ×13, first 2 shown]
	v_lshlrev_b32_e32 v6, 2, v6
	s_or_b64 s[12:13], s[0:1], s[12:13]
	ds_write_b32 v19, v3 offset:12928
	ds_write_b32 v18, v7 offset:12928
	v_lshlrev_b32_e32 v8, 2, v8
	v_lshlrev_b32_e32 v10, 2, v10
	;; [unrolled: 1-line block ×13, first 2 shown]
	s_waitcnt vmcnt(13)
	v_subrev_u32_e32 v3, s21, v9
	s_waitcnt vmcnt(12)
	v_subrev_u32_e32 v7, s21, v11
	;; [unrolled: 2-line block ×14, first 2 shown]
	ds_write_b32 v6, v7 offset:12928
	ds_write_b32 v8, v3 offset:12928
	;; [unrolled: 1-line block ×14, first 2 shown]
	s_andn2_b64 exec, exec, s[12:13]
	s_cbranch_execnz .LBB11_6
; %bb.7:
	s_or_b64 exec, exec, s[12:13]
.LBB11_8:
	s_or_b64 exec, exec, s[10:11]
	v_and_b32_e32 v3, 7, v15
	v_cmp_ne_u32_e64 s[0:1], 0, v3
	s_and_saveexec_b64 s[10:11], s[0:1]
	s_cbranch_execz .LBB11_11
; %bb.9:
	s_mov_b64 s[12:13], 0
	v_mov_b32_e32 v6, s27
.LBB11_10:                              ; =>This Inner Loop Header: Depth=1
	v_ashrrev_i32_e32 v11, 31, v4
	v_mov_b32_e32 v10, v4
	v_lshlrev_b64 v[10:11], 2, v[10:11]
	v_ashrrev_i32_e32 v9, 31, v5
	v_mov_b32_e32 v8, v5
	v_add_co_u32_e64 v10, s[0:1], s26, v10
	v_lshlrev_b64 v[8:9], 2, v[8:9]
	v_addc_co_u32_e64 v11, s[0:1], v6, v11, s[0:1]
	v_add_co_u32_e64 v8, s[0:1], s26, v8
	v_addc_co_u32_e64 v9, s[0:1], v6, v9, s[0:1]
	global_load_dword v7, v[8:9], off
	global_load_dword v12, v[10:11], off
	v_add_u32_e32 v3, -1, v3
	v_subrev_u32_e32 v9, s59, v4
	v_cmp_eq_u32_e64 s[0:1], 0, v3
	v_subrev_u32_e32 v8, s59, v5
	v_add_u32_e32 v5, 0x80, v5
	v_add_u32_e32 v4, 0x80, v4
	v_lshlrev_b32_e32 v9, 2, v9
	s_or_b64 s[12:13], s[0:1], s[12:13]
	v_lshlrev_b32_e32 v8, 2, v8
	s_waitcnt vmcnt(1)
	v_subrev_u32_e32 v7, s21, v7
	s_waitcnt vmcnt(0)
	v_subrev_u32_e32 v10, s21, v12
	ds_write_b32 v9, v10 offset:12928
	ds_write_b32 v8, v7 offset:12928
	s_andn2_b64 exec, exec, s[12:13]
	s_cbranch_execnz .LBB11_10
.LBB11_11:
	s_or_b64 exec, exec, s[10:11]
	v_add_u32_e32 v3, 1, v14
	v_and_b32_e32 v4, 0x7fffffe, v3
	v_cmp_ne_u32_e64 s[0:1], v3, v4
	v_lshl_add_u32 v2, v4, 6, v2
	s_orn2_b64 s[10:11], s[0:1], exec
.LBB11_12:
	s_or_b64 exec, exec, s[8:9]
	s_andn2_b64 s[0:1], vcc, exec
	s_and_b64 s[8:9], s[10:11], exec
	s_or_b64 vcc, s[0:1], s[8:9]
.LBB11_13:
	s_or_b64 exec, exec, s[6:7]
	s_and_b64 exec, exec, vcc
	s_cbranch_execz .LBB11_16
; %bb.14:
	v_add_u32_e32 v3, s21, v2
	v_subrev_u32_e32 v3, s28, v3
	v_mov_b32_e32 v4, 0x3280
	v_lshl_add_u32 v4, v3, 2, v4
	s_mov_b64 s[0:1], 0
	v_mov_b32_e32 v5, s27
.LBB11_15:                              ; =>This Inner Loop Header: Depth=1
	v_ashrrev_i32_e32 v3, 31, v2
	v_lshlrev_b64 v[6:7], 2, v[2:3]
	v_add_co_u32_e32 v6, vcc, s26, v6
	v_addc_co_u32_e32 v7, vcc, v5, v7, vcc
	global_load_dword v3, v[6:7], off
	v_add_u32_e32 v2, 64, v2
	v_cmp_lt_i32_e32 vcc, s33, v2
	s_or_b64 s[0:1], vcc, s[0:1]
	s_waitcnt vmcnt(0)
	v_subrev_u32_e32 v3, s21, v3
	ds_write_b32 v4, v3
	v_add_u32_e32 v4, 0x100, v4
	s_andn2_b64 exec, exec, s[0:1]
	s_cbranch_execnz .LBB11_15
.LBB11_16:
	s_or_b64 exec, exec, s[2:3]
	s_load_dwordx2 s[28:29], s[4:5], 0x20
	v_cmp_gt_u32_e32 vcc, 32, v1
	v_lshlrev_b32_e32 v6, 2, v1
	s_and_saveexec_b64 s[0:1], vcc
	s_cbranch_execz .LBB11_19
; %bb.17:
	v_mul_u32_u24_e32 v3, 0x84, v0
	v_lshlrev_b32_e32 v4, 2, v1
	s_movk_i32 s2, 0x2100
	v_add_u32_e32 v2, -2, v1
	v_add3_u32 v3, v3, v4, s2
	s_mov_b64 s[2:3], 0
	v_mov_b32_e32 v4, 0
.LBB11_18:                              ; =>This Inner Loop Header: Depth=1
	v_add_u32_e32 v2, 2, v2
	v_cmp_lt_u32_e32 vcc, 29, v2
	ds_write_b32 v3, v4
	s_or_b64 s[2:3], vcc, s[2:3]
	v_add_u32_e32 v3, 8, v3
	s_andn2_b64 exec, exec, s[2:3]
	s_cbranch_execnz .LBB11_18
.LBB11_19:
	s_or_b64 exec, exec, s[0:1]
	s_load_dword s58, s[4:5], 0x8
	s_load_dword s60, s[4:5], 0x0
	s_cmp_ge_i32 s59, s33
	s_waitcnt lgkmcnt(0)
	v_cmp_gt_i32_e64 s[0:1], s58, v1
	v_xad_u32 v7, v1, -1, s58
	s_cbranch_scc1 .LBB11_172
; %bb.20:
	v_or_b32_e32 v2, v1, v0
	v_cmp_ne_u32_e64 s[4:5], 0, v2
	s_movk_i32 s62, 0x84
	v_mov_b32_e32 v2, 0x2100
	v_lshlrev_b32_e32 v9, 2, v1
	v_mad_u32_u24 v10, v0, s62, v2
	v_lshlrev_b32_e32 v5, 2, v7
	s_cmp_eq_u32 s60, 0
	v_add_u32_e32 v2, v10, v9
	v_and_b32_e32 v5, -8, v5
	s_cselect_b64 s[30:31], -1, 0
	s_cmp_lg_u32 s60, 0
	s_brev_b32 s10, -4
	v_add_u32_e32 v5, v2, v5
	s_cselect_b64 s[34:35], -1, 0
	s_cmp_gt_i32 s58, 0
	v_cmp_lt_u32_e64 s[10:11], s10, v7
	v_cmp_lt_u32_e64 s[12:13], v5, v2
	s_cselect_b64 s[36:37], -1, 0
	s_or_b64 s[10:11], s[12:13], s[10:11]
	v_cmp_lt_u32_e32 vcc, 33, v7
	s_xor_b64 s[12:13], s[10:11], -1
	v_lshrrev_b32_e32 v3, 1, v7
	s_and_b64 s[38:39], vcc, s[12:13]
	s_mul_i32 s12, s58, s59
	v_add_u32_e32 v3, 1, v3
	v_add_u32_e32 v2, s12, v0
	v_and_b32_e32 v11, -2, v3
	v_mul_lo_u32 v17, s58, v2
	v_mov_b32_e32 v2, 0x1080
	v_and_b32_e32 v4, 3, v3
	v_lshl_add_u32 v12, v11, 1, v1
	v_mad_u32_u24 v14, v0, s62, v9
	v_mad_u32_u24 v18, v0, s62, v2
	;; [unrolled: 1-line block ×3, first 2 shown]
	v_cndmask_b32_e64 v2, 0, 1, s[34:35]
	s_mul_i32 s61, s58, s58
	v_cmp_gt_i32_e64 s[2:3], s58, v0
	v_mul_lo_u32 v8, v0, s58
	v_cmp_ne_u32_e64 s[6:7], 0, v4
	v_cmp_lt_u32_e64 s[8:9], 5, v7
	v_cmp_ne_u32_e64 s[10:11], v3, v11
	v_mul_u32_u24_e32 v13, 0x84, v0
	v_lshlrev_b32_e32 v15, 2, v4
	v_mul_lo_u32 v16, v1, s58
	s_lshl_b32 s63, s58, 1
	v_mul_u32_u24_e32 v19, 0x84, v1
	v_add_u32_e32 v21, 0x2100, v14
	v_add_u32_e32 v22, 0x1080, v14
	v_cmp_ne_u32_e64 s[12:13], 1, v2
	v_mov_b32_e32 v23, 0
	v_mul_lo_u32 v24, v12, s62
	v_lshlrev_b32_e32 v25, 2, v12
	s_mov_b32 s40, s59
	s_branch .LBB11_22
.LBB11_21:                              ;   in Loop: Header=BB11_22 Depth=1
	s_or_b64 exec, exec, s[42:43]
	s_add_i32 s40, s40, 1
	s_cmp_ge_i32 s40, s33
	s_waitcnt vmcnt(0)
	buffer_wbinvl1_vol
	v_add_u32_e32 v17, s61, v17
	s_cselect_b64 s[42:43], -1, 0
	s_and_b64 vcc, exec, s[42:43]
	s_cbranch_vccnz .LBB11_172
.LBB11_22:                              ; =>This Loop Header: Depth=1
                                        ;     Child Loop BB11_27 Depth 2
                                        ;     Child Loop BB11_42 Depth 2
	;; [unrolled: 1-line block ×5, first 2 shown]
                                        ;       Child Loop BB11_102 Depth 3
                                        ;     Child Loop BB11_115 Depth 2
                                        ;       Child Loop BB11_122 Depth 3
                                        ;       Child Loop BB11_127 Depth 3
	;; [unrolled: 1-line block ×3, first 2 shown]
                                        ;     Child Loop BB11_139 Depth 2
                                        ;     Child Loop BB11_149 Depth 2
	s_ashr_i32 s41, s40, 31
	s_lshl_b64 s[42:43], s[40:41], 2
	s_add_u32 s42, s26, s42
	s_addc_u32 s43, s27, s43
	s_load_dword s64, s[42:43], 0x0
	s_waitcnt lgkmcnt(0)
	s_sub_i32 s44, s64, s21
	s_ashr_i32 s45, s44, 31
	s_lshl_b64 s[42:43], s[44:45], 2
	s_add_u32 s46, s16, s42
	s_addc_u32 s47, s17, s43
	s_load_dword s65, s[46:47], 0x0
	s_waitcnt lgkmcnt(0)
	s_cmp_eq_u32 s65, -1
	s_cbranch_scc1 .LBB11_37
; %bb.23:                               ;   in Loop: Header=BB11_22 Depth=1
	s_add_u32 s46, s24, s42
	s_addc_u32 s47, s25, s43
	s_load_dword s45, s[46:47], 0x0
	s_mul_i32 s41, s40, s58
	s_and_saveexec_b64 s[46:47], s[0:1]
	s_cbranch_execz .LBB11_82
; %bb.24:                               ;   in Loop: Header=BB11_22 Depth=1
	v_mov_b32_e32 v4, v1
	s_and_saveexec_b64 s[48:49], s[6:7]
	s_cbranch_execz .LBB11_39
; %bb.25:                               ;   in Loop: Header=BB11_22 Depth=1
	s_mov_b64 s[50:51], 0
	v_mov_b32_e32 v5, v15
	v_mov_b32_e32 v26, v14
	;; [unrolled: 1-line block ×3, first 2 shown]
	s_branch .LBB11_27
.LBB11_26:                              ;   in Loop: Header=BB11_27 Depth=2
	s_or_b64 exec, exec, s[54:55]
	v_add_u32_e32 v5, -4, v5
	v_cmp_eq_u32_e32 vcc, 0, v5
	s_waitcnt vmcnt(0)
	ds_write_b32 v26, v3 offset:4224
	ds_write_b32 v26, v23
	v_add_u32_e32 v4, 2, v4
	s_or_b64 s[50:51], vcc, s[50:51]
	v_add_u32_e32 v26, 8, v26
	s_andn2_b64 exec, exec, s[50:51]
	s_cbranch_execz .LBB11_38
.LBB11_27:                              ;   Parent Loop BB11_22 Depth=1
                                        ; =>  This Inner Loop Header: Depth=2
	s_and_b64 vcc, exec, s[12:13]
	s_cbranch_vccnz .LBB11_31
; %bb.28:                               ;   in Loop: Header=BB11_27 Depth=2
	s_mov_b64 s[54:55], 0
	s_mov_b64 s[52:53], 0
                                        ; implicit-def: $vgpr2
	s_and_saveexec_b64 s[56:57], s[2:3]
; %bb.29:                               ;   in Loop: Header=BB11_27 Depth=2
	v_add_u32_e32 v2, s41, v4
	s_mov_b64 s[52:53], exec
	v_mad_u64_u32 v[2:3], s[66:67], v2, s58, v[0:1]
; %bb.30:                               ;   in Loop: Header=BB11_27 Depth=2
	s_or_b64 exec, exec, s[56:57]
	s_mov_b32 s56, 0
	s_and_b64 vcc, exec, s[54:55]
	s_cbranch_vccnz .LBB11_32
	s_branch .LBB11_35
.LBB11_31:                              ;   in Loop: Header=BB11_27 Depth=2
	s_mov_b64 s[52:53], 0
                                        ; implicit-def: $vgpr2
                                        ; implicit-def: $sgpr56
	s_cbranch_execz .LBB11_35
.LBB11_32:                              ;   in Loop: Header=BB11_27 Depth=2
                                        ; implicit-def: $vgpr2
	s_and_saveexec_b64 s[54:55], s[2:3]
; %bb.33:                               ;   in Loop: Header=BB11_27 Depth=2
	v_add_u32_e32 v2, v17, v4
	s_or_b64 s[52:53], s[52:53], exec
; %bb.34:                               ;   in Loop: Header=BB11_27 Depth=2
	s_or_b64 exec, exec, s[54:55]
	s_mov_b32 s56, 0
.LBB11_35:                              ;   in Loop: Header=BB11_27 Depth=2
	v_mov_b32_e32 v3, s56
	s_and_saveexec_b64 s[54:55], s[52:53]
	s_cbranch_execz .LBB11_26
; %bb.36:                               ;   in Loop: Header=BB11_27 Depth=2
	v_ashrrev_i32_e32 v3, 31, v2
	v_lshlrev_b64 v[2:3], 2, v[2:3]
	v_mov_b32_e32 v27, s29
	v_add_co_u32_e32 v2, vcc, s28, v2
	v_addc_co_u32_e32 v3, vcc, v27, v3, vcc
	global_load_dword v3, v[2:3], off
	s_branch .LBB11_26
.LBB11_37:                              ;   in Loop: Header=BB11_22 Depth=1
                                        ; implicit-def: $sgpr40
                                        ; implicit-def: $vgpr17
	s_cbranch_execz .LBB11_22
	s_branch .LBB11_172
.LBB11_38:                              ;   in Loop: Header=BB11_22 Depth=1
	s_or_b64 exec, exec, s[50:51]
.LBB11_39:                              ;   in Loop: Header=BB11_22 Depth=1
	s_or_b64 exec, exec, s[48:49]
	s_and_b64 exec, exec, s[8:9]
	s_cbranch_execz .LBB11_82
; %bb.40:                               ;   in Loop: Header=BB11_22 Depth=1
	v_lshl_add_u32 v5, v4, 2, v13
	s_mov_b64 s[48:49], 0
	s_branch .LBB11_42
.LBB11_41:                              ;   in Loop: Header=BB11_42 Depth=2
	s_or_b64 exec, exec, s[52:53]
	v_add_u32_e32 v4, 8, v4
	v_cmp_le_i32_e32 vcc, s58, v4
	s_waitcnt vmcnt(0)
	ds_write_b32 v5, v3 offset:4248
	ds_write_b32 v5, v23 offset:24
	s_or_b64 s[48:49], vcc, s[48:49]
	v_add_u32_e32 v5, 32, v5
	s_andn2_b64 exec, exec, s[48:49]
	s_cbranch_execz .LBB11_82
.LBB11_42:                              ;   Parent Loop BB11_22 Depth=1
                                        ; =>  This Inner Loop Header: Depth=2
	s_and_b64 vcc, exec, s[34:35]
	s_cbranch_vccz .LBB11_46
; %bb.43:                               ;   in Loop: Header=BB11_42 Depth=2
	s_mov_b64 s[52:53], 0
	s_mov_b64 s[50:51], 0
                                        ; implicit-def: $vgpr2
	s_and_saveexec_b64 s[54:55], s[2:3]
	s_xor_b64 s[54:55], exec, s[54:55]
; %bb.44:                               ;   in Loop: Header=BB11_42 Depth=2
	v_add_u32_e32 v2, s41, v4
	s_mov_b64 s[50:51], exec
	v_mad_u64_u32 v[2:3], s[56:57], v2, s58, v[0:1]
; %bb.45:                               ;   in Loop: Header=BB11_42 Depth=2
	s_or_b64 exec, exec, s[54:55]
	s_mov_b32 s54, 0
	s_and_b64 vcc, exec, s[52:53]
	s_cbranch_vccnz .LBB11_47
	s_branch .LBB11_50
.LBB11_46:                              ;   in Loop: Header=BB11_42 Depth=2
	s_mov_b64 s[50:51], 0
                                        ; implicit-def: $vgpr2
                                        ; implicit-def: $sgpr54
	s_cbranch_execz .LBB11_50
.LBB11_47:                              ;   in Loop: Header=BB11_42 Depth=2
                                        ; implicit-def: $vgpr2
	s_and_saveexec_b64 s[52:53], s[2:3]
; %bb.48:                               ;   in Loop: Header=BB11_42 Depth=2
	v_add_u32_e32 v2, v17, v4
	s_or_b64 s[50:51], s[50:51], exec
; %bb.49:                               ;   in Loop: Header=BB11_42 Depth=2
	s_or_b64 exec, exec, s[52:53]
	s_mov_b32 s54, 0
.LBB11_50:                              ;   in Loop: Header=BB11_42 Depth=2
	v_mov_b32_e32 v3, s54
	s_and_saveexec_b64 s[52:53], s[50:51]
	s_cbranch_execz .LBB11_52
; %bb.51:                               ;   in Loop: Header=BB11_42 Depth=2
	v_ashrrev_i32_e32 v3, 31, v2
	v_lshlrev_b64 v[2:3], 2, v[2:3]
	v_mov_b32_e32 v26, s29
	v_add_co_u32_e32 v2, vcc, s28, v2
	v_addc_co_u32_e32 v3, vcc, v26, v3, vcc
	global_load_dword v3, v[2:3], off
.LBB11_52:                              ;   in Loop: Header=BB11_42 Depth=2
	s_or_b64 exec, exec, s[52:53]
	s_and_b64 vcc, exec, s[12:13]
	s_waitcnt vmcnt(0)
	ds_write_b32 v5, v3 offset:4224
	ds_write_b32 v5, v23
	s_cbranch_vccnz .LBB11_56
; %bb.53:                               ;   in Loop: Header=BB11_42 Depth=2
	s_mov_b64 s[52:53], 0
	s_mov_b64 s[50:51], 0
                                        ; implicit-def: $vgpr2
	s_and_saveexec_b64 s[54:55], s[2:3]
; %bb.54:                               ;   in Loop: Header=BB11_42 Depth=2
	v_add3_u32 v2, v4, s41, 2
	s_mov_b64 s[50:51], exec
	v_mad_u64_u32 v[2:3], s[56:57], v2, s58, v[0:1]
; %bb.55:                               ;   in Loop: Header=BB11_42 Depth=2
	s_or_b64 exec, exec, s[54:55]
	s_mov_b32 s54, 0
	s_and_b64 vcc, exec, s[52:53]
	s_cbranch_vccnz .LBB11_57
	s_branch .LBB11_60
.LBB11_56:                              ;   in Loop: Header=BB11_42 Depth=2
	s_mov_b64 s[50:51], 0
                                        ; implicit-def: $vgpr2
                                        ; implicit-def: $sgpr54
	s_cbranch_execz .LBB11_60
.LBB11_57:                              ;   in Loop: Header=BB11_42 Depth=2
                                        ; implicit-def: $vgpr2
	s_and_saveexec_b64 s[52:53], s[2:3]
; %bb.58:                               ;   in Loop: Header=BB11_42 Depth=2
	v_add3_u32 v2, v17, v4, 2
	s_or_b64 s[50:51], s[50:51], exec
; %bb.59:                               ;   in Loop: Header=BB11_42 Depth=2
	s_or_b64 exec, exec, s[52:53]
	s_mov_b32 s54, 0
.LBB11_60:                              ;   in Loop: Header=BB11_42 Depth=2
	v_mov_b32_e32 v3, s54
	s_and_saveexec_b64 s[52:53], s[50:51]
	s_cbranch_execz .LBB11_62
; %bb.61:                               ;   in Loop: Header=BB11_42 Depth=2
	v_ashrrev_i32_e32 v3, 31, v2
	v_lshlrev_b64 v[2:3], 2, v[2:3]
	v_mov_b32_e32 v26, s29
	v_add_co_u32_e32 v2, vcc, s28, v2
	v_addc_co_u32_e32 v3, vcc, v26, v3, vcc
	global_load_dword v3, v[2:3], off
.LBB11_62:                              ;   in Loop: Header=BB11_42 Depth=2
	s_or_b64 exec, exec, s[52:53]
	s_and_b64 vcc, exec, s[12:13]
	s_waitcnt vmcnt(0)
	ds_write_b32 v5, v3 offset:4232
	ds_write_b32 v5, v23 offset:8
	s_cbranch_vccnz .LBB11_66
; %bb.63:                               ;   in Loop: Header=BB11_42 Depth=2
	s_mov_b64 s[52:53], 0
	s_mov_b64 s[50:51], 0
                                        ; implicit-def: $vgpr2
	s_and_saveexec_b64 s[54:55], s[2:3]
; %bb.64:                               ;   in Loop: Header=BB11_42 Depth=2
	v_add3_u32 v2, v4, s41, 4
	s_mov_b64 s[50:51], exec
	v_mad_u64_u32 v[2:3], s[56:57], v2, s58, v[0:1]
; %bb.65:                               ;   in Loop: Header=BB11_42 Depth=2
	s_or_b64 exec, exec, s[54:55]
	s_mov_b32 s54, 0
	s_and_b64 vcc, exec, s[52:53]
	s_cbranch_vccnz .LBB11_67
	s_branch .LBB11_70
.LBB11_66:                              ;   in Loop: Header=BB11_42 Depth=2
	s_mov_b64 s[50:51], 0
                                        ; implicit-def: $vgpr2
                                        ; implicit-def: $sgpr54
	s_cbranch_execz .LBB11_70
.LBB11_67:                              ;   in Loop: Header=BB11_42 Depth=2
                                        ; implicit-def: $vgpr2
	s_and_saveexec_b64 s[52:53], s[2:3]
; %bb.68:                               ;   in Loop: Header=BB11_42 Depth=2
	v_add3_u32 v2, v17, v4, 4
	s_or_b64 s[50:51], s[50:51], exec
; %bb.69:                               ;   in Loop: Header=BB11_42 Depth=2
	s_or_b64 exec, exec, s[52:53]
	s_mov_b32 s54, 0
.LBB11_70:                              ;   in Loop: Header=BB11_42 Depth=2
	v_mov_b32_e32 v3, s54
	s_and_saveexec_b64 s[52:53], s[50:51]
	s_cbranch_execz .LBB11_72
; %bb.71:                               ;   in Loop: Header=BB11_42 Depth=2
	v_ashrrev_i32_e32 v3, 31, v2
	v_lshlrev_b64 v[2:3], 2, v[2:3]
	v_mov_b32_e32 v26, s29
	v_add_co_u32_e32 v2, vcc, s28, v2
	v_addc_co_u32_e32 v3, vcc, v26, v3, vcc
	global_load_dword v3, v[2:3], off
.LBB11_72:                              ;   in Loop: Header=BB11_42 Depth=2
	s_or_b64 exec, exec, s[52:53]
	s_and_b64 vcc, exec, s[12:13]
	s_waitcnt vmcnt(0)
	ds_write_b32 v5, v3 offset:4240
	ds_write_b32 v5, v23 offset:16
	s_cbranch_vccnz .LBB11_76
; %bb.73:                               ;   in Loop: Header=BB11_42 Depth=2
	s_mov_b64 s[52:53], 0
	s_mov_b64 s[50:51], 0
                                        ; implicit-def: $vgpr2
	s_and_saveexec_b64 s[54:55], s[2:3]
; %bb.74:                               ;   in Loop: Header=BB11_42 Depth=2
	v_add3_u32 v2, v4, s41, 6
	s_mov_b64 s[50:51], exec
	v_mad_u64_u32 v[2:3], s[56:57], v2, s58, v[0:1]
; %bb.75:                               ;   in Loop: Header=BB11_42 Depth=2
	s_or_b64 exec, exec, s[54:55]
	s_mov_b32 s54, 0
	s_and_b64 vcc, exec, s[52:53]
	s_cbranch_vccnz .LBB11_77
	s_branch .LBB11_80
.LBB11_76:                              ;   in Loop: Header=BB11_42 Depth=2
	s_mov_b64 s[50:51], 0
                                        ; implicit-def: $vgpr2
                                        ; implicit-def: $sgpr54
	s_cbranch_execz .LBB11_80
.LBB11_77:                              ;   in Loop: Header=BB11_42 Depth=2
                                        ; implicit-def: $vgpr2
	s_and_saveexec_b64 s[52:53], s[2:3]
; %bb.78:                               ;   in Loop: Header=BB11_42 Depth=2
	v_add3_u32 v2, v17, v4, 6
	s_or_b64 s[50:51], s[50:51], exec
; %bb.79:                               ;   in Loop: Header=BB11_42 Depth=2
	s_or_b64 exec, exec, s[52:53]
	s_mov_b32 s54, 0
.LBB11_80:                              ;   in Loop: Header=BB11_42 Depth=2
	v_mov_b32_e32 v3, s54
	s_and_saveexec_b64 s[52:53], s[50:51]
	s_cbranch_execz .LBB11_41
; %bb.81:                               ;   in Loop: Header=BB11_42 Depth=2
	v_ashrrev_i32_e32 v3, 31, v2
	v_lshlrev_b64 v[2:3], 2, v[2:3]
	v_mov_b32_e32 v26, s29
	v_add_co_u32_e32 v2, vcc, s28, v2
	v_addc_co_u32_e32 v3, vcc, v26, v3, vcc
	global_load_dword v3, v[2:3], off
	s_branch .LBB11_41
.LBB11_82:                              ;   in Loop: Header=BB11_22 Depth=1
	s_or_b64 exec, exec, s[46:47]
	ds_read_b32 v2, v23 offset:12928
	s_waitcnt lgkmcnt(0)
	s_sub_i32 s46, s45, s21
	s_cmp_le_i32 s46, s65
	s_cselect_b64 s[48:49], -1, 0
	s_mov_b32 s47, 0
	v_cmp_ge_i32_e32 vcc, s44, v2
	s_and_b64 s[48:49], s[48:49], vcc
	s_andn2_b64 vcc, exec, s[48:49]
	s_cbranch_vccnz .LBB11_94
; %bb.83:                               ;   in Loop: Header=BB11_22 Depth=1
	s_mov_b32 s45, 0
	s_mov_b32 s50, 0
.LBB11_84:                              ;   Parent Loop BB11_22 Depth=1
                                        ; =>  This Inner Loop Header: Depth=2
	s_ashr_i32 s47, s46, 31
	s_lshl_b64 s[48:49], s[46:47], 2
	s_add_u32 s48, s26, s48
	s_addc_u32 s49, s27, s49
	s_load_dword s47, s[48:49], 0x0
	s_lshl_b32 s48, s50, 2
	v_mov_b32_e32 v2, s48
	ds_read_b32 v2, v2 offset:12928
	s_mov_b64 s[48:49], -1
	s_waitcnt lgkmcnt(0)
	s_sub_i32 s54, s47, s21
                                        ; implicit-def: $sgpr47
                                        ; implicit-def: $sgpr53
                                        ; implicit-def: $sgpr52
	v_cmp_ge_i32_e32 vcc, s54, v2
	v_readfirstlane_b32 s51, v2
	s_cbranch_vccz .LBB11_90
; %bb.85:                               ;   in Loop: Header=BB11_84 Depth=2
	s_cmp_le_i32 s54, s51
                                        ; implicit-def: $sgpr47
                                        ; implicit-def: $sgpr53
                                        ; implicit-def: $sgpr52
	s_cbranch_scc0 .LBB11_87
; %bb.86:                               ;   in Loop: Header=BB11_84 Depth=2
	s_add_i32 s47, s50, s59
	s_mul_i32 s47, s47, s61
	s_lshl_b32 s48, s45, 2
	v_mov_b32_e32 v2, s48
	v_mov_b32_e32 v3, s47
	s_mul_i32 s47, s46, s61
	v_mov_b32_e32 v4, s47
	v_add_u32_e32 v2, 0x3000, v2
	ds_write2_b32 v2, v4, v3 offset0:96 offset1:128
	s_add_i32 s52, s50, 1
	s_add_i32 s53, s46, 1
	;; [unrolled: 1-line block ×3, first 2 shown]
	s_mov_b64 s[48:49], 0
.LBB11_87:                              ;   in Loop: Header=BB11_84 Depth=2
	s_andn2_b64 vcc, exec, s[48:49]
	s_cbranch_vccnz .LBB11_89
; %bb.88:                               ;   in Loop: Header=BB11_84 Depth=2
	s_add_i32 s52, s50, 1
	s_mov_b32 s47, s45
	s_mov_b32 s53, s46
.LBB11_89:                              ;   in Loop: Header=BB11_84 Depth=2
	s_mov_b64 s[48:49], 0
.LBB11_90:                              ;   in Loop: Header=BB11_84 Depth=2
	s_andn2_b64 vcc, exec, s[48:49]
	s_cbranch_vccnz .LBB11_92
; %bb.91:                               ;   in Loop: Header=BB11_84 Depth=2
	s_add_i32 s53, s46, 1
	s_mov_b32 s52, s50
	s_mov_b32 s47, s45
.LBB11_92:                              ;   in Loop: Header=BB11_84 Depth=2
	s_cmp_le_i32 s53, s65
	s_cselect_b64 s[48:49], -1, 0
	s_cmp_le_i32 s51, s44
	s_cselect_b64 s[50:51], -1, 0
	s_and_b64 s[48:49], s[48:49], s[50:51]
	s_and_b64 vcc, exec, s[48:49]
	s_cbranch_vccz .LBB11_94
; %bb.93:                               ;   in Loop: Header=BB11_84 Depth=2
	s_mov_b32 s45, s47
	s_mov_b32 s46, s53
	;; [unrolled: 1-line block ×3, first 2 shown]
	s_branch .LBB11_84
.LBB11_94:                              ;   in Loop: Header=BB11_22 Depth=1
	s_add_u32 s42, s18, s42
	s_addc_u32 s43, s19, s43
	s_waitcnt lgkmcnt(0)
.LBB11_95:                              ;   Parent Loop BB11_22 Depth=1
                                        ; =>  This Inner Loop Header: Depth=2
	global_load_dword v2, v23, s[42:43] glc
	s_waitcnt vmcnt(0)
	v_cmp_eq_u32_e32 vcc, 0, v2
	s_cbranch_vccnz .LBB11_95
; %bb.96:                               ;   in Loop: Header=BB11_22 Depth=1
	s_cmp_lt_i32 s47, 2
	buffer_wbinvl1_vol
	s_cbranch_scc1 .LBB11_112
; %bb.97:                               ;   in Loop: Header=BB11_22 Depth=1
	s_add_i32 s48, s47, -2
	s_mov_b32 s49, 0
	s_branch .LBB11_99
.LBB11_98:                              ;   in Loop: Header=BB11_99 Depth=2
	s_or_b64 exec, exec, s[42:43]
	s_add_i32 s42, s49, 1
	s_cmp_eq_u32 s49, s48
	s_mov_b32 s49, s42
	s_cbranch_scc1 .LBB11_112
.LBB11_99:                              ;   Parent Loop BB11_22 Depth=1
                                        ; =>  This Loop Header: Depth=2
                                        ;       Child Loop BB11_102 Depth 3
	s_and_saveexec_b64 s[42:43], s[0:1]
	s_cbranch_execz .LBB11_98
; %bb.100:                              ;   in Loop: Header=BB11_99 Depth=2
	s_lshl_b32 s44, s49, 2
	v_mov_b32_e32 v2, s44
	v_add_u32_e32 v2, 0x3000, v2
	ds_read2_b32 v[2:3], v2 offset0:96 offset1:128
	s_mov_b64 s[44:45], 0
	v_mov_b32_e32 v30, v1
	s_waitcnt lgkmcnt(0)
	v_add_u32_e32 v26, v3, v8
	v_add_u32_e32 v27, v0, v3
	;; [unrolled: 1-line block ×4, first 2 shown]
	s_branch .LBB11_102
.LBB11_101:                             ;   in Loop: Header=BB11_102 Depth=3
	v_lshlrev_b32_e32 v2, 2, v30
	v_mad_u32_u24 v2, v0, s62, v2
	ds_read_b32 v4, v2
	v_add_u32_e32 v30, 2, v30
	v_cmp_le_i32_e32 vcc, s58, v30
	v_add_u32_e32 v28, 2, v28
	s_or_b64 s[44:45], vcc, s[44:45]
	s_waitcnt lgkmcnt(0)
	v_add_f32_e32 v3, v3, v4
	v_add_u32_e32 v29, s63, v29
	ds_write_b32 v2, v3
	s_andn2_b64 exec, exec, s[44:45]
	s_cbranch_execz .LBB11_98
.LBB11_102:                             ;   Parent Loop BB11_22 Depth=1
                                        ;     Parent Loop BB11_99 Depth=2
                                        ; =>    This Inner Loop Header: Depth=3
	s_mov_b32 s50, 0
	v_mov_b32_e32 v31, 0
	v_mov_b32_e32 v2, v28
	;; [unrolled: 1-line block ×3, first 2 shown]
	s_and_b64 vcc, exec, s[34:35]
	s_cbranch_vccz .LBB11_106
.LBB11_103:                             ;   in Loop: Header=BB11_102 Depth=3
	v_ashrrev_i32_e32 v3, 31, v2
	v_lshlrev_b64 v[32:33], 2, v[2:3]
	v_mov_b32_e32 v3, s29
	v_add_co_u32_e32 v32, vcc, s28, v32
	v_addc_co_u32_e32 v33, vcc, v3, v33, vcc
	global_load_dword v3, v[32:33], off
	v_mov_b32_e32 v5, 0
	s_and_saveexec_b64 s[46:47], s[2:3]
	s_cbranch_execz .LBB11_105
; %bb.104:                              ;   in Loop: Header=BB11_102 Depth=3
	v_ashrrev_i32_e32 v5, 31, v4
	v_lshlrev_b64 v[32:33], 2, v[4:5]
	v_mov_b32_e32 v5, s29
	v_add_co_u32_e32 v32, vcc, s28, v32
	v_addc_co_u32_e32 v33, vcc, v5, v33, vcc
	global_load_dword v5, v[32:33], off
.LBB11_105:                             ;   in Loop: Header=BB11_102 Depth=3
	s_or_b64 exec, exec, s[46:47]
	s_waitcnt vmcnt(0)
	v_fma_f32 v3, v3, v5, v31
	s_branch .LBB11_110
.LBB11_106:                             ;   in Loop: Header=BB11_102 Depth=3
                                        ; implicit-def: $vgpr3
	s_cbranch_execz .LBB11_110
; %bb.107:                              ;   in Loop: Header=BB11_102 Depth=3
	v_add_u32_e32 v32, s50, v29
	v_ashrrev_i32_e32 v33, 31, v32
	v_lshlrev_b64 v[32:33], 2, v[32:33]
	v_mov_b32_e32 v3, s29
	v_add_co_u32_e32 v32, vcc, s28, v32
	v_addc_co_u32_e32 v33, vcc, v3, v33, vcc
	global_load_dword v3, v[32:33], off
	v_mov_b32_e32 v5, 0
	s_and_saveexec_b64 s[46:47], s[2:3]
	s_cbranch_execz .LBB11_109
; %bb.108:                              ;   in Loop: Header=BB11_102 Depth=3
	v_add_u32_e32 v32, s50, v26
	v_ashrrev_i32_e32 v33, 31, v32
	v_lshlrev_b64 v[32:33], 2, v[32:33]
	v_mov_b32_e32 v5, s29
	v_add_co_u32_e32 v32, vcc, s28, v32
	v_addc_co_u32_e32 v33, vcc, v5, v33, vcc
	global_load_dword v5, v[32:33], off
.LBB11_109:                             ;   in Loop: Header=BB11_102 Depth=3
	s_or_b64 exec, exec, s[46:47]
	s_waitcnt vmcnt(0)
	v_fmac_f32_e32 v31, v3, v5
	v_mov_b32_e32 v3, v31
.LBB11_110:                             ;   in Loop: Header=BB11_102 Depth=3
	s_add_i32 s50, s50, 1
	v_add_u32_e32 v4, s58, v4
	s_cmp_eq_u32 s58, s50
	v_add_u32_e32 v2, s58, v2
	s_cbranch_scc1 .LBB11_101
; %bb.111:                              ;   in Loop: Header=BB11_102 Depth=3
	v_mov_b32_e32 v31, v3
	s_and_b64 vcc, exec, s[34:35]
	s_cbranch_vccz .LBB11_106
	s_branch .LBB11_103
.LBB11_112:                             ;   in Loop: Header=BB11_22 Depth=1
	s_andn2_b64 vcc, exec, s[36:37]
	s_waitcnt lgkmcnt(0)
	s_cbranch_vccnz .LBB11_134
; %bb.113:                              ;   in Loop: Header=BB11_22 Depth=1
	s_mul_i32 s50, s61, s65
	s_mov_b32 s51, 0
	s_movk_i32 s52, 0x1080
	v_mov_b32_e32 v4, v20
	s_mov_b32 s53, s50
	s_branch .LBB11_115
.LBB11_114:                             ;   in Loop: Header=BB11_115 Depth=2
	s_or_b64 exec, exec, s[42:43]
	s_add_i32 s51, s51, 1
	s_add_i32 s53, s53, 1
	;; [unrolled: 1-line block ×3, first 2 shown]
	s_cmp_eq_u32 s51, s58
	v_add_u32_e32 v4, 4, v4
	s_waitcnt lgkmcnt(0)
	s_cbranch_scc1 .LBB11_134
.LBB11_115:                             ;   Parent Loop BB11_22 Depth=1
                                        ; =>  This Loop Header: Depth=2
                                        ;       Child Loop BB11_122 Depth 3
                                        ;       Child Loop BB11_127 Depth 3
                                        ;       Child Loop BB11_133 Depth 3
	s_mul_i32 s46, s51, s58
	s_add_i32 s46, s46, s50
	s_add_i32 s42, s46, s51
	s_ashr_i32 s43, s42, 31
	s_lshl_b64 s[42:43], s[42:43], 2
	s_add_u32 s42, s28, s42
	s_addc_u32 s43, s29, s43
	global_load_dword v5, v23, s[42:43]
	v_lshl_add_u32 v3, s51, 2, v13
	ds_read_b32 v2, v3 offset:4224
	s_waitcnt vmcnt(0)
	v_cmp_neq_f32_e32 vcc, 0, v5
	s_or_b64 s[42:43], vcc, s[4:5]
	v_cndmask_b32_e32 v5, 1.0, v5, vcc
	s_xor_b64 s[44:45], s[42:43], -1
	s_and_saveexec_b64 s[42:43], s[44:45]
	s_cbranch_execz .LBB11_119
; %bb.116:                              ;   in Loop: Header=BB11_115 Depth=2
	v_mbcnt_lo_u32_b32 v5, exec_lo, 0
	v_mbcnt_hi_u32_b32 v5, exec_hi, v5
	v_cmp_eq_u32_e32 vcc, 0, v5
	s_and_saveexec_b64 s[44:45], vcc
	s_cbranch_execz .LBB11_118
; %bb.117:                              ;   in Loop: Header=BB11_115 Depth=2
	v_mov_b32_e32 v5, s64
	global_atomic_smin v23, v5, s[22:23]
.LBB11_118:                             ;   in Loop: Header=BB11_115 Depth=2
	s_or_b64 exec, exec, s[44:45]
	v_mov_b32_e32 v5, 1.0
.LBB11_119:                             ;   in Loop: Header=BB11_115 Depth=2
	s_or_b64 exec, exec, s[42:43]
	ds_read_b32 v26, v3
	s_cmp_eq_u32 s51, 0
	s_cbranch_scc1 .LBB11_124
; %bb.120:                              ;   in Loop: Header=BB11_115 Depth=2
	s_mov_b32 s44, 0
	s_mov_b32 s45, s53
	v_mov_b32_e32 v27, v18
	s_branch .LBB11_122
.LBB11_121:                             ;   in Loop: Header=BB11_122 Depth=3
	s_ashr_i32 s43, s42, 31
	s_lshl_b64 s[42:43], s[42:43], 2
	s_add_u32 s42, s28, s42
	s_addc_u32 s43, s29, s43
	global_load_dword v28, v23, s[42:43]
	ds_read_b32 v29, v27
	s_add_i32 s44, s44, 1
	s_add_i32 s45, s45, s58
	s_cmp_ge_u32 s44, s51
	v_add_u32_e32 v27, 4, v27
	s_waitcnt vmcnt(0) lgkmcnt(0)
	v_fmac_f32_e32 v26, v28, v29
	s_cbranch_scc1 .LBB11_124
.LBB11_122:                             ;   Parent Loop BB11_22 Depth=1
                                        ;     Parent Loop BB11_115 Depth=2
                                        ; =>    This Inner Loop Header: Depth=3
	s_andn2_b64 vcc, exec, s[30:31]
	s_mov_b32 s42, s45
	s_cbranch_vccnz .LBB11_121
; %bb.123:                              ;   in Loop: Header=BB11_122 Depth=3
	s_add_i32 s42, s44, s46
	s_branch .LBB11_121
.LBB11_124:                             ;   in Loop: Header=BB11_115 Depth=2
	s_waitcnt lgkmcnt(0)
	v_sub_f32_e32 v2, v2, v26
	v_div_scale_f32 v26, s[42:43], v5, v5, v2
	v_rcp_f32_e32 v27, v26
	v_div_scale_f32 v28, vcc, v2, v5, v2
	v_add_u32_e32 v3, 0x1080, v3
	v_fma_f32 v29, -v26, v27, 1.0
	v_fmac_f32_e32 v27, v29, v27
	v_mul_f32_e32 v29, v28, v27
	v_fma_f32 v30, -v26, v29, v28
	v_fmac_f32_e32 v29, v30, v27
	v_fma_f32 v26, -v26, v29, v28
	v_div_fmas_f32 v26, v26, v27, v29
	v_div_fixup_f32 v2, v26, v5, v2
	ds_write_b32 v3, v2
	s_waitcnt lgkmcnt(0)
	s_and_saveexec_b64 s[42:43], s[0:1]
	s_cbranch_execz .LBB11_114
; %bb.125:                              ;   in Loop: Header=BB11_115 Depth=2
	s_mov_b64 s[46:47], -1
	v_mov_b32_e32 v3, v1
	v_mov_b32_e32 v5, v19
	;; [unrolled: 1-line block ×3, first 2 shown]
	s_and_saveexec_b64 s[44:45], s[38:39]
	s_cbranch_execz .LBB11_131
; %bb.126:                              ;   in Loop: Header=BB11_115 Depth=2
	v_mov_b32_e32 v3, v2
	s_mov_b64 s[46:47], 0
	v_mov_b32_e32 v5, v11
	v_mov_b32_e32 v26, v21
	;; [unrolled: 1-line block ×3, first 2 shown]
.LBB11_127:                             ;   Parent Loop BB11_22 Depth=1
                                        ;     Parent Loop BB11_115 Depth=2
                                        ; =>    This Inner Loop Header: Depth=3
	ds_read2_b32 v[28:29], v27 offset1:66
	ds_read2_b32 v[30:31], v26 offset1:2
	v_add_u32_e32 v5, -2, v5
	v_cmp_eq_u32_e32 vcc, 0, v5
	v_add_u32_e32 v27, 0x210, v27
	s_or_b64 s[46:47], vcc, s[46:47]
	s_waitcnt lgkmcnt(0)
	v_pk_fma_f32 v[28:29], v[2:3], v[28:29], v[30:31]
	ds_write2_b32 v26, v28, v29 offset1:2
	v_add_u32_e32 v26, 16, v26
	s_andn2_b64 exec, exec, s[46:47]
	s_cbranch_execnz .LBB11_127
; %bb.128:                              ;   in Loop: Header=BB11_115 Depth=2
	s_or_b64 exec, exec, s[46:47]
	s_mov_b64 s[46:47], 0
	s_and_saveexec_b64 s[48:49], s[10:11]
	s_xor_b64 s[48:49], exec, s[48:49]
; %bb.129:                              ;   in Loop: Header=BB11_115 Depth=2
	s_mov_b64 s[46:47], exec
; %bb.130:                              ;   in Loop: Header=BB11_115 Depth=2
	s_or_b64 exec, exec, s[48:49]
	s_orn2_b64 s[46:47], s[46:47], exec
	v_mov_b32_e32 v3, v12
	v_mov_b32_e32 v5, v24
	;; [unrolled: 1-line block ×3, first 2 shown]
.LBB11_131:                             ;   in Loop: Header=BB11_115 Depth=2
	s_or_b64 exec, exec, s[44:45]
	s_and_b64 exec, exec, s[46:47]
	s_cbranch_execz .LBB11_114
; %bb.132:                              ;   in Loop: Header=BB11_115 Depth=2
	v_add_u32_e32 v5, s52, v5
	v_add_u32_e32 v26, v10, v26
	s_mov_b64 s[44:45], 0
.LBB11_133:                             ;   Parent Loop BB11_22 Depth=1
                                        ;     Parent Loop BB11_115 Depth=2
                                        ; =>    This Inner Loop Header: Depth=3
	ds_read_b32 v27, v5
	ds_read_b32 v28, v26
	v_add_u32_e32 v3, 2, v3
	v_cmp_le_i32_e32 vcc, s58, v3
	v_add_u32_e32 v5, 0x108, v5
	s_or_b64 s[44:45], vcc, s[44:45]
	s_waitcnt lgkmcnt(0)
	v_fmac_f32_e32 v28, v2, v27
	ds_write_b32 v26, v28
	v_add_u32_e32 v26, 8, v26
	s_andn2_b64 exec, exec, s[44:45]
	s_cbranch_execnz .LBB11_133
	s_branch .LBB11_114
.LBB11_134:                             ;   in Loop: Header=BB11_22 Depth=1
	s_and_saveexec_b64 s[42:43], s[0:1]
	s_cbranch_execz .LBB11_21
; %bb.135:                              ;   in Loop: Header=BB11_22 Depth=1
	v_mov_b32_e32 v4, v1
	s_and_saveexec_b64 s[44:45], s[6:7]
	s_cbranch_execz .LBB11_145
; %bb.136:                              ;   in Loop: Header=BB11_22 Depth=1
	s_mov_b64 s[46:47], 0
	v_mov_b32_e32 v5, v15
	v_mov_b32_e32 v26, v22
	;; [unrolled: 1-line block ×3, first 2 shown]
	s_branch .LBB11_139
.LBB11_137:                             ;   in Loop: Header=BB11_139 Depth=2
	v_ashrrev_i32_e32 v3, 31, v2
	v_lshlrev_b64 v[2:3], 2, v[2:3]
	v_mov_b32_e32 v28, s29
	v_add_co_u32_e32 v2, vcc, s28, v2
	v_addc_co_u32_e32 v3, vcc, v28, v3, vcc
	s_waitcnt lgkmcnt(0)
	global_store_dword v[2:3], v27, off
.LBB11_138:                             ;   in Loop: Header=BB11_139 Depth=2
	s_or_b64 exec, exec, s[48:49]
	v_add_u32_e32 v5, -4, v5
	v_cmp_eq_u32_e32 vcc, 0, v5
	v_add_u32_e32 v4, 2, v4
	s_or_b64 s[46:47], vcc, s[46:47]
	v_add_u32_e32 v26, 8, v26
	s_andn2_b64 exec, exec, s[46:47]
	s_cbranch_execz .LBB11_144
.LBB11_139:                             ;   Parent Loop BB11_22 Depth=1
                                        ; =>  This Inner Loop Header: Depth=2
	s_and_saveexec_b64 s[48:49], s[2:3]
	s_cbranch_execz .LBB11_138
; %bb.140:                              ;   in Loop: Header=BB11_139 Depth=2
	ds_read_b32 v27, v26
	s_and_b64 vcc, exec, s[12:13]
	s_cbranch_vccnz .LBB11_142
; %bb.141:                              ;   in Loop: Header=BB11_139 Depth=2
	v_add_u32_e32 v2, s41, v4
	v_mad_u64_u32 v[2:3], s[50:51], v2, s58, v[0:1]
	s_cbranch_execnz .LBB11_137
	s_branch .LBB11_143
.LBB11_142:                             ;   in Loop: Header=BB11_139 Depth=2
                                        ; implicit-def: $vgpr2
.LBB11_143:                             ;   in Loop: Header=BB11_139 Depth=2
	v_add_u32_e32 v2, v17, v4
	s_branch .LBB11_137
.LBB11_144:                             ;   in Loop: Header=BB11_22 Depth=1
	s_or_b64 exec, exec, s[46:47]
.LBB11_145:                             ;   in Loop: Header=BB11_22 Depth=1
	s_or_b64 exec, exec, s[44:45]
	s_and_b64 exec, exec, s[8:9]
	s_cbranch_execz .LBB11_21
; %bb.146:                              ;   in Loop: Header=BB11_22 Depth=1
	v_lshl_add_u32 v5, v4, 2, v18
	s_mov_b64 s[44:45], 0
	s_branch .LBB11_149
.LBB11_147:                             ;   in Loop: Header=BB11_149 Depth=2
	v_ashrrev_i32_e32 v3, 31, v2
	v_lshlrev_b64 v[2:3], 2, v[2:3]
	v_mov_b32_e32 v27, s29
	v_add_co_u32_e32 v2, vcc, s28, v2
	v_addc_co_u32_e32 v3, vcc, v27, v3, vcc
	s_waitcnt lgkmcnt(0)
	global_store_dword v[2:3], v26, off
.LBB11_148:                             ;   in Loop: Header=BB11_149 Depth=2
	s_or_b64 exec, exec, s[46:47]
	v_add_u32_e32 v4, 8, v4
	v_cmp_le_i32_e32 vcc, s58, v4
	s_or_b64 s[44:45], vcc, s[44:45]
	v_add_u32_e32 v5, 32, v5
	s_andn2_b64 exec, exec, s[44:45]
	s_cbranch_execz .LBB11_21
.LBB11_149:                             ;   Parent Loop BB11_22 Depth=1
                                        ; =>  This Inner Loop Header: Depth=2
	s_and_saveexec_b64 s[46:47], s[2:3]
	s_cbranch_execnz .LBB11_153
; %bb.150:                              ;   in Loop: Header=BB11_149 Depth=2
	s_or_b64 exec, exec, s[46:47]
	s_and_saveexec_b64 s[46:47], s[2:3]
	s_cbranch_execnz .LBB11_158
.LBB11_151:                             ;   in Loop: Header=BB11_149 Depth=2
	s_or_b64 exec, exec, s[46:47]
	s_and_saveexec_b64 s[46:47], s[2:3]
	s_cbranch_execnz .LBB11_163
.LBB11_152:                             ;   in Loop: Header=BB11_149 Depth=2
	s_or_b64 exec, exec, s[46:47]
	s_and_saveexec_b64 s[46:47], s[2:3]
	s_cbranch_execz .LBB11_148
	s_branch .LBB11_168
.LBB11_153:                             ;   in Loop: Header=BB11_149 Depth=2
	ds_read_b32 v26, v5
	s_and_b64 vcc, exec, s[34:35]
	s_cbranch_vccz .LBB11_155
; %bb.154:                              ;   in Loop: Header=BB11_149 Depth=2
	v_add_u32_e32 v2, s41, v4
	v_mad_u64_u32 v[2:3], s[48:49], v2, s58, v[0:1]
	s_cbranch_execz .LBB11_156
	s_branch .LBB11_157
.LBB11_155:                             ;   in Loop: Header=BB11_149 Depth=2
                                        ; implicit-def: $vgpr2
.LBB11_156:                             ;   in Loop: Header=BB11_149 Depth=2
	v_add_u32_e32 v2, v17, v4
.LBB11_157:                             ;   in Loop: Header=BB11_149 Depth=2
	v_ashrrev_i32_e32 v3, 31, v2
	v_lshlrev_b64 v[2:3], 2, v[2:3]
	v_mov_b32_e32 v27, s29
	v_add_co_u32_e32 v2, vcc, s28, v2
	v_addc_co_u32_e32 v3, vcc, v27, v3, vcc
	s_waitcnt lgkmcnt(0)
	global_store_dword v[2:3], v26, off
	s_or_b64 exec, exec, s[46:47]
	s_and_saveexec_b64 s[46:47], s[2:3]
	s_cbranch_execz .LBB11_151
.LBB11_158:                             ;   in Loop: Header=BB11_149 Depth=2
	ds_read_b32 v26, v5 offset:8
	s_and_b64 vcc, exec, s[12:13]
	s_cbranch_vccnz .LBB11_160
; %bb.159:                              ;   in Loop: Header=BB11_149 Depth=2
	v_add3_u32 v2, v4, s41, 2
	v_mad_u64_u32 v[2:3], s[48:49], v2, s58, v[0:1]
	s_cbranch_execz .LBB11_161
	s_branch .LBB11_162
.LBB11_160:                             ;   in Loop: Header=BB11_149 Depth=2
                                        ; implicit-def: $vgpr2
.LBB11_161:                             ;   in Loop: Header=BB11_149 Depth=2
	v_add3_u32 v2, v17, v4, 2
.LBB11_162:                             ;   in Loop: Header=BB11_149 Depth=2
	v_ashrrev_i32_e32 v3, 31, v2
	v_lshlrev_b64 v[2:3], 2, v[2:3]
	v_mov_b32_e32 v27, s29
	v_add_co_u32_e32 v2, vcc, s28, v2
	v_addc_co_u32_e32 v3, vcc, v27, v3, vcc
	s_waitcnt lgkmcnt(0)
	global_store_dword v[2:3], v26, off
	s_or_b64 exec, exec, s[46:47]
	s_and_saveexec_b64 s[46:47], s[2:3]
	s_cbranch_execz .LBB11_152
.LBB11_163:                             ;   in Loop: Header=BB11_149 Depth=2
	ds_read_b32 v26, v5 offset:16
	s_and_b64 vcc, exec, s[12:13]
	s_cbranch_vccnz .LBB11_165
; %bb.164:                              ;   in Loop: Header=BB11_149 Depth=2
	v_add3_u32 v2, v4, s41, 4
	v_mad_u64_u32 v[2:3], s[48:49], v2, s58, v[0:1]
	s_cbranch_execz .LBB11_166
	s_branch .LBB11_167
.LBB11_165:                             ;   in Loop: Header=BB11_149 Depth=2
                                        ; implicit-def: $vgpr2
.LBB11_166:                             ;   in Loop: Header=BB11_149 Depth=2
	v_add3_u32 v2, v17, v4, 4
.LBB11_167:                             ;   in Loop: Header=BB11_149 Depth=2
	v_ashrrev_i32_e32 v3, 31, v2
	v_lshlrev_b64 v[2:3], 2, v[2:3]
	v_mov_b32_e32 v27, s29
	v_add_co_u32_e32 v2, vcc, s28, v2
	v_addc_co_u32_e32 v3, vcc, v27, v3, vcc
	s_waitcnt lgkmcnt(0)
	global_store_dword v[2:3], v26, off
	s_or_b64 exec, exec, s[46:47]
	s_and_saveexec_b64 s[46:47], s[2:3]
	s_cbranch_execz .LBB11_148
.LBB11_168:                             ;   in Loop: Header=BB11_149 Depth=2
	ds_read_b32 v26, v5 offset:24
	s_and_b64 vcc, exec, s[12:13]
	s_cbranch_vccnz .LBB11_170
; %bb.169:                              ;   in Loop: Header=BB11_149 Depth=2
	v_add3_u32 v2, v4, s41, 6
	v_mad_u64_u32 v[2:3], s[48:49], v2, s58, v[0:1]
	s_cbranch_execnz .LBB11_147
	s_branch .LBB11_171
.LBB11_170:                             ;   in Loop: Header=BB11_149 Depth=2
                                        ; implicit-def: $vgpr2
.LBB11_171:                             ;   in Loop: Header=BB11_149 Depth=2
	v_add3_u32 v2, v17, v4, 6
	s_branch .LBB11_147
.LBB11_172:
	v_cmp_gt_i32_e64 s[0:1], s58, v1
	s_and_saveexec_b64 s[4:5], s[0:1]
	s_cbranch_execz .LBB11_185
; %bb.173:
	s_mul_i32 s24, s33, s58
	v_add_u32_e32 v2, s24, v0
	s_cmp_lg_u32 s60, 0
	v_mul_lo_u32 v4, v2, s58
	v_mul_u32_u24_e32 v2, 0x84, v0
	v_lshlrev_b32_e32 v3, 2, v1
	s_movk_i32 s8, 0x1080
	s_cselect_b64 s[6:7], -1, 0
	v_cmp_gt_i32_e64 s[2:3], s58, v0
	v_add3_u32 v5, v2, v3, s8
	s_mov_b64 s[8:9], 0
	v_mov_b32_e32 v8, v1
	s_branch .LBB11_175
.LBB11_174:                             ;   in Loop: Header=BB11_175 Depth=1
	s_or_b64 exec, exec, s[12:13]
	v_add_u32_e32 v8, 2, v8
	v_cmp_le_i32_e32 vcc, s58, v8
	s_waitcnt vmcnt(0)
	ds_write_b32 v5, v3
	s_or_b64 s[8:9], vcc, s[8:9]
	v_add_u32_e32 v5, 8, v5
	s_andn2_b64 exec, exec, s[8:9]
	s_cbranch_execz .LBB11_185
.LBB11_175:                             ; =>This Inner Loop Header: Depth=1
	s_and_b64 vcc, exec, s[6:7]
	s_cbranch_vccz .LBB11_180
; %bb.176:                              ;   in Loop: Header=BB11_175 Depth=1
	s_mov_b64 s[12:13], 0
	s_mov_b64 s[10:11], 0
                                        ; implicit-def: $vgpr2
	s_and_saveexec_b64 s[16:17], s[2:3]
	s_xor_b64 s[16:17], exec, s[16:17]
; %bb.177:                              ;   in Loop: Header=BB11_175 Depth=1
	v_add_u32_e32 v2, s24, v8
	s_mov_b64 s[10:11], exec
	v_mad_u64_u32 v[2:3], s[26:27], v2, s58, v[0:1]
; %bb.178:                              ;   in Loop: Header=BB11_175 Depth=1
	s_or_b64 exec, exec, s[16:17]
	s_mov_b32 s16, 0
	s_and_b64 vcc, exec, s[12:13]
	s_cbranch_vccnz .LBB11_181
.LBB11_179:                             ;   in Loop: Header=BB11_175 Depth=1
	v_mov_b32_e32 v3, s16
	s_and_saveexec_b64 s[12:13], s[10:11]
	s_cbranch_execz .LBB11_174
	s_branch .LBB11_184
.LBB11_180:                             ;   in Loop: Header=BB11_175 Depth=1
	s_mov_b64 s[10:11], 0
                                        ; implicit-def: $vgpr2
                                        ; implicit-def: $sgpr16
	s_cbranch_execz .LBB11_179
.LBB11_181:                             ;   in Loop: Header=BB11_175 Depth=1
                                        ; implicit-def: $vgpr2
	s_and_saveexec_b64 s[12:13], s[2:3]
; %bb.182:                              ;   in Loop: Header=BB11_175 Depth=1
	v_add_u32_e32 v2, v4, v8
	s_or_b64 s[10:11], s[10:11], exec
; %bb.183:                              ;   in Loop: Header=BB11_175 Depth=1
	s_or_b64 exec, exec, s[12:13]
	s_mov_b32 s16, 0
	v_mov_b32_e32 v3, s16
	s_and_saveexec_b64 s[12:13], s[10:11]
	s_cbranch_execz .LBB11_174
.LBB11_184:                             ;   in Loop: Header=BB11_175 Depth=1
	v_ashrrev_i32_e32 v3, 31, v2
	v_lshlrev_b64 v[2:3], 2, v[2:3]
	v_mov_b32_e32 v9, s29
	v_add_co_u32_e32 v2, vcc, s28, v2
	v_addc_co_u32_e32 v3, vcc, v9, v3, vcc
	global_load_dword v3, v[2:3], off
	s_branch .LBB11_174
.LBB11_185:
	s_or_b64 exec, exec, s[4:5]
; %bb.186:
	s_cmp_lt_i32 s58, 1
	s_waitcnt lgkmcnt(0)
	s_cbranch_scc1 .LBB11_211
; %bb.187:
	v_or_b32_e32 v2, v1, v0
	s_movk_i32 s34, 0x84
	v_mov_b32_e32 v3, 0x2100
	v_cmp_ne_u32_e64 s[2:3], 0, v2
	v_lshlrev_b32_e32 v2, 2, v0
	v_mul_u32_u24_e32 v4, 0x84, v0
	s_movk_i32 s35, 0x1080
	v_mad_u32_u24 v8, v0, s34, v3
	v_add3_u32 v5, v4, v2, s35
	v_add_u32_e32 v9, v8, v2
	v_lshrrev_b32_e32 v2, 1, v7
	v_add_u32_e32 v3, 1, v2
	v_add_u32_e32 v2, -1, v2
	v_lshrrev_b32_e32 v10, 1, v2
	v_add_u32_e32 v12, 1, v10
	v_lshlrev_b32_e32 v10, 2, v7
	s_brev_b32 s4, -4
	v_cmp_lt_u32_e32 vcc, 33, v7
	v_and_b32_e32 v10, -8, v10
	v_cmp_lt_u32_e64 s[4:5], s4, v7
	v_add_u32_e32 v7, v8, v6
	v_add_u32_e32 v10, v7, v10
	v_cmp_lt_u32_e64 s[6:7], v10, v7
	s_or_b64 s[4:5], s[6:7], s[4:5]
	v_and_b32_e32 v13, -2, v3
	s_xor_b64 s[10:11], s[4:5], -1
	v_lshl_add_u32 v10, v13, 1, v1
	v_and_b32_e32 v11, 7, v12
	v_cmp_lt_u32_e64 s[4:5], 13, v2
	v_mov_b32_e32 v2, 0x1080
	s_mov_b32 s30, 0
	s_add_i32 s31, s20, s21
	v_and_b32_e32 v12, -8, v12
	v_cmp_ne_u32_e64 s[6:7], 0, v11
	v_cmp_ne_u32_e64 s[8:9], v3, v13
	s_and_b64 s[12:13], vcc, s[10:11]
	v_mul_u32_u24_e32 v13, 0x84, v1
	v_mad_u32_u24 v14, v1, s34, v2
	s_mov_b32 s36, 0xf800000
	v_mov_b32_e32 v15, 0x260
	v_mov_b32_e32 v16, 0
	s_movk_i32 s37, 0x108
	v_mul_lo_u32 v17, v10, s34
	v_lshlrev_b32_e32 v18, 2, v10
	s_branch .LBB11_189
.LBB11_188:                             ;   in Loop: Header=BB11_189 Depth=1
	s_or_b64 exec, exec, s[10:11]
	s_add_i32 s30, s30, 1
	s_add_i32 s35, s35, 4
	s_cmp_eq_u32 s30, s58
	v_add_u32_e32 v14, 4, v14
	s_waitcnt lgkmcnt(0)
	s_cbranch_scc1 .LBB11_211
.LBB11_189:                             ; =>This Loop Header: Depth=1
                                        ;     Child Loop BB11_200 Depth 2
                                        ;     Child Loop BB11_204 Depth 2
	;; [unrolled: 1-line block ×3, first 2 shown]
	v_cmp_eq_u32_e32 vcc, s30, v0
	s_and_saveexec_b64 s[16:17], vcc
	s_cbranch_execz .LBB11_191
; %bb.190:                              ;   in Loop: Header=BB11_189 Depth=1
	ds_read_b32 v2, v5
	ds_read_b32 v3, v9
	s_waitcnt lgkmcnt(0)
	v_sub_f32_e32 v2, v2, v3
	v_cmp_gt_f32_e32 vcc, 0, v2
	v_cndmask_b32_e64 v2, v2, -v2, vcc
	v_mul_f32_e32 v3, 0x4f800000, v2
	v_cmp_gt_f32_e32 vcc, s36, v2
	v_cndmask_b32_e32 v2, v2, v3, vcc
	v_sqrt_f32_e32 v3, v2
	v_add_u32_e32 v19, -1, v3
	v_add_u32_e32 v20, 1, v3
	v_fma_f32 v21, -v19, v3, v2
	v_fma_f32 v22, -v20, v3, v2
	v_cmp_ge_f32_e64 s[10:11], 0, v21
	v_cndmask_b32_e64 v3, v3, v19, s[10:11]
	v_cmp_lt_f32_e64 s[10:11], 0, v22
	v_cndmask_b32_e64 v3, v3, v20, s[10:11]
	v_mul_f32_e32 v19, 0x37800000, v3
	v_cndmask_b32_e32 v3, v3, v19, vcc
	v_cmp_class_f32_e32 vcc, v2, v15
	v_cndmask_b32_e32 v2, v3, v2, vcc
	ds_write_b32 v5, v2
.LBB11_191:                             ;   in Loop: Header=BB11_189 Depth=1
	s_or_b64 exec, exec, s[16:17]
	s_lshl_b32 s10, s30, 2
	s_mul_i32 s11, s30, 0x84
	s_add_i32 s11, s11, s10
	v_mov_b32_e32 v2, s11
	s_waitcnt lgkmcnt(0)
	ds_read_b32 v19, v2 offset:4224
	v_mov_b32_e32 v2, s10
	v_mad_u32_u24 v2, v0, s34, v2
	ds_read_b32 v3, v2 offset:4224
	s_waitcnt lgkmcnt(1)
	v_cmp_neq_f32_e32 vcc, 0, v19
	s_or_b64 s[10:11], vcc, s[2:3]
	v_cndmask_b32_e32 v19, 1.0, v19, vcc
	s_xor_b64 s[16:17], s[10:11], -1
	s_and_saveexec_b64 s[10:11], s[16:17]
	s_cbranch_execz .LBB11_195
; %bb.192:                              ;   in Loop: Header=BB11_189 Depth=1
	v_mbcnt_lo_u32_b32 v19, exec_lo, 0
	v_mbcnt_hi_u32_b32 v19, exec_hi, v19
	v_cmp_eq_u32_e32 vcc, 0, v19
	s_and_saveexec_b64 s[16:17], vcc
	s_cbranch_execz .LBB11_194
; %bb.193:                              ;   in Loop: Header=BB11_189 Depth=1
	v_mov_b32_e32 v19, s31
	global_atomic_smin v16, v19, s[22:23]
.LBB11_194:                             ;   in Loop: Header=BB11_189 Depth=1
	s_or_b64 exec, exec, s[16:17]
	v_mov_b32_e32 v19, 1.0
.LBB11_195:                             ;   in Loop: Header=BB11_189 Depth=1
	s_or_b64 exec, exec, s[10:11]
	v_cmp_lt_u32_e32 vcc, s30, v0
	s_and_saveexec_b64 s[10:11], vcc
	s_cbranch_execz .LBB11_188
; %bb.196:                              ;   in Loop: Header=BB11_189 Depth=1
	v_lshl_add_u32 v20, s30, 2, v4
	ds_read_b32 v20, v20 offset:8448
	v_add_u32_e32 v22, 0x1080, v2
	s_waitcnt lgkmcnt(0)
	v_sub_f32_e32 v3, v3, v20
	v_div_scale_f32 v20, s[16:17], v19, v19, v3
	v_rcp_f32_e32 v21, v20
	v_div_scale_f32 v2, vcc, v3, v19, v3
	v_fma_f32 v23, -v20, v21, 1.0
	v_fmac_f32_e32 v21, v23, v21
	v_mul_f32_e32 v23, v2, v21
	v_fma_f32 v24, -v20, v23, v2
	v_fmac_f32_e32 v23, v24, v21
	v_fma_f32 v2, -v20, v23, v2
	v_div_fmas_f32 v2, v2, v21, v23
	v_div_fixup_f32 v2, v2, v19, v3
	ds_write_b32 v22, v2
	s_waitcnt lgkmcnt(0)
	s_and_b64 exec, exec, s[0:1]
	s_cbranch_execz .LBB11_188
; %bb.197:                              ;   in Loop: Header=BB11_189 Depth=1
	s_mov_b64 s[24:25], -1
	v_mov_b32_e32 v3, v1
	v_mov_b32_e32 v19, v13
	;; [unrolled: 1-line block ×3, first 2 shown]
	s_and_saveexec_b64 s[16:17], s[12:13]
	s_cbranch_execz .LBB11_208
; %bb.198:                              ;   in Loop: Header=BB11_189 Depth=1
	v_mov_b32_e32 v3, v2
	v_mov_b32_e32 v22, 0
	s_and_saveexec_b64 s[24:25], s[4:5]
	s_cbranch_execz .LBB11_202
; %bb.199:                              ;   in Loop: Header=BB11_189 Depth=1
	s_mov_b32 s38, 0
	s_mov_b64 s[26:27], 0
	v_mov_b32_e32 v19, v12
	v_mov_b32_e32 v20, v7
	;; [unrolled: 1-line block ×3, first 2 shown]
.LBB11_200:                             ;   Parent Loop BB11_189 Depth=1
                                        ; =>  This Inner Loop Header: Depth=2
	ds_read2_b32 v[22:23], v21 offset1:66
	ds_read2_b32 v[24:25], v20 offset1:2
	ds_read2_b32 v[26:27], v20 offset0:4 offset1:6
	ds_read2_b32 v[28:29], v21 offset0:132 offset1:198
	;; [unrolled: 1-line block ×3, first 2 shown]
	v_add_u32_e32 v34, 0x800, v21
	s_waitcnt lgkmcnt(3)
	v_pk_fma_f32 v[22:23], v[2:3], v[22:23], v[24:25]
	ds_write2_b32 v20, v22, v23 offset1:2
	s_waitcnt lgkmcnt(2)
	v_pk_fma_f32 v[22:23], v[2:3], v[28:29], v[26:27]
	ds_write2_b32 v20, v22, v23 offset0:4 offset1:6
	v_add_u32_e32 v24, 0x400, v21
	ds_read2_b32 v[22:23], v24 offset0:8 offset1:74
	ds_read2_b32 v[24:25], v24 offset0:140 offset1:206
	;; [unrolled: 1-line block ×5, first 2 shown]
	v_add_u32_e32 v19, -8, v19
	s_waitcnt lgkmcnt(4)
	v_pk_fma_f32 v[22:23], v[2:3], v[22:23], v[30:31]
	ds_write2_b32 v20, v22, v23 offset0:8 offset1:10
	s_waitcnt lgkmcnt(3)
	v_pk_fma_f32 v[22:23], v[2:3], v[24:25], v[26:27]
	ds_write2_b32 v20, v22, v23 offset0:12 offset1:14
	;; [unrolled: 3-line block ×3, first 2 shown]
	ds_read2_b32 v[22:23], v34 offset0:148 offset1:214
	ds_read2_b32 v[24:25], v20 offset0:20 offset1:22
	v_add_u32_e32 v30, 0xc00, v21
	ds_read2_b32 v[26:27], v30 offset0:24 offset1:90
	ds_read2_b32 v[28:29], v20 offset0:24 offset1:26
	ds_read2_b32 v[30:31], v30 offset0:156 offset1:222
	ds_read2_b32 v[32:33], v20 offset0:28 offset1:30
	s_add_i32 s38, s38, 16
	v_cmp_eq_u32_e32 vcc, 0, v19
	s_waitcnt lgkmcnt(4)
	v_pk_fma_f32 v[22:23], v[2:3], v[22:23], v[24:25]
	ds_write2_b32 v20, v22, v23 offset0:20 offset1:22
	s_waitcnt lgkmcnt(3)
	v_pk_fma_f32 v[22:23], v[2:3], v[26:27], v[28:29]
	ds_write2_b32 v20, v22, v23 offset0:24 offset1:26
	;; [unrolled: 3-line block ×3, first 2 shown]
	v_add_u32_e32 v21, 0x1080, v21
	v_add_u32_e32 v20, 0x80, v20
	s_or_b64 s[26:27], vcc, s[26:27]
	v_mov_b32_e32 v22, s38
	s_andn2_b64 exec, exec, s[26:27]
	s_cbranch_execnz .LBB11_200
; %bb.201:                              ;   in Loop: Header=BB11_189 Depth=1
	s_or_b64 exec, exec, s[26:27]
.LBB11_202:                             ;   in Loop: Header=BB11_189 Depth=1
	s_or_b64 exec, exec, s[24:25]
	s_and_saveexec_b64 s[24:25], s[6:7]
	s_cbranch_execz .LBB11_205
; %bb.203:                              ;   in Loop: Header=BB11_189 Depth=1
	v_lshl_add_u32 v19, v22, 3, v7
	v_mul_lo_u32 v20, v22, s37
	s_mov_b64 s[26:27], 0
	v_mov_b32_e32 v21, v11
.LBB11_204:                             ;   Parent Loop BB11_189 Depth=1
                                        ; =>  This Inner Loop Header: Depth=2
	v_add_u32_e32 v24, v14, v20
	ds_read2_b32 v[22:23], v19 offset1:2
	ds_read2_b32 v[24:25], v24 offset1:66
	v_add_u32_e32 v21, -1, v21
	v_cmp_eq_u32_e32 vcc, 0, v21
	s_or_b64 s[26:27], vcc, s[26:27]
	v_add_u32_e32 v20, 0x210, v20
	s_waitcnt lgkmcnt(0)
	v_pk_fma_f32 v[22:23], v[2:3], v[24:25], v[22:23]
	ds_write2_b32 v19, v22, v23 offset1:2
	v_add_u32_e32 v19, 16, v19
	s_andn2_b64 exec, exec, s[26:27]
	s_cbranch_execnz .LBB11_204
.LBB11_205:                             ;   in Loop: Header=BB11_189 Depth=1
	s_or_b64 exec, exec, s[24:25]
	s_mov_b64 s[24:25], 0
	s_and_saveexec_b64 s[26:27], s[8:9]
; %bb.206:                              ;   in Loop: Header=BB11_189 Depth=1
	s_mov_b64 s[24:25], exec
; %bb.207:                              ;   in Loop: Header=BB11_189 Depth=1
	s_or_b64 exec, exec, s[26:27]
	s_orn2_b64 s[24:25], s[24:25], exec
	v_mov_b32_e32 v3, v10
	v_mov_b32_e32 v19, v17
	;; [unrolled: 1-line block ×3, first 2 shown]
.LBB11_208:                             ;   in Loop: Header=BB11_189 Depth=1
	s_or_b64 exec, exec, s[16:17]
	s_and_b64 exec, exec, s[24:25]
	s_cbranch_execz .LBB11_188
; %bb.209:                              ;   in Loop: Header=BB11_189 Depth=1
	v_add_u32_e32 v19, s35, v19
	v_add_u32_e32 v20, v8, v20
	s_mov_b64 s[16:17], 0
.LBB11_210:                             ;   Parent Loop BB11_189 Depth=1
                                        ; =>  This Inner Loop Header: Depth=2
	ds_read_b32 v21, v19
	ds_read_b32 v22, v20
	v_add_u32_e32 v3, 2, v3
	v_cmp_le_i32_e32 vcc, s58, v3
	v_add_u32_e32 v19, 0x108, v19
	s_or_b64 s[16:17], vcc, s[16:17]
	s_waitcnt lgkmcnt(0)
	v_fmac_f32_e32 v22, v2, v21
	ds_write_b32 v20, v22
	v_add_u32_e32 v20, 8, v20
	s_andn2_b64 exec, exec, s[16:17]
	s_cbranch_execnz .LBB11_210
	s_branch .LBB11_188
.LBB11_211:
	s_and_saveexec_b64 s[2:3], s[0:1]
	s_cbranch_execz .LBB11_220
; %bb.212:
	s_mul_i32 s33, s33, s58
	v_add_u32_e32 v2, s33, v0
	s_cmp_lg_u32 s60, 0
	v_mul_lo_u32 v4, v2, s58
	v_mul_u32_u24_e32 v2, 0x84, v0
	s_movk_i32 s6, 0x1080
	v_cmp_gt_i32_e64 s[0:1], s58, v0
	s_cselect_b64 s[4:5], -1, 0
	v_add3_u32 v5, v2, v6, s6
	s_mov_b64 s[6:7], 0
	v_mov_b32_e32 v6, v1
	s_branch .LBB11_215
.LBB11_213:                             ;   in Loop: Header=BB11_215 Depth=1
	v_ashrrev_i32_e32 v3, 31, v2
	v_lshlrev_b64 v[2:3], 2, v[2:3]
	v_mov_b32_e32 v8, s29
	v_add_co_u32_e32 v2, vcc, s28, v2
	v_addc_co_u32_e32 v3, vcc, v8, v3, vcc
	s_waitcnt lgkmcnt(0)
	global_store_dword v[2:3], v7, off
.LBB11_214:                             ;   in Loop: Header=BB11_215 Depth=1
	s_or_b64 exec, exec, s[8:9]
	v_add_u32_e32 v6, 2, v6
	v_cmp_le_i32_e32 vcc, s58, v6
	s_or_b64 s[6:7], vcc, s[6:7]
	v_add_u32_e32 v5, 8, v5
	s_andn2_b64 exec, exec, s[6:7]
	s_cbranch_execz .LBB11_220
.LBB11_215:                             ; =>This Inner Loop Header: Depth=1
	s_and_saveexec_b64 s[8:9], s[0:1]
	s_cbranch_execz .LBB11_214
; %bb.216:                              ;   in Loop: Header=BB11_215 Depth=1
	ds_read_b32 v7, v5
	s_and_b64 vcc, exec, s[4:5]
	s_cbranch_vccz .LBB11_218
; %bb.217:                              ;   in Loop: Header=BB11_215 Depth=1
	v_add_u32_e32 v2, s33, v6
	v_mad_u64_u32 v[2:3], s[10:11], v2, s58, v[0:1]
	s_cbranch_execnz .LBB11_213
	s_branch .LBB11_219
.LBB11_218:                             ;   in Loop: Header=BB11_215 Depth=1
                                        ; implicit-def: $vgpr2
.LBB11_219:                             ;   in Loop: Header=BB11_215 Depth=1
	v_add_u32_e32 v2, v4, v6
	s_branch .LBB11_213
.LBB11_220:
	s_or_b64 exec, exec, s[2:3]
	v_or_b32_e32 v2, v1, v0
	v_cmp_eq_u32_e64 s[0:1], 0, v2
.LBB11_221:
	s_and_saveexec_b64 s[2:3], s[0:1]
	s_cbranch_execnz .LBB11_229
.LBB11_222:
	s_endpgm
.LBB11_223:
	s_mov_b64 s[0:1], 0
	s_cbranch_execz .LBB11_221
; %bb.224:
	v_or_b32_e32 v0, v1, v0
	v_cmp_eq_u32_e32 vcc, 0, v0
	s_and_saveexec_b64 s[2:3], vcc
	s_cbranch_execz .LBB11_228
; %bb.225:
	v_mbcnt_lo_u32_b32 v0, exec_lo, 0
	v_mbcnt_hi_u32_b32 v0, exec_hi, v0
	v_cmp_eq_u32_e32 vcc, 0, v0
	s_and_saveexec_b64 s[4:5], vcc
	s_cbranch_execz .LBB11_227
; %bb.226:
	s_add_i32 s6, s20, s21
	v_mov_b32_e32 v0, 0
	v_mov_b32_e32 v1, s6
	global_atomic_smin v0, v1, s[22:23]
.LBB11_227:
	s_or_b64 exec, exec, s[4:5]
	s_or_b64 s[0:1], s[0:1], exec
.LBB11_228:
	s_or_b64 exec, exec, s[2:3]
	s_and_saveexec_b64 s[2:3], s[0:1]
	s_cbranch_execz .LBB11_222
.LBB11_229:
	s_add_u32 s0, s18, s14
	s_addc_u32 s1, s19, s15
	v_mov_b32_e32 v0, 0
	v_mov_b32_e32 v1, 1
	s_waitcnt vmcnt(0)
	global_store_dword v0, v1, s[0:1]
	s_endpgm
	.section	.rodata,"a",@progbits
	.p2align	6, 0x0
	.amdhsa_kernel _ZN9rocsparseL19bsric0_17_32_kernelILi64ELi32ELi32EfEEv20rocsparse_direction_iiPKiS3_PT2_S3_PiS3_S6_21rocsparse_index_base_
		.amdhsa_group_segment_fixed_size 13056
		.amdhsa_private_segment_fixed_size 0
		.amdhsa_kernarg_size 76
		.amdhsa_user_sgpr_count 6
		.amdhsa_user_sgpr_private_segment_buffer 1
		.amdhsa_user_sgpr_dispatch_ptr 0
		.amdhsa_user_sgpr_queue_ptr 0
		.amdhsa_user_sgpr_kernarg_segment_ptr 1
		.amdhsa_user_sgpr_dispatch_id 0
		.amdhsa_user_sgpr_flat_scratch_init 0
		.amdhsa_user_sgpr_kernarg_preload_length 0
		.amdhsa_user_sgpr_kernarg_preload_offset 0
		.amdhsa_user_sgpr_private_segment_size 0
		.amdhsa_uses_dynamic_stack 0
		.amdhsa_system_sgpr_private_segment_wavefront_offset 0
		.amdhsa_system_sgpr_workgroup_id_x 1
		.amdhsa_system_sgpr_workgroup_id_y 0
		.amdhsa_system_sgpr_workgroup_id_z 0
		.amdhsa_system_sgpr_workgroup_info 0
		.amdhsa_system_vgpr_workitem_id 1
		.amdhsa_next_free_vgpr 70
		.amdhsa_next_free_sgpr 68
		.amdhsa_accum_offset 72
		.amdhsa_reserve_vcc 1
		.amdhsa_reserve_flat_scratch 0
		.amdhsa_float_round_mode_32 0
		.amdhsa_float_round_mode_16_64 0
		.amdhsa_float_denorm_mode_32 3
		.amdhsa_float_denorm_mode_16_64 3
		.amdhsa_dx10_clamp 1
		.amdhsa_ieee_mode 1
		.amdhsa_fp16_overflow 0
		.amdhsa_tg_split 0
		.amdhsa_exception_fp_ieee_invalid_op 0
		.amdhsa_exception_fp_denorm_src 0
		.amdhsa_exception_fp_ieee_div_zero 0
		.amdhsa_exception_fp_ieee_overflow 0
		.amdhsa_exception_fp_ieee_underflow 0
		.amdhsa_exception_fp_ieee_inexact 0
		.amdhsa_exception_int_div_zero 0
	.end_amdhsa_kernel
	.section	.text._ZN9rocsparseL19bsric0_17_32_kernelILi64ELi32ELi32EfEEv20rocsparse_direction_iiPKiS3_PT2_S3_PiS3_S6_21rocsparse_index_base_,"axG",@progbits,_ZN9rocsparseL19bsric0_17_32_kernelILi64ELi32ELi32EfEEv20rocsparse_direction_iiPKiS3_PT2_S3_PiS3_S6_21rocsparse_index_base_,comdat
.Lfunc_end11:
	.size	_ZN9rocsparseL19bsric0_17_32_kernelILi64ELi32ELi32EfEEv20rocsparse_direction_iiPKiS3_PT2_S3_PiS3_S6_21rocsparse_index_base_, .Lfunc_end11-_ZN9rocsparseL19bsric0_17_32_kernelILi64ELi32ELi32EfEEv20rocsparse_direction_iiPKiS3_PT2_S3_PiS3_S6_21rocsparse_index_base_
                                        ; -- End function
	.section	.AMDGPU.csdata,"",@progbits
; Kernel info:
; codeLenInByte = 7356
; NumSgprs: 72
; NumVgprs: 70
; NumAgprs: 0
; TotalNumVgprs: 70
; ScratchSize: 0
; MemoryBound: 0
; FloatMode: 240
; IeeeMode: 1
; LDSByteSize: 13056 bytes/workgroup (compile time only)
; SGPRBlocks: 8
; VGPRBlocks: 8
; NumSGPRsForWavesPerEU: 72
; NumVGPRsForWavesPerEU: 70
; AccumOffset: 72
; Occupancy: 2
; WaveLimiterHint : 1
; COMPUTE_PGM_RSRC2:SCRATCH_EN: 0
; COMPUTE_PGM_RSRC2:USER_SGPR: 6
; COMPUTE_PGM_RSRC2:TRAP_HANDLER: 0
; COMPUTE_PGM_RSRC2:TGID_X_EN: 1
; COMPUTE_PGM_RSRC2:TGID_Y_EN: 0
; COMPUTE_PGM_RSRC2:TGID_Z_EN: 0
; COMPUTE_PGM_RSRC2:TIDIG_COMP_CNT: 1
; COMPUTE_PGM_RSRC3_GFX90A:ACCUM_OFFSET: 17
; COMPUTE_PGM_RSRC3_GFX90A:TG_SPLIT: 0
	.section	.text._ZN9rocsparseL23bsric0_binsearch_kernelILj64ELj64ELb0EfEEv20rocsparse_direction_iiPKiS3_PT2_S3_PiS3_S6_21rocsparse_index_base_,"axG",@progbits,_ZN9rocsparseL23bsric0_binsearch_kernelILj64ELj64ELb0EfEEv20rocsparse_direction_iiPKiS3_PT2_S3_PiS3_S6_21rocsparse_index_base_,comdat
	.globl	_ZN9rocsparseL23bsric0_binsearch_kernelILj64ELj64ELb0EfEEv20rocsparse_direction_iiPKiS3_PT2_S3_PiS3_S6_21rocsparse_index_base_ ; -- Begin function _ZN9rocsparseL23bsric0_binsearch_kernelILj64ELj64ELb0EfEEv20rocsparse_direction_iiPKiS3_PT2_S3_PiS3_S6_21rocsparse_index_base_
	.p2align	8
	.type	_ZN9rocsparseL23bsric0_binsearch_kernelILj64ELj64ELb0EfEEv20rocsparse_direction_iiPKiS3_PT2_S3_PiS3_S6_21rocsparse_index_base_,@function
_ZN9rocsparseL23bsric0_binsearch_kernelILj64ELj64ELb0EfEEv20rocsparse_direction_iiPKiS3_PT2_S3_PiS3_S6_21rocsparse_index_base_: ; @_ZN9rocsparseL23bsric0_binsearch_kernelILj64ELj64ELb0EfEEv20rocsparse_direction_iiPKiS3_PT2_S3_PiS3_S6_21rocsparse_index_base_
; %bb.0:
	s_load_dwordx8 s[16:23], s[4:5], 0x28
	s_ashr_i32 s7, s6, 31
	s_lshl_b64 s[0:1], s[6:7], 2
	s_waitcnt lgkmcnt(0)
	s_add_u32 s0, s20, s0
	s_addc_u32 s1, s21, s1
	s_load_dword s14, s[0:1], 0x0
	s_waitcnt lgkmcnt(0)
	s_ashr_i32 s15, s14, 31
	s_lshl_b64 s[0:1], s[14:15], 2
	s_add_u32 s0, s16, s0
	s_addc_u32 s1, s17, s1
	s_load_dword s52, s[0:1], 0x0
	s_load_dword s33, s[4:5], 0x48
	v_pk_mov_b32 v[2:3], s[14:15], s[14:15] op_sel:[0,1]
	s_mov_b64 s[0:1], 0
	s_waitcnt lgkmcnt(0)
	s_cmp_lg_u32 s52, -1
	s_cselect_b64 s[2:3], -1, 0
	s_and_saveexec_b64 s[6:7], s[2:3]
	s_xor_b64 s[20:21], exec, s[6:7]
	s_cbranch_execnz .LBB12_4
; %bb.1:
	s_andn2_saveexec_b64 s[2:3], s[20:21]
	s_cbranch_execnz .LBB12_70
.LBB12_2:
	s_or_b64 exec, exec, s[2:3]
	s_and_saveexec_b64 s[2:3], s[0:1]
	s_cbranch_execnz .LBB12_77
.LBB12_3:
	s_endpgm
.LBB12_4:
	s_load_dword s53, s[4:5], 0x8
	s_waitcnt lgkmcnt(0)
	v_cmp_gt_i32_e32 vcc, s53, v0
	s_and_saveexec_b64 s[28:29], vcc
	s_cbranch_execz .LBB12_69
; %bb.5:
	s_load_dwordx4 s[24:27], s[4:5], 0x10
	s_load_dword s6, s[4:5], 0x0
	v_lshlrev_b64 v[4:5], 2, s[14:15]
	v_add_u32_e32 v16, s33, v2
	s_load_dwordx2 s[30:31], s[4:5], 0x20
	s_waitcnt lgkmcnt(0)
	v_mov_b32_e32 v1, s25
	v_add_co_u32_e32 v4, vcc, s24, v4
	v_addc_co_u32_e32 v5, vcc, v1, v5, vcc
	global_load_dwordx2 v[4:5], v[4:5], off
	v_mov_b32_e32 v3, s52
	s_mul_i32 s25, s53, s53
	v_mul_lo_u32 v19, v3, s25
	s_cmp_eq_u32 s6, 0
	v_mov_b32_e32 v20, s27
	s_cselect_b64 s[2:3], -1, 0
	s_cmp_lg_u32 s6, 0
	v_cmp_ne_u32_e64 s[0:1], 0, v0
	s_mov_b64 s[34:35], 0
	v_mov_b32_e32 v17, 0
	s_mov_b32 s54, 0xf800000
	v_mov_b32_e32 v18, 0x260
	s_cselect_b64 s[36:37], -1, 0
	s_waitcnt vmcnt(0)
	v_subrev_u32_e32 v21, s33, v4
	v_xad_u32 v22, s33, -1, v5
	v_add_u32_e32 v2, v22, v21
	v_ashrrev_i32_e32 v2, 1, v2
	v_ashrrev_i32_e32 v3, 31, v2
	v_lshlrev_b64 v[4:5], 2, v[2:3]
	v_mul_lo_u32 v23, s25, v21
	v_add_co_u32_e32 v4, vcc, s26, v4
	v_cmp_gt_i32_e64 s[4:5], s52, v21
	v_cmp_le_i32_e64 s[6:7], s52, v21
	v_cmp_lt_i32_e64 s[8:9], v21, v22
	v_add_u32_e32 v24, v23, v0
	v_addc_co_u32_e32 v5, vcc, v20, v5, vcc
	v_mov_b32_e32 v3, v0
	s_branch .LBB12_7
.LBB12_6:                               ;   in Loop: Header=BB12_7 Depth=1
	v_add_u32_e32 v3, 64, v3
	v_cmp_le_i32_e32 vcc, s53, v3
	s_or_b64 s[34:35], vcc, s[34:35]
	v_add_u32_e32 v24, 64, v24
	s_andn2_b64 exec, exec, s[34:35]
	s_cbranch_execz .LBB12_69
.LBB12_7:                               ; =>This Loop Header: Depth=1
                                        ;     Child Loop BB12_12 Depth 2
                                        ;       Child Loop BB12_15 Depth 3
                                        ;       Child Loop BB12_19 Depth 3
                                        ;         Child Loop BB12_21 Depth 4
                                        ;         Child Loop BB12_28 Depth 4
                                        ;           Child Loop BB12_30 Depth 5
                                        ;           Child Loop BB12_36 Depth 5
                                        ;     Child Loop BB12_43 Depth 2
                                        ;       Child Loop BB12_47 Depth 3
                                        ;       Child Loop BB12_55 Depth 3
                                        ;         Child Loop BB12_57 Depth 4
                                        ;       Child Loop BB12_65 Depth 3
	v_mul_lo_u32 v25, v3, s53
                                        ; implicit-def: $sgpr12
	s_and_saveexec_b64 s[10:11], s[6:7]
	s_xor_b64 s[10:11], exec, s[10:11]
; %bb.8:                                ;   in Loop: Header=BB12_7 Depth=1
	v_mul_lo_u32 v25, v3, s53
	s_mov_b32 s12, 0
; %bb.9:                                ;   in Loop: Header=BB12_7 Depth=1
	s_or_saveexec_b64 s[38:39], s[10:11]
	v_mov_b32_e32 v26, s12
	s_xor_b64 exec, exec, s[38:39]
	s_cbranch_execz .LBB12_40
; %bb.10:                               ;   in Loop: Header=BB12_7 Depth=1
	s_mov_b64 s[40:41], 0
	v_mov_b32_e32 v26, 0
	v_mov_b32_e32 v6, v21
	s_branch .LBB12_12
.LBB12_11:                              ;   in Loop: Header=BB12_12 Depth=2
	s_or_b64 exec, exec, s[42:43]
	v_add_u32_e32 v6, 1, v6
	v_cmp_le_i32_e32 vcc, s52, v6
	s_xor_b64 s[10:11], s[10:11], -1
	s_or_b64 s[10:11], s[10:11], vcc
	s_and_b64 s[10:11], exec, s[10:11]
	s_or_b64 s[40:41], s[10:11], s[40:41]
	s_andn2_b64 exec, exec, s[40:41]
	s_cbranch_execz .LBB12_39
.LBB12_12:                              ;   Parent Loop BB12_7 Depth=1
                                        ; =>  This Loop Header: Depth=2
                                        ;       Child Loop BB12_15 Depth 3
                                        ;       Child Loop BB12_19 Depth 3
                                        ;         Child Loop BB12_21 Depth 4
                                        ;         Child Loop BB12_28 Depth 4
                                        ;           Child Loop BB12_30 Depth 5
                                        ;           Child Loop BB12_36 Depth 5
	v_ashrrev_i32_e32 v7, 31, v6
	v_lshlrev_b64 v[8:9], 2, v[6:7]
	v_add_co_u32_e32 v8, vcc, s26, v8
	v_addc_co_u32_e32 v9, vcc, v20, v9, vcc
	global_load_dword v7, v[8:9], off
	v_mov_b32_e32 v13, s17
	s_waitcnt vmcnt(0)
	v_subrev_u32_e32 v8, s33, v7
	v_ashrrev_i32_e32 v9, 31, v8
	v_lshlrev_b64 v[10:11], 2, v[8:9]
	v_add_co_u32_e32 v12, vcc, s16, v10
	v_addc_co_u32_e32 v13, vcc, v13, v11, vcc
	global_load_dword v27, v[12:13], off
	s_waitcnt vmcnt(0)
	v_cmp_ne_u32_e64 s[10:11], -1, v27
	s_and_saveexec_b64 s[42:43], s[10:11]
	s_cbranch_execz .LBB12_11
; %bb.13:                               ;   in Loop: Header=BB12_12 Depth=2
	v_add_co_u32_e32 v12, vcc, s24, v10
	v_addc_co_u32_e32 v13, vcc, v1, v11, vcc
	global_load_dword v9, v[12:13], off
	v_mov_b32_e32 v12, s19
	v_add_co_u32_e32 v10, vcc, s18, v10
	v_addc_co_u32_e32 v11, vcc, v12, v11, vcc
	global_load_dword v12, v[10:11], off glc
	s_waitcnt vmcnt(0)
	v_cmp_eq_u32_e32 vcc, 0, v12
	s_and_saveexec_b64 s[12:13], vcc
	s_cbranch_execz .LBB12_16
; %bb.14:                               ;   in Loop: Header=BB12_12 Depth=2
	s_mov_b64 s[44:45], 0
.LBB12_15:                              ;   Parent Loop BB12_7 Depth=1
                                        ;     Parent Loop BB12_12 Depth=2
                                        ; =>    This Inner Loop Header: Depth=3
	global_load_dword v12, v[10:11], off glc
	s_waitcnt vmcnt(0)
	v_cmp_ne_u32_e32 vcc, 0, v12
	s_or_b64 s[44:45], vcc, s[44:45]
	s_andn2_b64 exec, exec, s[44:45]
	s_cbranch_execnz .LBB12_15
.LBB12_16:                              ;   in Loop: Header=BB12_12 Depth=2
	s_or_b64 exec, exec, s[12:13]
	v_subrev_u32_e32 v28, s33, v9
	v_mul_lo_u32 v29, v8, s53
	v_mul_lo_u32 v8, v6, s25
	;; [unrolled: 1-line block ×3, first 2 shown]
	v_add_u32_e32 v31, v8, v3
	v_add_u32_e32 v32, v8, v25
	v_cmp_le_i32_e64 s[12:13], v28, v27
	v_mul_lo_u32 v33, s25, v28
	s_mov_b32 s55, 0
	buffer_wbinvl1_vol
	s_branch .LBB12_19
.LBB12_17:                              ;   in Loop: Header=BB12_19 Depth=3
	s_or_b64 exec, exec, s[46:47]
.LBB12_18:                              ;   in Loop: Header=BB12_19 Depth=3
	s_or_b64 exec, exec, s[44:45]
	s_waitcnt vmcnt(0)
	v_sub_f32_e32 v10, v35, v36
	v_div_scale_f32 v11, s[44:45], v34, v34, v10
	v_rcp_f32_e32 v12, v11
	v_div_scale_f32 v13, vcc, v10, v34, v10
	s_add_i32 s55, s55, 1
	v_fma_f32 v14, -v11, v12, 1.0
	v_fmac_f32_e32 v12, v14, v12
	v_mul_f32_e32 v14, v13, v12
	v_fma_f32 v15, -v11, v14, v13
	v_fmac_f32_e32 v14, v15, v12
	v_fma_f32 v11, -v11, v14, v13
	v_div_fmas_f32 v11, v11, v12, v14
	v_div_fixup_f32 v10, v11, v34, v10
	v_fmac_f32_e32 v26, v10, v10
	s_cmp_eq_u32 s55, s53
	v_add_u32_e32 v33, 1, v33
	global_store_dword v[8:9], v10, off
	s_cbranch_scc1 .LBB12_11
.LBB12_19:                              ;   Parent Loop BB12_7 Depth=1
                                        ;     Parent Loop BB12_12 Depth=2
                                        ; =>    This Loop Header: Depth=3
                                        ;         Child Loop BB12_21 Depth 4
                                        ;         Child Loop BB12_28 Depth 4
                                        ;           Child Loop BB12_30 Depth 5
                                        ;           Child Loop BB12_36 Depth 5
	s_mul_i32 s56, s55, s53
	s_add_i32 s44, s56, s55
	v_add_u32_e32 v8, s44, v30
	v_ashrrev_i32_e32 v9, 31, v8
	v_lshlrev_b64 v[8:9], 2, v[8:9]
	v_mov_b32_e32 v10, s31
	v_add_co_u32_e32 v8, vcc, s30, v8
	v_addc_co_u32_e32 v9, vcc, v10, v9, vcc
	global_load_dword v8, v[8:9], off
	s_waitcnt vmcnt(0)
	v_cmp_neq_f32_e32 vcc, 0, v8
	s_or_b64 s[44:45], vcc, s[0:1]
	v_cndmask_b32_e32 v34, 1.0, v8, vcc
	s_xor_b64 s[46:47], s[44:45], -1
	s_and_saveexec_b64 s[44:45], s[46:47]
	s_cbranch_execz .LBB12_25
; %bb.20:                               ;   in Loop: Header=BB12_19 Depth=3
	s_mov_b64 s[46:47], exec
	s_brev_b32 s48, -2
.LBB12_21:                              ;   Parent Loop BB12_7 Depth=1
                                        ;     Parent Loop BB12_12 Depth=2
                                        ;       Parent Loop BB12_19 Depth=3
                                        ; =>      This Inner Loop Header: Depth=4
	s_ff1_i32_b64 s49, s[46:47]
	v_readlane_b32 s57, v7, s49
	s_lshl_b64 s[50:51], 1, s49
	s_min_i32 s48, s48, s57
	s_andn2_b64 s[46:47], s[46:47], s[50:51]
	s_cmp_lg_u64 s[46:47], 0
	s_cbranch_scc1 .LBB12_21
; %bb.22:                               ;   in Loop: Header=BB12_19 Depth=3
	v_mbcnt_lo_u32_b32 v8, exec_lo, 0
	v_mbcnt_hi_u32_b32 v8, exec_hi, v8
	v_cmp_eq_u32_e32 vcc, 0, v8
	s_and_saveexec_b64 s[46:47], vcc
	s_xor_b64 s[46:47], exec, s[46:47]
	s_cbranch_execz .LBB12_24
; %bb.23:                               ;   in Loop: Header=BB12_19 Depth=3
	v_mov_b32_e32 v8, s48
	global_atomic_smin v17, v8, s[22:23]
.LBB12_24:                              ;   in Loop: Header=BB12_19 Depth=3
	s_or_b64 exec, exec, s[46:47]
	v_mov_b32_e32 v34, 1.0
.LBB12_25:                              ;   in Loop: Header=BB12_19 Depth=3
	s_or_b64 exec, exec, s[44:45]
	v_add_u32_e32 v8, s56, v31
	v_add_u32_e32 v9, s55, v32
	v_cndmask_b32_e64 v8, v8, v9, s[2:3]
	v_ashrrev_i32_e32 v9, 31, v8
	v_lshlrev_b64 v[8:9], 2, v[8:9]
	v_mov_b32_e32 v10, s31
	v_add_co_u32_e32 v8, vcc, s30, v8
	v_addc_co_u32_e32 v9, vcc, v10, v9, vcc
	global_load_dword v35, v[8:9], off
	v_mov_b32_e32 v36, 0
	s_and_saveexec_b64 s[44:45], s[12:13]
	s_cbranch_execz .LBB12_18
; %bb.26:                               ;   in Loop: Header=BB12_19 Depth=3
	global_load_dword v37, v[4:5], off
	v_add_u32_e32 v38, s55, v29
	s_mov_b64 s[46:47], 0
	v_mov_b32_e32 v36, 0
	v_mov_b32_e32 v39, v33
	;; [unrolled: 1-line block ×3, first 2 shown]
	s_branch .LBB12_28
.LBB12_27:                              ;   in Loop: Header=BB12_28 Depth=4
	s_or_b64 exec, exec, s[48:49]
	v_add_u32_e32 v11, 1, v10
	v_cmp_ge_i32_e32 vcc, v10, v27
	v_add_u32_e32 v39, s25, v39
	s_or_b64 s[46:47], vcc, s[46:47]
	v_mov_b32_e32 v10, v11
	s_andn2_b64 exec, exec, s[46:47]
	s_cbranch_execz .LBB12_17
.LBB12_28:                              ;   Parent Loop BB12_7 Depth=1
                                        ;     Parent Loop BB12_12 Depth=2
                                        ;       Parent Loop BB12_19 Depth=3
                                        ; =>      This Loop Header: Depth=4
                                        ;           Child Loop BB12_30 Depth 5
                                        ;           Child Loop BB12_36 Depth 5
	v_ashrrev_i32_e32 v11, 31, v10
	v_lshlrev_b64 v[12:13], 2, v[10:11]
	v_mov_b32_e32 v11, s27
	v_add_co_u32_e32 v12, vcc, s26, v12
	v_addc_co_u32_e32 v13, vcc, v11, v13, vcc
	global_load_dword v11, v[12:13], off
	s_waitcnt vmcnt(1)
	v_mov_b32_e32 v13, v37
	v_mov_b32_e32 v12, v2
	s_and_saveexec_b64 s[48:49], s[8:9]
	s_cbranch_execz .LBB12_32
; %bb.29:                               ;   in Loop: Header=BB12_28 Depth=4
	s_mov_b64 s[50:51], 0
	v_mov_b32_e32 v13, v37
	v_mov_b32_e32 v12, v2
	;; [unrolled: 1-line block ×4, first 2 shown]
.LBB12_30:                              ;   Parent Loop BB12_7 Depth=1
                                        ;     Parent Loop BB12_12 Depth=2
                                        ;       Parent Loop BB12_19 Depth=3
                                        ;         Parent Loop BB12_28 Depth=4
                                        ; =>        This Inner Loop Header: Depth=5
	v_add_u32_e32 v40, 1, v12
	s_waitcnt vmcnt(0)
	v_cmp_lt_i32_e32 vcc, v13, v11
	v_cndmask_b32_e32 v15, v15, v40, vcc
	v_cndmask_b32_e32 v14, v12, v14, vcc
	v_add_u32_e32 v12, v14, v15
	v_ashrrev_i32_e32 v12, 1, v12
	v_ashrrev_i32_e32 v13, 31, v12
	v_lshlrev_b64 v[40:41], 2, v[12:13]
	v_mov_b32_e32 v13, s27
	v_add_co_u32_e32 v40, vcc, s26, v40
	v_addc_co_u32_e32 v41, vcc, v13, v41, vcc
	global_load_dword v13, v[40:41], off
	v_cmp_ge_i32_e32 vcc, v15, v14
	s_or_b64 s[50:51], vcc, s[50:51]
	s_andn2_b64 exec, exec, s[50:51]
	s_cbranch_execnz .LBB12_30
; %bb.31:                               ;   in Loop: Header=BB12_28 Depth=4
	s_or_b64 exec, exec, s[50:51]
.LBB12_32:                              ;   in Loop: Header=BB12_28 Depth=4
	s_or_b64 exec, exec, s[48:49]
	s_waitcnt vmcnt(0)
	v_cmp_eq_u32_e32 vcc, v13, v11
	s_and_saveexec_b64 s[48:49], vcc
	s_cbranch_execz .LBB12_27
; %bb.33:                               ;   in Loop: Header=BB12_28 Depth=4
	v_subrev_u32_e32 v11, s33, v11
	v_mul_lo_u32 v13, v10, s25
	v_mul_lo_u32 v12, v12, s25
	;; [unrolled: 1-line block ×3, first 2 shown]
	v_add_u32_e32 v40, s56, v13
	v_add_u32_e32 v41, v12, v25
	;; [unrolled: 1-line block ×3, first 2 shown]
	s_mov_b32 s57, 0
	v_mov_b32_e32 v43, v39
	s_branch .LBB12_36
.LBB12_34:                              ;   in Loop: Header=BB12_36 Depth=5
	v_ashrrev_i32_e32 v15, 31, v14
	v_lshlrev_b64 v[14:15], 2, v[14:15]
	v_mov_b32_e32 v44, s31
	v_add_co_u32_e32 v14, vcc, s30, v14
	v_ashrrev_i32_e32 v13, 31, v12
	v_addc_co_u32_e32 v15, vcc, v44, v15, vcc
	v_lshlrev_b64 v[12:13], 2, v[12:13]
	v_add_co_u32_e32 v12, vcc, s30, v12
	v_addc_co_u32_e32 v13, vcc, v44, v13, vcc
	global_load_dword v14, v[14:15], off
	s_nop 0
	global_load_dword v12, v[12:13], off
	s_waitcnt vmcnt(0)
	v_fmac_f32_e32 v36, v14, v12
.LBB12_35:                              ;   in Loop: Header=BB12_36 Depth=5
	s_or_b64 exec, exec, s[50:51]
	s_add_i32 s57, s57, 1
	v_add_u32_e32 v42, s53, v42
	s_cmp_lg_u32 s53, s57
	v_add_u32_e32 v43, s53, v43
	s_cbranch_scc0 .LBB12_27
.LBB12_36:                              ;   Parent Loop BB12_7 Depth=1
                                        ;     Parent Loop BB12_12 Depth=2
                                        ;       Parent Loop BB12_19 Depth=3
                                        ;         Parent Loop BB12_28 Depth=4
                                        ; =>        This Inner Loop Header: Depth=5
	v_add_u32_e32 v12, s57, v11
	v_cmp_lt_i32_e32 vcc, v12, v38
	s_and_saveexec_b64 s[50:51], vcc
	s_cbranch_execz .LBB12_35
; %bb.37:                               ;   in Loop: Header=BB12_36 Depth=5
	s_andn2_b64 vcc, exec, s[2:3]
	v_mov_b32_e32 v12, v42
	v_mov_b32_e32 v14, v43
	s_cbranch_vccnz .LBB12_34
; %bb.38:                               ;   in Loop: Header=BB12_36 Depth=5
	v_add_u32_e32 v14, s57, v40
	v_add_u32_e32 v12, s57, v41
	s_branch .LBB12_34
.LBB12_39:                              ;   in Loop: Header=BB12_7 Depth=1
	s_or_b64 exec, exec, s[40:41]
.LBB12_40:                              ;   in Loop: Header=BB12_7 Depth=1
	s_or_b64 exec, exec, s[38:39]
	v_add_u32_e32 v12, v25, v19
	s_mov_b32 s42, 0
	v_mov_b32_e32 v13, v23
	s_branch .LBB12_43
.LBB12_41:                              ;   in Loop: Header=BB12_43 Depth=2
	s_waitcnt vmcnt(0)
	v_sub_f32_e32 v8, v27, v28
	v_div_scale_f32 v9, s[12:13], v15, v15, v8
	v_rcp_f32_e32 v10, v9
	v_div_scale_f32 v11, vcc, v8, v15, v8
	v_fma_f32 v14, -v9, v10, 1.0
	v_fmac_f32_e32 v10, v14, v10
	v_mul_f32_e32 v14, v11, v10
	v_fma_f32 v27, -v9, v14, v11
	v_fmac_f32_e32 v14, v27, v10
	v_fma_f32 v9, -v9, v14, v11
	v_div_fmas_f32 v9, v9, v10, v14
	v_div_fixup_f32 v8, v9, v15, v8
	v_fmac_f32_e32 v26, v8, v8
	global_store_dword v[6:7], v8, off
.LBB12_42:                              ;   in Loop: Header=BB12_43 Depth=2
	s_or_b64 exec, exec, s[10:11]
	s_add_i32 s42, s42, 1
	s_cmp_eq_u32 s42, s53
	v_add_u32_e32 v13, 1, v13
	s_waitcnt vmcnt(0)
	buffer_wbinvl1_vol
	s_cbranch_scc1 .LBB12_6
.LBB12_43:                              ;   Parent Loop BB12_7 Depth=1
                                        ; =>  This Loop Header: Depth=2
                                        ;       Child Loop BB12_47 Depth 3
                                        ;       Child Loop BB12_55 Depth 3
                                        ;         Child Loop BB12_57 Depth 4
                                        ;       Child Loop BB12_65 Depth 3
	s_mul_i32 s43, s42, s53
	v_add_u32_e32 v14, s43, v19
	v_add_u32_e32 v6, s42, v14
	v_ashrrev_i32_e32 v7, 31, v6
	v_cmp_eq_u32_e32 vcc, s42, v3
	v_lshlrev_b64 v[6:7], 2, v[6:7]
	s_and_saveexec_b64 s[12:13], vcc
	s_cbranch_execz .LBB12_45
; %bb.44:                               ;   in Loop: Header=BB12_43 Depth=2
	v_mov_b32_e32 v9, s31
	v_add_co_u32_e32 v8, vcc, s30, v6
	v_addc_co_u32_e32 v9, vcc, v9, v7, vcc
	global_load_dword v10, v[8:9], off
	s_waitcnt vmcnt(0)
	v_sub_f32_e32 v10, v10, v26
	v_cmp_gt_f32_e32 vcc, 0, v10
	v_cndmask_b32_e64 v10, v10, -v10, vcc
	v_mul_f32_e32 v11, 0x4f800000, v10
	v_cmp_gt_f32_e32 vcc, s54, v10
	v_cndmask_b32_e32 v10, v10, v11, vcc
	v_sqrt_f32_e32 v11, v10
	v_add_u32_e32 v15, -1, v11
	v_add_u32_e32 v27, 1, v11
	v_fma_f32 v28, -v15, v11, v10
	v_fma_f32 v29, -v27, v11, v10
	v_cmp_ge_f32_e64 s[10:11], 0, v28
	v_cndmask_b32_e64 v11, v11, v15, s[10:11]
	v_cmp_lt_f32_e64 s[10:11], 0, v29
	v_cndmask_b32_e64 v11, v11, v27, s[10:11]
	v_mul_f32_e32 v15, 0x37800000, v11
	v_cndmask_b32_e32 v11, v11, v15, vcc
	v_cmp_class_f32_e32 vcc, v10, v18
	v_cndmask_b32_e32 v10, v11, v10, vcc
	global_store_dword v[8:9], v10, off
.LBB12_45:                              ;   in Loop: Header=BB12_43 Depth=2
	s_or_b64 exec, exec, s[12:13]
	v_mov_b32_e32 v8, s31
	v_add_co_u32_e32 v6, vcc, s30, v6
	v_addc_co_u32_e32 v7, vcc, v8, v7, vcc
	s_waitcnt vmcnt(0)
	buffer_wbinvl1_vol
	global_load_dword v6, v[6:7], off
	s_waitcnt vmcnt(0)
	v_cmp_neq_f32_e32 vcc, 0, v6
	s_or_b64 s[10:11], vcc, s[0:1]
	v_cndmask_b32_e32 v15, 1.0, v6, vcc
	s_xor_b64 s[12:13], s[10:11], -1
	s_and_saveexec_b64 s[10:11], s[12:13]
	s_cbranch_execz .LBB12_51
; %bb.46:                               ;   in Loop: Header=BB12_43 Depth=2
	s_mov_b64 s[12:13], exec
	s_brev_b32 s38, -2
.LBB12_47:                              ;   Parent Loop BB12_7 Depth=1
                                        ;     Parent Loop BB12_43 Depth=2
                                        ; =>    This Inner Loop Header: Depth=3
	s_ff1_i32_b64 s39, s[12:13]
	v_readlane_b32 s44, v16, s39
	s_lshl_b64 s[40:41], 1, s39
	s_min_i32 s38, s38, s44
	s_andn2_b64 s[12:13], s[12:13], s[40:41]
	s_cmp_lg_u64 s[12:13], 0
	s_cbranch_scc1 .LBB12_47
; %bb.48:                               ;   in Loop: Header=BB12_43 Depth=2
	v_mbcnt_lo_u32_b32 v6, exec_lo, 0
	v_mbcnt_hi_u32_b32 v6, exec_hi, v6
	v_cmp_eq_u32_e32 vcc, 0, v6
	s_and_saveexec_b64 s[12:13], vcc
	s_xor_b64 s[12:13], exec, s[12:13]
	s_cbranch_execz .LBB12_50
; %bb.49:                               ;   in Loop: Header=BB12_43 Depth=2
	v_mov_b32_e32 v6, s38
	global_atomic_smin v17, v6, s[22:23]
.LBB12_50:                              ;   in Loop: Header=BB12_43 Depth=2
	s_or_b64 exec, exec, s[12:13]
	v_mov_b32_e32 v15, 1.0
.LBB12_51:                              ;   in Loop: Header=BB12_43 Depth=2
	s_or_b64 exec, exec, s[10:11]
	v_cmp_lt_i32_e32 vcc, s42, v3
	s_and_saveexec_b64 s[10:11], vcc
	s_cbranch_execz .LBB12_42
; %bb.52:                               ;   in Loop: Header=BB12_43 Depth=2
	v_add_u32_e32 v6, v14, v3
	v_add_u32_e32 v7, s42, v12
	v_cndmask_b32_e64 v6, v6, v7, s[2:3]
	v_ashrrev_i32_e32 v7, 31, v6
	v_lshlrev_b64 v[6:7], 2, v[6:7]
	v_mov_b32_e32 v8, s31
	v_add_co_u32_e32 v6, vcc, s30, v6
	v_addc_co_u32_e32 v7, vcc, v8, v7, vcc
	global_load_dword v27, v[6:7], off
	v_mov_b32_e32 v28, 0
	s_and_saveexec_b64 s[12:13], s[4:5]
	s_cbranch_execz .LBB12_62
; %bb.53:                               ;   in Loop: Header=BB12_43 Depth=2
	s_mov_b64 s[38:39], 0
	v_mov_b32_e32 v28, 0
	v_mov_b32_e32 v29, v13
	;; [unrolled: 1-line block ×4, first 2 shown]
	s_branch .LBB12_55
.LBB12_54:                              ;   in Loop: Header=BB12_55 Depth=3
	v_add_u32_e32 v31, 1, v31
	v_cmp_le_i32_e32 vcc, s52, v31
	v_add_u32_e32 v30, s25, v30
	s_or_b64 s[38:39], vcc, s[38:39]
	v_add_u32_e32 v29, s25, v29
	s_andn2_b64 exec, exec, s[38:39]
	s_cbranch_execz .LBB12_61
.LBB12_55:                              ;   Parent Loop BB12_7 Depth=1
                                        ;     Parent Loop BB12_43 Depth=2
                                        ; =>    This Loop Header: Depth=3
                                        ;         Child Loop BB12_57 Depth 4
	v_mul_lo_u32 v8, v31, s25
	v_add_u32_e32 v32, s43, v8
	v_add_u32_e32 v33, v8, v25
	s_mov_b32 s44, 0
	s_mov_b32 s45, s53
	;; [unrolled: 1-line block ×3, first 2 shown]
	s_branch .LBB12_57
.LBB12_56:                              ;   in Loop: Header=BB12_57 Depth=4
	v_ashrrev_i32_e32 v11, 31, v10
	v_lshlrev_b64 v[10:11], 2, v[10:11]
	v_mov_b32_e32 v34, s31
	v_add_co_u32_e32 v10, vcc, s30, v10
	v_ashrrev_i32_e32 v9, 31, v8
	v_addc_co_u32_e32 v11, vcc, v34, v11, vcc
	v_lshlrev_b64 v[8:9], 2, v[8:9]
	v_add_co_u32_e32 v8, vcc, s30, v8
	v_addc_co_u32_e32 v9, vcc, v34, v9, vcc
	global_load_dword v34, v[10:11], off
	global_load_dword v35, v[8:9], off
	s_add_i32 s46, s46, 1
	s_add_i32 s44, s44, s53
	s_add_i32 s45, s45, -1
	s_cmp_eq_u32 s45, 0
	s_waitcnt vmcnt(0)
	v_fmac_f32_e32 v28, v34, v35
	s_cbranch_scc1 .LBB12_54
.LBB12_57:                              ;   Parent Loop BB12_7 Depth=1
                                        ;     Parent Loop BB12_43 Depth=2
                                        ;       Parent Loop BB12_55 Depth=3
                                        ; =>      This Inner Loop Header: Depth=4
	s_and_b64 vcc, exec, s[36:37]
	s_cbranch_vccz .LBB12_59
; %bb.58:                               ;   in Loop: Header=BB12_57 Depth=4
	v_add_u32_e32 v10, s44, v29
	v_add_u32_e32 v8, s44, v30
	s_cbranch_execnz .LBB12_56
	s_branch .LBB12_60
.LBB12_59:                              ;   in Loop: Header=BB12_57 Depth=4
                                        ; implicit-def: $vgpr10
                                        ; implicit-def: $vgpr8
.LBB12_60:                              ;   in Loop: Header=BB12_57 Depth=4
	v_add_u32_e32 v10, s46, v32
	v_add_u32_e32 v8, s46, v33
	s_branch .LBB12_56
.LBB12_61:                              ;   in Loop: Header=BB12_43 Depth=2
	s_or_b64 exec, exec, s[38:39]
.LBB12_62:                              ;   in Loop: Header=BB12_43 Depth=2
	s_or_b64 exec, exec, s[12:13]
	s_cmp_eq_u32 s42, 0
	s_cbranch_scc1 .LBB12_41
; %bb.63:                               ;   in Loop: Header=BB12_43 Depth=2
	s_mov_b32 s38, 0
	v_mov_b32_e32 v29, v19
	s_branch .LBB12_65
.LBB12_64:                              ;   in Loop: Header=BB12_65 Depth=3
	v_ashrrev_i32_e32 v11, 31, v10
	v_lshlrev_b64 v[10:11], 2, v[10:11]
	v_mov_b32_e32 v30, s31
	v_add_co_u32_e32 v10, vcc, s30, v10
	v_ashrrev_i32_e32 v9, 31, v8
	v_addc_co_u32_e32 v11, vcc, v30, v11, vcc
	v_lshlrev_b64 v[8:9], 2, v[8:9]
	v_add_co_u32_e32 v8, vcc, s30, v8
	v_addc_co_u32_e32 v9, vcc, v30, v9, vcc
	global_load_dword v30, v[10:11], off
	global_load_dword v31, v[8:9], off
	s_add_i32 s38, s38, 1
	s_cmp_ge_u32 s38, s42
	v_add_u32_e32 v29, s53, v29
	s_waitcnt vmcnt(0)
	v_fmac_f32_e32 v28, v30, v31
	s_cbranch_scc1 .LBB12_41
.LBB12_65:                              ;   Parent Loop BB12_7 Depth=1
                                        ;     Parent Loop BB12_43 Depth=2
                                        ; =>    This Inner Loop Header: Depth=3
	s_and_b64 vcc, exec, s[36:37]
	s_cbranch_vccz .LBB12_67
; %bb.66:                               ;   in Loop: Header=BB12_65 Depth=3
	v_add_u32_e32 v10, s42, v29
	v_add_u32_e32 v8, v3, v29
	s_cbranch_execnz .LBB12_64
	s_branch .LBB12_68
.LBB12_67:                              ;   in Loop: Header=BB12_65 Depth=3
                                        ; implicit-def: $vgpr10
                                        ; implicit-def: $vgpr8
.LBB12_68:                              ;   in Loop: Header=BB12_65 Depth=3
	v_add_u32_e32 v10, s38, v14
	v_add_u32_e32 v8, s38, v12
	s_branch .LBB12_64
.LBB12_69:
	s_or_b64 exec, exec, s[28:29]
	v_cmp_eq_u32_e32 vcc, 63, v0
	s_and_b64 s[0:1], vcc, exec
                                        ; implicit-def: $vgpr0
                                        ; implicit-def: $vgpr2_vgpr3
	s_andn2_saveexec_b64 s[2:3], s[20:21]
	s_cbranch_execz .LBB12_2
.LBB12_70:
	v_cmp_eq_u32_e32 vcc, 63, v0
	s_mov_b64 s[6:7], s[0:1]
	s_and_saveexec_b64 s[4:5], vcc
	s_cbranch_execz .LBB12_76
; %bb.71:
	s_mov_b64 s[6:7], exec
	v_add_u32_e32 v0, s33, v2
	s_brev_b32 s8, -2
.LBB12_72:                              ; =>This Inner Loop Header: Depth=1
	s_ff1_i32_b64 s9, s[6:7]
	v_readlane_b32 s12, v0, s9
	s_lshl_b64 s[10:11], 1, s9
	s_min_i32 s8, s8, s12
	s_andn2_b64 s[6:7], s[6:7], s[10:11]
	s_cmp_lg_u64 s[6:7], 0
	s_cbranch_scc1 .LBB12_72
; %bb.73:
	v_mbcnt_lo_u32_b32 v0, exec_lo, 0
	v_mbcnt_hi_u32_b32 v0, exec_hi, v0
	v_cmp_eq_u32_e32 vcc, 0, v0
	s_and_saveexec_b64 s[6:7], vcc
	s_xor_b64 s[6:7], exec, s[6:7]
	s_cbranch_execz .LBB12_75
; %bb.74:
	v_mov_b32_e32 v0, 0
	v_mov_b32_e32 v1, s8
	global_atomic_smin v0, v1, s[22:23]
.LBB12_75:
	s_or_b64 exec, exec, s[6:7]
	s_or_b64 s[6:7], s[0:1], exec
.LBB12_76:
	s_or_b64 exec, exec, s[4:5]
	s_andn2_b64 s[0:1], s[0:1], exec
	s_and_b64 s[4:5], s[6:7], exec
	s_or_b64 s[0:1], s[0:1], s[4:5]
	s_or_b64 exec, exec, s[2:3]
	s_and_saveexec_b64 s[2:3], s[0:1]
	s_cbranch_execz .LBB12_3
.LBB12_77:
	v_lshlrev_b64 v[0:1], 2, s[14:15]
	v_mov_b32_e32 v2, s19
	v_add_co_u32_e32 v0, vcc, s18, v0
	v_addc_co_u32_e32 v1, vcc, v2, v1, vcc
	v_mov_b32_e32 v2, 1
	s_waitcnt vmcnt(0)
	global_store_dword v[0:1], v2, off
	s_endpgm
	.section	.rodata,"a",@progbits
	.p2align	6, 0x0
	.amdhsa_kernel _ZN9rocsparseL23bsric0_binsearch_kernelILj64ELj64ELb0EfEEv20rocsparse_direction_iiPKiS3_PT2_S3_PiS3_S6_21rocsparse_index_base_
		.amdhsa_group_segment_fixed_size 0
		.amdhsa_private_segment_fixed_size 0
		.amdhsa_kernarg_size 76
		.amdhsa_user_sgpr_count 6
		.amdhsa_user_sgpr_private_segment_buffer 1
		.amdhsa_user_sgpr_dispatch_ptr 0
		.amdhsa_user_sgpr_queue_ptr 0
		.amdhsa_user_sgpr_kernarg_segment_ptr 1
		.amdhsa_user_sgpr_dispatch_id 0
		.amdhsa_user_sgpr_flat_scratch_init 0
		.amdhsa_user_sgpr_kernarg_preload_length 0
		.amdhsa_user_sgpr_kernarg_preload_offset 0
		.amdhsa_user_sgpr_private_segment_size 0
		.amdhsa_uses_dynamic_stack 0
		.amdhsa_system_sgpr_private_segment_wavefront_offset 0
		.amdhsa_system_sgpr_workgroup_id_x 1
		.amdhsa_system_sgpr_workgroup_id_y 0
		.amdhsa_system_sgpr_workgroup_id_z 0
		.amdhsa_system_sgpr_workgroup_info 0
		.amdhsa_system_vgpr_workitem_id 0
		.amdhsa_next_free_vgpr 45
		.amdhsa_next_free_sgpr 58
		.amdhsa_accum_offset 48
		.amdhsa_reserve_vcc 1
		.amdhsa_reserve_flat_scratch 0
		.amdhsa_float_round_mode_32 0
		.amdhsa_float_round_mode_16_64 0
		.amdhsa_float_denorm_mode_32 3
		.amdhsa_float_denorm_mode_16_64 3
		.amdhsa_dx10_clamp 1
		.amdhsa_ieee_mode 1
		.amdhsa_fp16_overflow 0
		.amdhsa_tg_split 0
		.amdhsa_exception_fp_ieee_invalid_op 0
		.amdhsa_exception_fp_denorm_src 0
		.amdhsa_exception_fp_ieee_div_zero 0
		.amdhsa_exception_fp_ieee_overflow 0
		.amdhsa_exception_fp_ieee_underflow 0
		.amdhsa_exception_fp_ieee_inexact 0
		.amdhsa_exception_int_div_zero 0
	.end_amdhsa_kernel
	.section	.text._ZN9rocsparseL23bsric0_binsearch_kernelILj64ELj64ELb0EfEEv20rocsparse_direction_iiPKiS3_PT2_S3_PiS3_S6_21rocsparse_index_base_,"axG",@progbits,_ZN9rocsparseL23bsric0_binsearch_kernelILj64ELj64ELb0EfEEv20rocsparse_direction_iiPKiS3_PT2_S3_PiS3_S6_21rocsparse_index_base_,comdat
.Lfunc_end12:
	.size	_ZN9rocsparseL23bsric0_binsearch_kernelILj64ELj64ELb0EfEEv20rocsparse_direction_iiPKiS3_PT2_S3_PiS3_S6_21rocsparse_index_base_, .Lfunc_end12-_ZN9rocsparseL23bsric0_binsearch_kernelILj64ELj64ELb0EfEEv20rocsparse_direction_iiPKiS3_PT2_S3_PiS3_S6_21rocsparse_index_base_
                                        ; -- End function
	.section	.AMDGPU.csdata,"",@progbits
; Kernel info:
; codeLenInByte = 2628
; NumSgprs: 62
; NumVgprs: 45
; NumAgprs: 0
; TotalNumVgprs: 45
; ScratchSize: 0
; MemoryBound: 0
; FloatMode: 240
; IeeeMode: 1
; LDSByteSize: 0 bytes/workgroup (compile time only)
; SGPRBlocks: 7
; VGPRBlocks: 5
; NumSGPRsForWavesPerEU: 62
; NumVGPRsForWavesPerEU: 45
; AccumOffset: 48
; Occupancy: 8
; WaveLimiterHint : 1
; COMPUTE_PGM_RSRC2:SCRATCH_EN: 0
; COMPUTE_PGM_RSRC2:USER_SGPR: 6
; COMPUTE_PGM_RSRC2:TRAP_HANDLER: 0
; COMPUTE_PGM_RSRC2:TGID_X_EN: 1
; COMPUTE_PGM_RSRC2:TGID_Y_EN: 0
; COMPUTE_PGM_RSRC2:TGID_Z_EN: 0
; COMPUTE_PGM_RSRC2:TIDIG_COMP_CNT: 0
; COMPUTE_PGM_RSRC3_GFX90A:ACCUM_OFFSET: 11
; COMPUTE_PGM_RSRC3_GFX90A:TG_SPLIT: 0
	.section	.text._ZN9rocsparseL17bsric0_2_8_kernelILi64ELi64ELi8EfEEv20rocsparse_direction_iiPKiS3_PT2_S3_PiS3_S6_21rocsparse_index_base_,"axG",@progbits,_ZN9rocsparseL17bsric0_2_8_kernelILi64ELi64ELi8EfEEv20rocsparse_direction_iiPKiS3_PT2_S3_PiS3_S6_21rocsparse_index_base_,comdat
	.globl	_ZN9rocsparseL17bsric0_2_8_kernelILi64ELi64ELi8EfEEv20rocsparse_direction_iiPKiS3_PT2_S3_PiS3_S6_21rocsparse_index_base_ ; -- Begin function _ZN9rocsparseL17bsric0_2_8_kernelILi64ELi64ELi8EfEEv20rocsparse_direction_iiPKiS3_PT2_S3_PiS3_S6_21rocsparse_index_base_
	.p2align	8
	.type	_ZN9rocsparseL17bsric0_2_8_kernelILi64ELi64ELi8EfEEv20rocsparse_direction_iiPKiS3_PT2_S3_PiS3_S6_21rocsparse_index_base_,@function
_ZN9rocsparseL17bsric0_2_8_kernelILi64ELi64ELi8EfEEv20rocsparse_direction_iiPKiS3_PT2_S3_PiS3_S6_21rocsparse_index_base_: ; @_ZN9rocsparseL17bsric0_2_8_kernelILi64ELi64ELi8EfEEv20rocsparse_direction_iiPKiS3_PT2_S3_PiS3_S6_21rocsparse_index_base_
; %bb.0:
	s_load_dwordx8 s[8:15], s[4:5], 0x28
	s_mov_b32 s7, 0
	s_lshl_b64 s[0:1], s[6:7], 2
	v_and_b32_e32 v12, 0x3ff, v0
	v_bfe_u32 v13, v0, 10, 10
	s_waitcnt lgkmcnt(0)
	s_add_u32 s0, s12, s0
	s_addc_u32 s1, s13, s1
	s_load_dword s20, s[0:1], 0x0
	s_waitcnt lgkmcnt(0)
	s_ashr_i32 s21, s20, 31
	s_lshl_b64 s[12:13], s[20:21], 2
	s_add_u32 s0, s8, s12
	s_addc_u32 s1, s9, s13
	s_load_dword s33, s[0:1], 0x0
	s_load_dword s21, s[4:5], 0x48
	s_waitcnt lgkmcnt(0)
	s_cmp_lg_u32 s33, -1
	s_cbranch_scc0 .LBB13_106
; %bb.1:
	s_load_dwordx4 s[16:19], s[4:5], 0x10
	s_load_dwordx2 s[22:23], s[4:5], 0x20
	v_lshlrev_b32_e32 v1, 3, v13
	v_add_u32_e32 v2, v1, v12
	s_waitcnt lgkmcnt(0)
	s_add_u32 s0, s16, s12
	s_addc_u32 s1, s17, s13
	s_load_dword s26, s[0:1], 0x0
	s_waitcnt lgkmcnt(0)
	s_sub_i32 s44, s26, s21
	v_add_u32_e32 v0, s44, v2
	v_cmp_ge_i32_e32 vcc, s33, v0
	s_and_saveexec_b64 s[0:1], vcc
	s_cbranch_execz .LBB13_14
; %bb.2:
	v_add_u32_e32 v2, s26, v2
	v_subrev_u32_e32 v2, s21, v2
	v_add_u32_e32 v2, 64, v2
	s_add_i32 s2, s33, 1
	v_max_i32_e32 v2, s2, v2
	v_not_b32_e32 v3, v12
	v_add3_u32 v2, v2, s21, v3
	v_add_u32_e32 v1, s26, v1
	v_sub_u32_e32 v1, v2, v1
	v_cmp_lt_u32_e32 vcc, 63, v1
	s_mov_b64 s[6:7], -1
	s_and_saveexec_b64 s[2:3], vcc
	s_cbranch_execz .LBB13_11
; %bb.3:
	v_lshrrev_b32_e32 v14, 6, v1
	v_add_u32_e32 v2, -1, v14
	v_add_u32_e32 v1, 64, v0
	v_lshrrev_b32_e32 v3, 1, v2
	v_add_u32_e32 v15, 1, v3
	v_cmp_lt_u32_e32 vcc, 13, v2
	v_pk_mov_b32 v[2:3], v[0:1], v[0:1] op_sel:[0,1]
	s_and_saveexec_b64 s[6:7], vcc
	s_cbranch_execz .LBB13_7
; %bb.4:
	v_and_b32_e32 v16, -8, v15
	s_mov_b64 s[24:25], 0
	v_mov_b32_e32 v17, s19
	v_pk_mov_b32 v[2:3], v[0:1], v[0:1] op_sel:[0,1]
.LBB13_5:                               ; =>This Inner Loop Header: Depth=1
	v_ashrrev_i32_e32 v21, 31, v2
	v_mov_b32_e32 v20, v2
	v_lshlrev_b64 v[20:21], 2, v[20:21]
	v_ashrrev_i32_e32 v19, 31, v3
	v_mov_b32_e32 v18, v3
	v_add_co_u32_e32 v20, vcc, s18, v20
	v_add_u32_e32 v4, 0x80, v2
	v_lshlrev_b64 v[18:19], 2, v[18:19]
	v_addc_co_u32_e32 v21, vcc, v17, v21, vcc
	v_ashrrev_i32_e32 v5, 31, v4
	v_add_co_u32_e32 v18, vcc, s18, v18
	v_add_u32_e32 v6, 0x80, v3
	v_addc_co_u32_e32 v19, vcc, v17, v19, vcc
	v_lshlrev_b64 v[40:41], 2, v[4:5]
	v_ashrrev_i32_e32 v7, 31, v6
	v_add_co_u32_e32 v40, vcc, s18, v40
	v_add_u32_e32 v8, 0x100, v2
	v_lshlrev_b64 v[42:43], 2, v[6:7]
	v_addc_co_u32_e32 v41, vcc, v17, v41, vcc
	v_ashrrev_i32_e32 v9, 31, v8
	v_add_co_u32_e32 v42, vcc, s18, v42
	v_add_u32_e32 v10, 0x100, v3
	v_lshlrev_b64 v[44:45], 2, v[8:9]
	v_addc_co_u32_e32 v43, vcc, v17, v43, vcc
	;; [unrolled: 5-line block ×11, first 2 shown]
	v_ashrrev_i32_e32 v39, 31, v38
	v_add_co_u32_e32 v62, vcc, s18, v62
	v_addc_co_u32_e32 v63, vcc, v17, v63, vcc
	v_lshlrev_b64 v[64:65], 2, v[38:39]
	v_add_u32_e32 v66, 0x380, v3
	v_add_co_u32_e32 v64, vcc, s18, v64
	v_ashrrev_i32_e32 v67, 31, v66
	v_addc_co_u32_e32 v65, vcc, v17, v65, vcc
	v_lshlrev_b64 v[68:69], 2, v[66:67]
	v_add_co_u32_e32 v68, vcc, s18, v68
	v_addc_co_u32_e32 v69, vcc, v17, v69, vcc
	global_load_dword v1, v[18:19], off
	global_load_dword v5, v[20:21], off
	;; [unrolled: 1-line block ×15, first 2 shown]
                                        ; kill: killed $vgpr60 killed $vgpr61
                                        ; kill: killed $vgpr58 killed $vgpr59
                                        ; kill: killed $vgpr18 killed $vgpr19
                                        ; kill: killed $vgpr54 killed $vgpr55
                                        ; kill: killed $vgpr56 killed $vgpr57
                                        ; kill: killed $vgpr20 killed $vgpr21
                                        ; kill: killed $vgpr50 killed $vgpr51
                                        ; kill: killed $vgpr52 killed $vgpr53
                                        ; kill: killed $vgpr46 killed $vgpr47
                                        ; kill: killed $vgpr48 killed $vgpr49
                                        ; kill: killed $vgpr42 killed $vgpr43
                                        ; kill: killed $vgpr44 killed $vgpr45
                                        ; kill: killed $vgpr68 killed $vgpr69
                                        ; kill: killed $vgpr40 killed $vgpr41
                                        ; kill: killed $vgpr62 killed $vgpr63
	global_load_dword v18, v[64:65], off
	v_subrev_u32_e32 v20, s44, v2
	v_add_u32_e32 v16, -8, v16
	v_subrev_u32_e32 v19, s44, v3
	v_lshlrev_b32_e32 v20, 2, v20
	v_subrev_u32_e32 v4, s44, v4
	v_cmp_eq_u32_e32 vcc, 0, v16
	v_add_u32_e32 v3, 0x400, v3
	v_add_u32_e32 v2, 0x400, v2
	v_lshlrev_b32_e32 v19, 2, v19
	v_subrev_u32_e32 v6, s44, v6
	v_subrev_u32_e32 v10, s44, v10
	;; [unrolled: 1-line block ×13, first 2 shown]
	v_lshlrev_b32_e32 v4, 2, v4
	s_or_b64 s[24:25], vcc, s[24:25]
	v_lshlrev_b32_e32 v6, 2, v6
	v_lshlrev_b32_e32 v8, 2, v8
	;; [unrolled: 1-line block ×13, first 2 shown]
	s_waitcnt vmcnt(15)
	v_subrev_u32_e32 v1, s21, v1
	s_waitcnt vmcnt(14)
	v_subrev_u32_e32 v5, s21, v5
	ds_write_b32 v20, v5 offset:1664
	ds_write_b32 v19, v1 offset:1664
	s_waitcnt vmcnt(12)
	v_subrev_u32_e32 v5, s21, v9
	v_subrev_u32_e32 v1, s21, v7
	s_waitcnt vmcnt(11)
	v_subrev_u32_e32 v7, s21, v11
	s_waitcnt vmcnt(10)
	;; [unrolled: 2-line block ×12, first 2 shown]
	v_subrev_u32_e32 v18, s21, v18
	ds_write_b32 v4, v5 offset:1664
	ds_write_b32 v6, v1 offset:1664
	;; [unrolled: 1-line block ×14, first 2 shown]
	s_andn2_b64 exec, exec, s[24:25]
	s_cbranch_execnz .LBB13_5
; %bb.6:
	s_or_b64 exec, exec, s[24:25]
.LBB13_7:
	s_or_b64 exec, exec, s[6:7]
	v_and_b32_e32 v1, 7, v15
	v_cmp_ne_u32_e32 vcc, 0, v1
	s_and_saveexec_b64 s[6:7], vcc
	s_cbranch_execz .LBB13_10
; %bb.8:
	s_mov_b64 s[24:25], 0
	v_mov_b32_e32 v4, s19
.LBB13_9:                               ; =>This Inner Loop Header: Depth=1
	v_ashrrev_i32_e32 v9, 31, v2
	v_mov_b32_e32 v8, v2
	v_lshlrev_b64 v[8:9], 2, v[8:9]
	v_ashrrev_i32_e32 v7, 31, v3
	v_mov_b32_e32 v6, v3
	v_add_co_u32_e32 v8, vcc, s18, v8
	v_lshlrev_b64 v[6:7], 2, v[6:7]
	v_addc_co_u32_e32 v9, vcc, v4, v9, vcc
	v_add_co_u32_e32 v6, vcc, s18, v6
	v_addc_co_u32_e32 v7, vcc, v4, v7, vcc
	global_load_dword v5, v[6:7], off
	global_load_dword v10, v[8:9], off
	v_add_u32_e32 v1, -1, v1
	v_subrev_u32_e32 v7, s44, v2
	v_cmp_eq_u32_e32 vcc, 0, v1
	v_subrev_u32_e32 v6, s44, v3
	v_add_u32_e32 v3, 0x80, v3
	v_add_u32_e32 v2, 0x80, v2
	v_lshlrev_b32_e32 v7, 2, v7
	s_or_b64 s[24:25], vcc, s[24:25]
	v_lshlrev_b32_e32 v6, 2, v6
	s_waitcnt vmcnt(1)
	v_subrev_u32_e32 v5, s21, v5
	s_waitcnt vmcnt(0)
	v_subrev_u32_e32 v8, s21, v10
	ds_write_b32 v7, v8 offset:1664
	ds_write_b32 v6, v5 offset:1664
	s_andn2_b64 exec, exec, s[24:25]
	s_cbranch_execnz .LBB13_9
.LBB13_10:
	s_or_b64 exec, exec, s[6:7]
	v_add_u32_e32 v1, 1, v14
	v_and_b32_e32 v2, 0x7fffffe, v1
	v_cmp_ne_u32_e32 vcc, v1, v2
	v_lshl_add_u32 v0, v2, 6, v0
	s_orn2_b64 s[6:7], vcc, exec
.LBB13_11:
	s_or_b64 exec, exec, s[2:3]
	s_and_b64 exec, exec, s[6:7]
	s_cbranch_execz .LBB13_14
; %bb.12:
	v_add_u32_e32 v1, s21, v0
	v_subrev_u32_e32 v1, s26, v1
	v_mov_b32_e32 v2, 0x680
	v_lshl_add_u32 v4, v1, 2, v2
	v_ashrrev_i32_e32 v1, 31, v0
	v_lshlrev_b64 v[2:3], 2, v[0:1]
	v_mov_b32_e32 v1, s19
	v_add_co_u32_e32 v2, vcc, s18, v2
	v_addc_co_u32_e32 v3, vcc, v1, v3, vcc
	s_mov_b64 s[2:3], 0
.LBB13_13:                              ; =>This Inner Loop Header: Depth=1
	global_load_dword v1, v[2:3], off
	v_add_co_u32_e32 v2, vcc, 0x100, v2
	v_add_u32_e32 v0, 64, v0
	v_addc_co_u32_e32 v3, vcc, 0, v3, vcc
	v_cmp_lt_i32_e32 vcc, s33, v0
	s_or_b64 s[2:3], vcc, s[2:3]
	s_waitcnt vmcnt(0)
	v_subrev_u32_e32 v1, s21, v1
	ds_write_b32 v4, v1
	v_add_u32_e32 v4, 0x100, v4
	s_andn2_b64 exec, exec, s[2:3]
	s_cbranch_execnz .LBB13_13
.LBB13_14:
	s_or_b64 exec, exec, s[0:1]
	s_load_dword s46, s[4:5], 0x0
	s_load_dword s45, s[4:5], 0x8
	v_lshlrev_b32_e32 v0, 2, v12
	v_mad_u32_u24 v1, v13, 36, v0
	v_add_u32_e32 v6, 0x360, v1
	v_mov_b32_e32 v7, 0
	s_cmp_ge_i32 s44, s33
	ds_write_b32 v1, v7 offset:864
	s_waitcnt lgkmcnt(0)
	s_cbranch_scc1 .LBB13_84
; %bb.15:
	s_cmp_eq_u32 s46, 0
	s_cselect_b64 vcc, -1, 0
	s_cmp_lg_u32 s46, 0
	v_cmp_gt_i32_e64 s[0:1], s45, v12
	v_cmp_gt_i32_e64 s[2:3], s45, v13
	s_cselect_b64 s[6:7], -1, 0
	s_and_b64 s[24:25], s[0:1], s[2:3]
	s_cmp_gt_i32 s45, 0
	v_mov_b32_e32 v2, 0x240
	s_cselect_b64 s[26:27], -1, 0
	s_cmp_lg_u32 s45, 1
	v_mad_u32_u24 v8, v13, 36, v2
	s_cselect_b64 s[28:29], -1, 0
	s_and_b32 s48, s45, 0x7ffffffe
	v_add_u32_e32 v9, v8, v0
	v_or_b32_e32 v0, v12, v13
	s_bitcmp1_b32 s45, 0
	s_mul_i32 s47, s45, s45
	v_mul_lo_u32 v10, v12, s45
	v_mul_lo_u32 v11, v13, s45
	v_add_u32_e32 v14, 0x120, v1
	v_cmp_ne_u32_e64 s[4:5], 0, v0
	v_cndmask_b32_e32 v0, v13, v12, vcc
	v_cndmask_b32_e32 v15, v12, v13, vcc
	s_cselect_b64 s[30:31], -1, 0
	v_mov_b32_e32 v16, 0
	s_mov_b32 s34, s44
	s_branch .LBB13_18
.LBB13_16:                              ;   in Loop: Header=BB13_18 Depth=1
	s_or_b64 exec, exec, s[36:37]
	s_add_i32 s34, s34, 1
	s_cmp_ge_i32 s34, s33
	s_cselect_b64 s[40:41], -1, 0
	s_waitcnt vmcnt(0)
	buffer_wbinvl1_vol
.LBB13_17:                              ;   in Loop: Header=BB13_18 Depth=1
	s_and_b64 vcc, exec, s[40:41]
	s_cbranch_vccnz .LBB13_84
.LBB13_18:                              ; =>This Loop Header: Depth=1
                                        ;     Child Loop BB13_23 Depth 2
                                        ;     Child Loop BB13_34 Depth 2
	;; [unrolled: 1-line block ×3, first 2 shown]
                                        ;       Child Loop BB13_65 Depth 3
                                        ;       Child Loop BB13_71 Depth 3
                                        ;     Child Loop BB13_80 Depth 2
	s_ashr_i32 s35, s34, 31
	s_lshl_b64 s[36:37], s[34:35], 2
	s_add_u32 s36, s18, s36
	s_addc_u32 s37, s19, s37
	s_load_dword s35, s[36:37], 0x0
	s_waitcnt lgkmcnt(0)
	s_sub_i32 s38, s35, s21
	s_ashr_i32 s39, s38, 31
	s_lshl_b64 s[36:37], s[38:39], 2
	s_add_u32 s40, s8, s36
	s_addc_u32 s41, s9, s37
	s_load_dword s39, s[40:41], 0x0
	s_mov_b64 s[40:41], -1
	s_waitcnt lgkmcnt(0)
	s_cmp_eq_u32 s39, -1
	s_cbranch_scc1 .LBB13_17
; %bb.19:                               ;   in Loop: Header=BB13_18 Depth=1
	s_add_u32 s40, s16, s36
	s_addc_u32 s41, s17, s37
	v_mov_b32_e32 v2, 0
	s_and_saveexec_b64 s[42:43], s[24:25]
	s_cbranch_execz .LBB13_21
; %bb.20:                               ;   in Loop: Header=BB13_18 Depth=1
	s_mul_i32 s49, s34, s45
	v_add_u32_e32 v2, s49, v15
	v_mad_u64_u32 v[2:3], s[50:51], v2, s45, v[0:1]
	v_ashrrev_i32_e32 v3, 31, v2
	v_lshlrev_b64 v[2:3], 2, v[2:3]
	v_mov_b32_e32 v4, s23
	v_add_co_u32_e32 v2, vcc, s22, v2
	v_addc_co_u32_e32 v3, vcc, v4, v3, vcc
	global_load_dword v2, v[2:3], off
.LBB13_21:                              ;   in Loop: Header=BB13_18 Depth=1
	s_or_b64 exec, exec, s[42:43]
	s_load_dword s40, s[40:41], 0x0
	ds_read_b32 v3, v16 offset:1664
	s_mov_b32 s41, 0
	s_waitcnt vmcnt(0)
	ds_write_b32 v9, v2
	s_waitcnt lgkmcnt(0)
	s_sub_i32 s40, s40, s21
	s_cmp_le_i32 s40, s39
	v_cmp_ge_i32_e32 vcc, s38, v3
	s_cselect_b64 s[42:43], -1, 0
	s_and_b64 s[42:43], s[42:43], vcc
	s_andn2_b64 vcc, exec, s[42:43]
	s_cbranch_vccnz .LBB13_33
; %bb.22:                               ;   in Loop: Header=BB13_18 Depth=1
	s_mov_b32 s49, 0
	s_mov_b32 s50, 0
.LBB13_23:                              ;   Parent Loop BB13_18 Depth=1
                                        ; =>  This Inner Loop Header: Depth=2
	s_ashr_i32 s41, s40, 31
	s_lshl_b64 s[42:43], s[40:41], 2
	s_add_u32 s42, s18, s42
	s_addc_u32 s43, s19, s43
	s_load_dword s41, s[42:43], 0x0
	s_lshl_b32 s42, s50, 2
	v_mov_b32_e32 v2, s42
	ds_read_b32 v2, v2 offset:1664
	s_mov_b64 s[42:43], -1
	s_waitcnt lgkmcnt(0)
	s_sub_i32 s54, s41, s21
                                        ; implicit-def: $sgpr41
                                        ; implicit-def: $sgpr53
                                        ; implicit-def: $sgpr52
	v_cmp_ge_i32_e32 vcc, s54, v2
	v_readfirstlane_b32 s51, v2
	s_cbranch_vccz .LBB13_29
; %bb.24:                               ;   in Loop: Header=BB13_23 Depth=2
	s_cmp_le_i32 s54, s51
                                        ; implicit-def: $sgpr41
                                        ; implicit-def: $sgpr53
                                        ; implicit-def: $sgpr52
	s_cbranch_scc0 .LBB13_26
; %bb.25:                               ;   in Loop: Header=BB13_23 Depth=2
	s_add_i32 s41, s50, s44
	s_mul_i32 s41, s41, s47
	s_lshl_b32 s42, s49, 2
	v_mov_b32_e32 v2, s42
	v_mov_b32_e32 v3, s41
	s_mul_i32 s41, s40, s47
	v_mov_b32_e32 v4, s41
	v_add_u32_e32 v2, 0x80, v2
	ds_write2st64_b32 v2, v4, v3 offset0:4 offset1:5
	s_add_i32 s52, s50, 1
	s_add_i32 s53, s40, 1
	s_add_i32 s41, s49, 1
	s_mov_b64 s[42:43], 0
.LBB13_26:                              ;   in Loop: Header=BB13_23 Depth=2
	s_andn2_b64 vcc, exec, s[42:43]
	s_cbranch_vccnz .LBB13_28
; %bb.27:                               ;   in Loop: Header=BB13_23 Depth=2
	s_add_i32 s52, s50, 1
	s_mov_b32 s41, s49
	s_mov_b32 s53, s40
.LBB13_28:                              ;   in Loop: Header=BB13_23 Depth=2
	s_mov_b64 s[42:43], 0
.LBB13_29:                              ;   in Loop: Header=BB13_23 Depth=2
	s_andn2_b64 vcc, exec, s[42:43]
	s_cbranch_vccnz .LBB13_31
; %bb.30:                               ;   in Loop: Header=BB13_23 Depth=2
	s_add_i32 s53, s40, 1
	s_mov_b32 s52, s50
	s_mov_b32 s41, s49
.LBB13_31:                              ;   in Loop: Header=BB13_23 Depth=2
	s_cmp_le_i32 s53, s39
	s_cselect_b64 s[42:43], -1, 0
	s_cmp_le_i32 s51, s38
	s_cselect_b64 s[50:51], -1, 0
	s_and_b64 s[42:43], s[42:43], s[50:51]
	s_and_b64 vcc, exec, s[42:43]
	s_cbranch_vccz .LBB13_33
; %bb.32:                               ;   in Loop: Header=BB13_23 Depth=2
	s_mov_b32 s49, s41
	s_mov_b32 s40, s53
	;; [unrolled: 1-line block ×3, first 2 shown]
	s_branch .LBB13_23
.LBB13_33:                              ;   in Loop: Header=BB13_18 Depth=1
	s_add_u32 s36, s10, s36
	s_addc_u32 s37, s11, s37
	s_waitcnt lgkmcnt(0)
.LBB13_34:                              ;   Parent Loop BB13_18 Depth=1
                                        ; =>  This Inner Loop Header: Depth=2
	global_load_dword v2, v16, s[36:37] glc
	s_waitcnt vmcnt(0)
	v_cmp_eq_u32_e32 vcc, 0, v2
	s_cbranch_vccnz .LBB13_34
; %bb.35:                               ;   in Loop: Header=BB13_18 Depth=1
	v_mov_b32_e32 v3, 0
	v_mov_b32_e32 v2, 0
	buffer_wbinvl1_vol
	s_and_saveexec_b64 s[36:37], s[24:25]
	s_cbranch_execz .LBB13_37
; %bb.36:                               ;   in Loop: Header=BB13_18 Depth=1
	s_mul_i32 s39, s39, s45
	v_add_u32_e32 v2, s39, v15
	v_mad_u64_u32 v[4:5], s[38:39], v2, s45, v[0:1]
	v_ashrrev_i32_e32 v5, 31, v4
	v_lshlrev_b64 v[4:5], 2, v[4:5]
	v_mov_b32_e32 v2, s23
	v_add_co_u32_e32 v4, vcc, s22, v4
	v_addc_co_u32_e32 v5, vcc, v2, v5, vcc
	global_load_dword v2, v[4:5], off
.LBB13_37:                              ;   in Loop: Header=BB13_18 Depth=1
	s_or_b64 exec, exec, s[36:37]
	s_cmp_lt_i32 s41, 2
	s_waitcnt vmcnt(0)
	ds_write_b32 v1, v2
	s_waitcnt lgkmcnt(0)
	s_cbranch_scc1 .LBB13_56
; %bb.38:                               ;   in Loop: Header=BB13_18 Depth=1
	s_add_i32 s38, s41, -2
	s_mov_b32 s39, 0
	v_mov_b32_e32 v17, 0
	s_andn2_b64 vcc, exec, s[26:27]
	s_cbranch_vccnz .LBB13_53
.LBB13_39:                              ;   in Loop: Header=BB13_18 Depth=1
	s_lshl_b32 s36, s39, 2
	v_mov_b32_e32 v2, s36
	v_add_u32_e32 v2, 0x80, v2
	ds_read2st64_b32 v[4:5], v2 offset0:4 offset1:5
	s_mov_b32 s40, 0
	s_waitcnt lgkmcnt(0)
	v_add_u32_e32 v18, v4, v10
	v_add_u32_e32 v19, v5, v11
	;; [unrolled: 1-line block ×4, first 2 shown]
	s_and_b64 vcc, exec, s[6:7]
	s_cbranch_vccz .LBB13_45
.LBB13_40:                              ;   in Loop: Header=BB13_18 Depth=1
	v_mov_b32_e32 v3, 0
	v_mov_b32_e32 v5, 0
	s_and_saveexec_b64 s[36:37], s[0:1]
	s_cbranch_execz .LBB13_42
; %bb.41:                               ;   in Loop: Header=BB13_18 Depth=1
	v_ashrrev_i32_e32 v5, 31, v4
	v_lshlrev_b64 v[20:21], 2, v[4:5]
	v_mov_b32_e32 v5, s23
	v_add_co_u32_e32 v20, vcc, s22, v20
	v_addc_co_u32_e32 v21, vcc, v5, v21, vcc
	global_load_dword v5, v[20:21], off
.LBB13_42:                              ;   in Loop: Header=BB13_18 Depth=1
	s_or_b64 exec, exec, s[36:37]
	s_and_saveexec_b64 s[36:37], s[2:3]
	s_cbranch_execz .LBB13_44
; %bb.43:                               ;   in Loop: Header=BB13_18 Depth=1
	v_ashrrev_i32_e32 v3, 31, v2
	v_lshlrev_b64 v[20:21], 2, v[2:3]
	v_mov_b32_e32 v3, s23
	v_add_co_u32_e32 v20, vcc, s22, v20
	v_addc_co_u32_e32 v21, vcc, v3, v21, vcc
	global_load_dword v3, v[20:21], off
.LBB13_44:                              ;   in Loop: Header=BB13_18 Depth=1
	s_or_b64 exec, exec, s[36:37]
	s_waitcnt vmcnt(0)
	v_fma_f32 v3, v5, v3, v17
	s_branch .LBB13_51
.LBB13_45:                              ;   in Loop: Header=BB13_18 Depth=1
                                        ; implicit-def: $vgpr3
	s_cbranch_execz .LBB13_51
; %bb.46:                               ;   in Loop: Header=BB13_18 Depth=1
	v_mov_b32_e32 v3, 0
	v_mov_b32_e32 v5, 0
	s_and_saveexec_b64 s[36:37], s[0:1]
	s_cbranch_execz .LBB13_48
; %bb.47:                               ;   in Loop: Header=BB13_18 Depth=1
	v_add_u32_e32 v20, s40, v18
	v_ashrrev_i32_e32 v21, 31, v20
	v_lshlrev_b64 v[20:21], 2, v[20:21]
	v_mov_b32_e32 v5, s23
	v_add_co_u32_e32 v20, vcc, s22, v20
	v_addc_co_u32_e32 v21, vcc, v5, v21, vcc
	global_load_dword v5, v[20:21], off
.LBB13_48:                              ;   in Loop: Header=BB13_18 Depth=1
	s_or_b64 exec, exec, s[36:37]
	s_and_saveexec_b64 s[36:37], s[2:3]
	s_cbranch_execz .LBB13_50
; %bb.49:                               ;   in Loop: Header=BB13_18 Depth=1
	v_add_u32_e32 v20, s40, v19
	v_ashrrev_i32_e32 v21, 31, v20
	v_lshlrev_b64 v[20:21], 2, v[20:21]
	v_mov_b32_e32 v3, s23
	v_add_co_u32_e32 v20, vcc, s22, v20
	v_addc_co_u32_e32 v21, vcc, v3, v21, vcc
	global_load_dword v3, v[20:21], off
.LBB13_50:                              ;   in Loop: Header=BB13_18 Depth=1
	s_or_b64 exec, exec, s[36:37]
	s_waitcnt vmcnt(0)
	v_fmac_f32_e32 v17, v5, v3
	v_mov_b32_e32 v3, v17
.LBB13_51:                              ;   in Loop: Header=BB13_18 Depth=1
	s_add_i32 s40, s40, 1
	v_add_u32_e32 v2, s45, v2
	s_cmp_eq_u32 s45, s40
	v_add_u32_e32 v4, s45, v4
	s_cbranch_scc1 .LBB13_54
; %bb.52:                               ;   in Loop: Header=BB13_18 Depth=1
	v_mov_b32_e32 v17, v3
	s_and_b64 vcc, exec, s[6:7]
	s_cbranch_vccz .LBB13_45
	s_branch .LBB13_40
.LBB13_53:                              ;   in Loop: Header=BB13_18 Depth=1
	v_mov_b32_e32 v3, v17
.LBB13_54:                              ;   in Loop: Header=BB13_18 Depth=1
	s_add_i32 s36, s39, 1
	s_cmp_eq_u32 s39, s38
	s_cbranch_scc1 .LBB13_56
; %bb.55:                               ;   in Loop: Header=BB13_18 Depth=1
	v_mov_b32_e32 v17, v3
	s_mov_b32 s39, s36
	s_andn2_b64 vcc, exec, s[26:27]
	s_cbranch_vccz .LBB13_39
	s_branch .LBB13_53
.LBB13_56:                              ;   in Loop: Header=BB13_18 Depth=1
	s_andn2_b64 vcc, exec, s[26:27]
	ds_write_b32 v14, v3
	s_waitcnt lgkmcnt(0)
	s_cbranch_vccnz .LBB13_82
; %bb.57:                               ;   in Loop: Header=BB13_18 Depth=1
	s_andn2_b64 vcc, exec, s[28:29]
	s_mov_b32 s42, 0
	s_cbranch_vccnz .LBB13_73
; %bb.58:                               ;   in Loop: Header=BB13_18 Depth=1
	s_mov_b32 s40, 0
	s_mov_b32 s41, 0
.LBB13_59:                              ;   Parent Loop BB13_18 Depth=1
                                        ; =>  This Loop Header: Depth=2
                                        ;       Child Loop BB13_65 Depth 3
                                        ;       Child Loop BB13_71 Depth 3
	s_lshl_b32 s36, s41, 2
	s_mul_i32 s37, s41, 36
	s_add_i32 s42, s36, s37
	v_mov_b32_e32 v2, s42
	ds_read_b32 v4, v2
	v_mad_u32_u24 v2, v13, 36, s36
	ds_read_b32 v3, v2 offset:576
	s_waitcnt lgkmcnt(1)
	v_cmp_neq_f32_e32 vcc, 0, v4
	s_or_b64 s[36:37], vcc, s[4:5]
	v_cndmask_b32_e32 v4, 1.0, v4, vcc
	s_xor_b64 s[38:39], s[36:37], -1
	s_and_saveexec_b64 s[36:37], s[38:39]
	s_cbranch_execz .LBB13_63
; %bb.60:                               ;   in Loop: Header=BB13_59 Depth=2
	v_mbcnt_lo_u32_b32 v4, exec_lo, 0
	v_mbcnt_hi_u32_b32 v4, exec_hi, v4
	v_cmp_eq_u32_e32 vcc, 0, v4
	s_and_saveexec_b64 s[38:39], vcc
	s_cbranch_execz .LBB13_62
; %bb.61:                               ;   in Loop: Header=BB13_59 Depth=2
	v_mov_b32_e32 v4, s35
	global_atomic_smin v16, v4, s[14:15]
.LBB13_62:                              ;   in Loop: Header=BB13_59 Depth=2
	s_or_b64 exec, exec, s[38:39]
	v_mov_b32_e32 v4, 1.0
.LBB13_63:                              ;   in Loop: Header=BB13_59 Depth=2
	s_or_b64 exec, exec, s[36:37]
	v_mul_u32_u24_e32 v5, 36, v13
	v_lshl_add_u32 v5, s41, 2, v5
	ds_read_b32 v17, v5 offset:288
	s_cmp_eq_u32 s41, 0
	s_cbranch_scc1 .LBB13_66
; %bb.64:                               ;   in Loop: Header=BB13_59 Depth=2
	s_mov_b32 s36, 0
	v_mov_b32_e32 v18, v8
	s_mov_b32 s37, s40
.LBB13_65:                              ;   Parent Loop BB13_18 Depth=1
                                        ;     Parent Loop BB13_59 Depth=2
                                        ; =>    This Inner Loop Header: Depth=3
	v_mov_b32_e32 v19, s37
	ds_read_b32 v20, v18
	ds_read_b32 v19, v19
	s_add_i32 s36, s36, 1
	s_add_i32 s37, s37, 4
	v_add_u32_e32 v18, 4, v18
	s_cmp_ge_u32 s36, s41
	s_waitcnt lgkmcnt(0)
	v_fmac_f32_e32 v17, v19, v20
	s_cbranch_scc0 .LBB13_65
.LBB13_66:                              ;   in Loop: Header=BB13_59 Depth=2
	s_waitcnt lgkmcnt(0)
	v_sub_f32_e32 v3, v3, v17
	v_div_scale_f32 v17, s[36:37], v4, v4, v3
	v_rcp_f32_e32 v18, v17
	v_div_scale_f32 v19, vcc, v3, v4, v3
	v_add_u32_e32 v2, 0x240, v2
	v_fma_f32 v20, -v17, v18, 1.0
	v_fmac_f32_e32 v18, v20, v18
	v_mul_f32_e32 v20, v19, v18
	v_fma_f32 v21, -v17, v20, v19
	v_fmac_f32_e32 v20, v21, v18
	v_fma_f32 v17, -v17, v20, v19
	v_div_fmas_f32 v17, v17, v18, v20
	v_div_fixup_f32 v3, v17, v4, v3
	v_mul_u32_u24_e32 v4, 36, v12
	v_lshl_add_u32 v17, s41, 2, v4
	ds_write_b32 v2, v3
	s_waitcnt lgkmcnt(0)
	ds_read_b32 v4, v17 offset:576
	ds_read_b32 v18, v6
	v_add_u32_e32 v5, 0x120, v5
	s_waitcnt lgkmcnt(0)
	v_fmac_f32_e32 v18, v3, v4
	v_mov_b32_e32 v3, s42
	ds_write_b32 v6, v18
	s_waitcnt lgkmcnt(0)
	ds_read_b32 v4, v3 offset:40
	ds_read_b32 v3, v2 offset:4
	s_waitcnt lgkmcnt(1)
	v_cmp_neq_f32_e32 vcc, 0, v4
	s_or_b64 s[36:37], vcc, s[4:5]
	v_cndmask_b32_e32 v4, 1.0, v4, vcc
	s_xor_b64 s[38:39], s[36:37], -1
	s_and_saveexec_b64 s[36:37], s[38:39]
	s_cbranch_execz .LBB13_70
; %bb.67:                               ;   in Loop: Header=BB13_59 Depth=2
	v_mbcnt_lo_u32_b32 v4, exec_lo, 0
	v_mbcnt_hi_u32_b32 v4, exec_hi, v4
	v_cmp_eq_u32_e32 vcc, 0, v4
	s_and_saveexec_b64 s[38:39], vcc
	s_cbranch_execz .LBB13_69
; %bb.68:                               ;   in Loop: Header=BB13_59 Depth=2
	v_mov_b32_e32 v4, s35
	global_atomic_smin v16, v4, s[14:15]
.LBB13_69:                              ;   in Loop: Header=BB13_59 Depth=2
	s_or_b64 exec, exec, s[38:39]
	v_mov_b32_e32 v4, 1.0
.LBB13_70:                              ;   in Loop: Header=BB13_59 Depth=2
	s_or_b64 exec, exec, s[36:37]
	ds_read_b32 v18, v5 offset:4
	v_add_u32_e32 v5, 0x240, v17
	s_mov_b32 s36, 0
	s_mov_b32 s37, -1
.LBB13_71:                              ;   Parent Loop BB13_18 Depth=1
                                        ;     Parent Loop BB13_59 Depth=2
                                        ; =>    This Inner Loop Header: Depth=3
	s_add_i32 s38, s40, s36
	v_add_u32_e32 v17, s36, v8
	v_mov_b32_e32 v19, s38
	ds_read_b32 v17, v17
	ds_read_b32 v19, v19 offset:36
	s_add_i32 s36, s36, 4
	s_add_i32 s37, s37, 1
	s_cmp_lt_u32 s37, s41
	s_waitcnt lgkmcnt(0)
	v_fmac_f32_e32 v18, v19, v17
	s_cbranch_scc1 .LBB13_71
; %bb.72:                               ;   in Loop: Header=BB13_59 Depth=2
	v_sub_f32_e32 v3, v3, v18
	v_div_scale_f32 v17, s[36:37], v4, v4, v3
	v_rcp_f32_e32 v18, v17
	v_div_scale_f32 v19, vcc, v3, v4, v3
	s_add_i32 s41, s41, 2
	v_fma_f32 v20, -v17, v18, 1.0
	v_fmac_f32_e32 v18, v20, v18
	v_mul_f32_e32 v20, v19, v18
	v_fma_f32 v21, -v17, v20, v19
	v_fmac_f32_e32 v20, v21, v18
	v_fma_f32 v17, -v17, v20, v19
	v_div_fmas_f32 v17, v17, v18, v20
	v_div_fixup_f32 v3, v17, v4, v3
	ds_write_b32 v2, v3 offset:4
	s_waitcnt lgkmcnt(0)
	ds_read_b32 v2, v5 offset:4
	ds_read_b32 v4, v6
	s_addk_i32 s40, 0x48
	s_cmp_eq_u32 s41, s48
	s_mov_b32 s42, s48
	s_waitcnt lgkmcnt(0)
	v_fmac_f32_e32 v4, v3, v2
	ds_write_b32 v6, v4
	s_waitcnt lgkmcnt(0)
	s_cbranch_scc0 .LBB13_59
.LBB13_73:                              ;   in Loop: Header=BB13_18 Depth=1
	s_andn2_b64 vcc, exec, s[30:31]
	s_cbranch_vccnz .LBB13_82
; %bb.74:                               ;   in Loop: Header=BB13_18 Depth=1
	s_lshl_b32 s36, s42, 2
	s_mul_i32 s40, s42, 36
	s_add_i32 s37, s36, s40
	v_mov_b32_e32 v2, s37
	ds_read_b32 v4, v2
	v_mad_u32_u24 v3, v13, 36, s36
	ds_read_b32 v2, v3 offset:576
	s_waitcnt lgkmcnt(1)
	v_cmp_neq_f32_e32 vcc, 0, v4
	s_or_b64 s[36:37], vcc, s[4:5]
	v_cndmask_b32_e32 v4, 1.0, v4, vcc
	s_xor_b64 s[38:39], s[36:37], -1
	s_and_saveexec_b64 s[36:37], s[38:39]
	s_cbranch_execz .LBB13_78
; %bb.75:                               ;   in Loop: Header=BB13_18 Depth=1
	v_mbcnt_lo_u32_b32 v4, exec_lo, 0
	v_mbcnt_hi_u32_b32 v4, exec_hi, v4
	v_cmp_eq_u32_e32 vcc, 0, v4
	s_and_saveexec_b64 s[38:39], vcc
	s_cbranch_execz .LBB13_77
; %bb.76:                               ;   in Loop: Header=BB13_18 Depth=1
	v_mov_b32_e32 v4, s35
	global_atomic_smin v16, v4, s[14:15]
.LBB13_77:                              ;   in Loop: Header=BB13_18 Depth=1
	s_or_b64 exec, exec, s[38:39]
	v_mov_b32_e32 v4, 1.0
.LBB13_78:                              ;   in Loop: Header=BB13_18 Depth=1
	s_or_b64 exec, exec, s[36:37]
	v_mul_u32_u24_e32 v5, 36, v13
	v_lshl_add_u32 v5, s42, 2, v5
	ds_read_b32 v5, v5 offset:288
	s_cmp_eq_u32 s42, 0
	s_cbranch_scc1 .LBB13_81
; %bb.79:                               ;   in Loop: Header=BB13_18 Depth=1
	s_mov_b32 s35, 0
	v_mov_b32_e32 v17, v8
.LBB13_80:                              ;   Parent Loop BB13_18 Depth=1
                                        ; =>  This Inner Loop Header: Depth=2
	v_mov_b32_e32 v18, s40
	ds_read_b32 v19, v17
	ds_read_b32 v18, v18
	s_add_i32 s35, s35, 1
	s_add_i32 s40, s40, 4
	v_add_u32_e32 v17, 4, v17
	s_cmp_lt_u32 s35, s42
	s_waitcnt lgkmcnt(0)
	v_fmac_f32_e32 v5, v18, v19
	s_cbranch_scc1 .LBB13_80
.LBB13_81:                              ;   in Loop: Header=BB13_18 Depth=1
	s_waitcnt lgkmcnt(0)
	v_sub_f32_e32 v2, v2, v5
	v_div_scale_f32 v5, s[36:37], v4, v4, v2
	v_rcp_f32_e32 v17, v5
	v_div_scale_f32 v18, vcc, v2, v4, v2
	v_add_u32_e32 v3, 0x240, v3
	v_fma_f32 v19, -v5, v17, 1.0
	v_fmac_f32_e32 v17, v19, v17
	v_mul_f32_e32 v19, v18, v17
	v_fma_f32 v20, -v5, v19, v18
	v_fmac_f32_e32 v19, v20, v17
	v_fma_f32 v5, -v5, v19, v18
	v_div_fmas_f32 v5, v5, v17, v19
	v_div_fixup_f32 v2, v5, v4, v2
	ds_write_b32 v3, v2
	v_mul_u32_u24_e32 v3, 36, v12
	v_lshl_add_u32 v3, s42, 2, v3
	s_waitcnt lgkmcnt(0)
	ds_read_b32 v3, v3 offset:576
	ds_read_b32 v4, v6
	s_waitcnt lgkmcnt(0)
	v_fmac_f32_e32 v4, v2, v3
	ds_write_b32 v6, v4
	s_waitcnt lgkmcnt(0)
.LBB13_82:                              ;   in Loop: Header=BB13_18 Depth=1
	s_and_saveexec_b64 s[36:37], s[24:25]
	s_cbranch_execz .LBB13_16
; %bb.83:                               ;   in Loop: Header=BB13_18 Depth=1
	s_mul_i32 s35, s34, s45
	v_add_u32_e32 v2, s35, v15
	ds_read_b32 v4, v9
	v_mad_u64_u32 v[2:3], s[38:39], v2, s45, v[0:1]
	v_ashrrev_i32_e32 v3, 31, v2
	v_lshlrev_b64 v[2:3], 2, v[2:3]
	v_mov_b32_e32 v5, s23
	v_add_co_u32_e32 v2, vcc, s22, v2
	v_addc_co_u32_e32 v3, vcc, v5, v3, vcc
	s_waitcnt lgkmcnt(0)
	global_store_dword v[2:3], v4, off
	s_branch .LBB13_16
.LBB13_84:
	s_cmp_eq_u32 s46, 0
	v_max_i32_e32 v0, v12, v13
	s_cselect_b64 s[0:1], -1, 0
	v_cmp_gt_i32_e64 s[2:3], s45, v0
	s_and_saveexec_b64 s[4:5], s[2:3]
	s_cbranch_execz .LBB13_86
; %bb.85:
	v_cndmask_b32_e64 v2, v12, v13, s[0:1]
	s_mul_i32 s6, s33, s45
	v_cndmask_b32_e64 v0, v13, v12, s[0:1]
	v_add_u32_e32 v2, s6, v2
	v_mad_u64_u32 v[2:3], s[6:7], v2, s45, v[0:1]
	v_ashrrev_i32_e32 v3, 31, v2
	v_lshlrev_b64 v[2:3], 2, v[2:3]
	v_mov_b32_e32 v0, s23
	v_add_co_u32_e32 v2, vcc, s22, v2
	v_addc_co_u32_e32 v3, vcc, v0, v3, vcc
	global_load_dword v7, v[2:3], off
.LBB13_86:
	s_or_b64 exec, exec, s[4:5]
	s_cmp_lt_i32 s45, 1
	s_waitcnt vmcnt(0)
	ds_write_b32 v1, v7 offset:576
	s_waitcnt lgkmcnt(0)
	s_cbranch_scc1 .LBB13_118
; %bb.87:
	v_or_b32_e32 v0, v12, v13
	v_cmp_ne_u32_e64 s[4:5], 0, v0
	v_lshlrev_b32_e32 v0, 2, v13
	s_add_i32 s16, s20, s21
	v_mad_u32_u24 v2, v13, 36, v0
	s_mov_b32 s17, 0
	v_add_u32_e32 v0, 0x240, v2
	s_cmp_eq_u32 s45, 1
	v_add_u32_e32 v2, 0x360, v2
	s_cbranch_scc1 .LBB13_108
; %bb.88:
	v_mov_b32_e32 v4, 0x240
	s_and_b32 s17, s45, 0x7ffffffe
	s_movk_i32 s18, 0x240
	v_mad_u32_u24 v3, v12, 36, v4
	v_mad_u32_u24 v4, v13, 36, v4
	s_mov_b32 s6, 0
	s_mov_b32 s19, 0xf800000
	v_mov_b32_e32 v5, 0x260
	v_mov_b32_e32 v7, 0
	s_branch .LBB13_90
.LBB13_89:                              ;   in Loop: Header=BB13_90 Depth=1
	s_or_b64 exec, exec, s[6:7]
	s_addk_i32 s18, 0x50
	s_add_i32 s6, s25, 1
	v_add_u32_e32 v3, 8, v3
	s_cmp_eq_u32 s6, s17
	v_add_u32_e32 v4, 8, v4
	s_waitcnt lgkmcnt(0)
	s_cbranch_scc1 .LBB13_107
.LBB13_90:                              ; =>This Inner Loop Header: Depth=1
	s_mov_b32 s24, s6
	v_cmp_eq_u32_e32 vcc, s24, v13
	s_and_saveexec_b64 s[8:9], vcc
	s_cbranch_execz .LBB13_92
; %bb.91:                               ;   in Loop: Header=BB13_90 Depth=1
	ds_read_b32 v8, v0
	ds_read_b32 v9, v2
	s_waitcnt lgkmcnt(0)
	v_sub_f32_e32 v8, v8, v9
	v_cmp_gt_f32_e32 vcc, 0, v8
	v_cndmask_b32_e64 v8, v8, -v8, vcc
	v_mul_f32_e32 v9, 0x4f800000, v8
	v_cmp_gt_f32_e32 vcc, s19, v8
	v_cndmask_b32_e32 v8, v8, v9, vcc
	v_sqrt_f32_e32 v9, v8
	v_add_u32_e32 v10, -1, v9
	v_add_u32_e32 v11, 1, v9
	v_fma_f32 v14, -v10, v9, v8
	v_fma_f32 v15, -v11, v9, v8
	v_cmp_ge_f32_e64 s[6:7], 0, v14
	v_cndmask_b32_e64 v9, v9, v10, s[6:7]
	v_cmp_lt_f32_e64 s[6:7], 0, v15
	v_cndmask_b32_e64 v9, v9, v11, s[6:7]
	v_mul_f32_e32 v10, 0x37800000, v9
	v_cndmask_b32_e32 v9, v9, v10, vcc
	v_cmp_class_f32_e32 vcc, v8, v5
	v_cndmask_b32_e32 v8, v9, v8, vcc
	ds_write_b32 v0, v8
.LBB13_92:                              ;   in Loop: Header=BB13_90 Depth=1
	s_or_b64 exec, exec, s[8:9]
	v_mov_b32_e32 v8, s18
	s_waitcnt lgkmcnt(0)
	ds_read_b32 v8, v8
	s_waitcnt lgkmcnt(0)
	v_cmp_neq_f32_e32 vcc, 0, v8
	s_or_b64 s[6:7], vcc, s[4:5]
	v_cndmask_b32_e32 v8, 1.0, v8, vcc
	s_xor_b64 s[8:9], s[6:7], -1
	s_and_saveexec_b64 s[6:7], s[8:9]
	s_cbranch_execz .LBB13_96
; %bb.93:                               ;   in Loop: Header=BB13_90 Depth=1
	v_mbcnt_lo_u32_b32 v8, exec_lo, 0
	v_mbcnt_hi_u32_b32 v8, exec_hi, v8
	v_cmp_eq_u32_e32 vcc, 0, v8
	s_and_saveexec_b64 s[8:9], vcc
	s_cbranch_execz .LBB13_95
; %bb.94:                               ;   in Loop: Header=BB13_90 Depth=1
	v_mov_b32_e32 v8, s16
	global_atomic_smin v7, v8, s[14:15]
.LBB13_95:                              ;   in Loop: Header=BB13_90 Depth=1
	s_or_b64 exec, exec, s[8:9]
	v_mov_b32_e32 v8, 1.0
.LBB13_96:                              ;   in Loop: Header=BB13_90 Depth=1
	s_or_b64 exec, exec, s[6:7]
	v_cmp_lt_u32_e32 vcc, s24, v13
	s_and_saveexec_b64 s[6:7], vcc
	s_cbranch_execz .LBB13_98
; %bb.97:                               ;   in Loop: Header=BB13_90 Depth=1
	ds_read2_b32 v[10:11], v4 offset1:72
	s_waitcnt lgkmcnt(0)
	v_sub_f32_e32 v9, v10, v11
	v_div_scale_f32 v10, s[8:9], v8, v8, v9
	v_rcp_f32_e32 v11, v10
	v_div_scale_f32 v14, vcc, v9, v8, v9
	v_fma_f32 v15, -v10, v11, 1.0
	v_fmac_f32_e32 v11, v15, v11
	v_mul_f32_e32 v15, v14, v11
	v_fma_f32 v16, -v10, v15, v14
	v_fmac_f32_e32 v15, v16, v11
	v_fma_f32 v10, -v10, v15, v14
	v_div_fmas_f32 v10, v10, v11, v15
	v_div_fixup_f32 v8, v10, v8, v9
	ds_write_b32 v4, v8
	s_waitcnt lgkmcnt(0)
	ds_read_b32 v9, v3
	ds_read_b32 v10, v6
	s_waitcnt lgkmcnt(0)
	v_fmac_f32_e32 v10, v8, v9
	ds_write_b32 v6, v10
.LBB13_98:                              ;   in Loop: Header=BB13_90 Depth=1
	s_or_b64 exec, exec, s[6:7]
	s_add_i32 s25, s24, 1
	v_cmp_eq_u32_e32 vcc, s25, v13
	s_waitcnt lgkmcnt(0)
	s_and_saveexec_b64 s[8:9], vcc
	s_cbranch_execz .LBB13_100
; %bb.99:                               ;   in Loop: Header=BB13_90 Depth=1
	ds_read_b32 v8, v0
	ds_read_b32 v9, v2
	s_waitcnt lgkmcnt(0)
	v_sub_f32_e32 v8, v8, v9
	v_cmp_gt_f32_e32 vcc, 0, v8
	v_cndmask_b32_e64 v8, v8, -v8, vcc
	v_mul_f32_e32 v9, 0x4f800000, v8
	v_cmp_gt_f32_e32 vcc, s19, v8
	v_cndmask_b32_e32 v8, v8, v9, vcc
	v_sqrt_f32_e32 v9, v8
	v_add_u32_e32 v10, -1, v9
	v_add_u32_e32 v11, 1, v9
	v_fma_f32 v14, -v10, v9, v8
	v_fma_f32 v15, -v11, v9, v8
	v_cmp_ge_f32_e64 s[6:7], 0, v14
	v_cndmask_b32_e64 v9, v9, v10, s[6:7]
	v_cmp_lt_f32_e64 s[6:7], 0, v15
	v_cndmask_b32_e64 v9, v9, v11, s[6:7]
	v_mul_f32_e32 v10, 0x37800000, v9
	v_cndmask_b32_e32 v9, v9, v10, vcc
	v_cmp_class_f32_e32 vcc, v8, v5
	v_cndmask_b32_e32 v8, v9, v8, vcc
	ds_write_b32 v0, v8
.LBB13_100:                             ;   in Loop: Header=BB13_90 Depth=1
	s_or_b64 exec, exec, s[8:9]
	v_mov_b32_e32 v8, s18
	s_waitcnt lgkmcnt(0)
	ds_read_b32 v8, v8 offset:40
	s_waitcnt lgkmcnt(0)
	v_cmp_neq_f32_e32 vcc, 0, v8
	s_or_b64 s[6:7], vcc, s[4:5]
	v_cndmask_b32_e32 v8, 1.0, v8, vcc
	s_xor_b64 s[8:9], s[6:7], -1
	s_and_saveexec_b64 s[6:7], s[8:9]
	s_cbranch_execz .LBB13_104
; %bb.101:                              ;   in Loop: Header=BB13_90 Depth=1
	v_mbcnt_lo_u32_b32 v8, exec_lo, 0
	v_mbcnt_hi_u32_b32 v8, exec_hi, v8
	v_cmp_eq_u32_e32 vcc, 0, v8
	s_and_saveexec_b64 s[8:9], vcc
	s_cbranch_execz .LBB13_103
; %bb.102:                              ;   in Loop: Header=BB13_90 Depth=1
	v_mov_b32_e32 v8, s16
	global_atomic_smin v7, v8, s[14:15]
.LBB13_103:                             ;   in Loop: Header=BB13_90 Depth=1
	s_or_b64 exec, exec, s[8:9]
	v_mov_b32_e32 v8, 1.0
.LBB13_104:                             ;   in Loop: Header=BB13_90 Depth=1
	s_or_b64 exec, exec, s[6:7]
	v_cmp_lt_u32_e32 vcc, s25, v13
	s_and_saveexec_b64 s[6:7], vcc
	s_cbranch_execz .LBB13_89
; %bb.105:                              ;   in Loop: Header=BB13_90 Depth=1
	ds_read2_b32 v[10:11], v4 offset0:1 offset1:73
	s_waitcnt lgkmcnt(0)
	v_sub_f32_e32 v9, v10, v11
	v_div_scale_f32 v10, s[8:9], v8, v8, v9
	v_rcp_f32_e32 v11, v10
	v_div_scale_f32 v14, vcc, v9, v8, v9
	v_fma_f32 v15, -v10, v11, 1.0
	v_fmac_f32_e32 v11, v15, v11
	v_mul_f32_e32 v15, v14, v11
	v_fma_f32 v16, -v10, v15, v14
	v_fmac_f32_e32 v15, v16, v11
	v_fma_f32 v10, -v10, v15, v14
	v_div_fmas_f32 v10, v10, v11, v15
	v_div_fixup_f32 v8, v10, v8, v9
	ds_write_b32 v4, v8 offset:4
	s_waitcnt lgkmcnt(0)
	ds_read_b32 v9, v3 offset:4
	ds_read_b32 v10, v6
	s_waitcnt lgkmcnt(0)
	v_fmac_f32_e32 v10, v8, v9
	ds_write_b32 v6, v10
	s_branch .LBB13_89
.LBB13_106:
	s_mov_b64 s[0:1], 0
	s_cbranch_execnz .LBB13_121
	s_branch .LBB13_126
.LBB13_107:
	s_add_i32 s17, s24, 2
.LBB13_108:
	s_bitcmp0_b32 s45, 0
	s_cbranch_scc1 .LBB13_118
; %bb.109:
	v_cmp_eq_u32_e32 vcc, s17, v13
	s_and_saveexec_b64 s[8:9], vcc
	s_cbranch_execz .LBB13_111
; %bb.110:
	ds_read_b32 v3, v0
	ds_read_b32 v2, v2
	s_mov_b32 s6, 0xf800000
	s_waitcnt lgkmcnt(0)
	v_sub_f32_e32 v2, v3, v2
	v_cmp_gt_f32_e32 vcc, 0, v2
	v_cndmask_b32_e64 v2, v2, -v2, vcc
	v_mul_f32_e32 v3, 0x4f800000, v2
	v_cmp_gt_f32_e32 vcc, s6, v2
	v_cndmask_b32_e32 v2, v2, v3, vcc
	v_sqrt_f32_e32 v3, v2
	v_add_u32_e32 v4, -1, v3
	v_add_u32_e32 v5, 1, v3
	v_fma_f32 v7, -v4, v3, v2
	v_fma_f32 v8, -v5, v3, v2
	v_cmp_ge_f32_e64 s[6:7], 0, v7
	v_cndmask_b32_e64 v3, v3, v4, s[6:7]
	v_cmp_lt_f32_e64 s[6:7], 0, v8
	v_cndmask_b32_e64 v3, v3, v5, s[6:7]
	v_mul_f32_e32 v4, 0x37800000, v3
	v_cndmask_b32_e32 v3, v3, v4, vcc
	v_mov_b32_e32 v4, 0x260
	v_cmp_class_f32_e32 vcc, v2, v4
	v_cndmask_b32_e32 v2, v3, v2, vcc
	ds_write_b32 v0, v2
.LBB13_111:
	s_or_b64 exec, exec, s[8:9]
	s_lshl_b32 s8, s17, 2
	s_mul_i32 s6, s17, 36
	s_add_i32 s6, s6, s8
	v_mov_b32_e32 v0, s6
	s_waitcnt lgkmcnt(0)
	ds_read_b32 v0, v0 offset:576
	s_waitcnt lgkmcnt(0)
	v_cmp_neq_f32_e32 vcc, 0, v0
	s_or_b64 s[4:5], vcc, s[4:5]
	v_cndmask_b32_e32 v0, 1.0, v0, vcc
	s_xor_b64 s[6:7], s[4:5], -1
	s_and_saveexec_b64 s[4:5], s[6:7]
	s_cbranch_execz .LBB13_115
; %bb.112:
	v_mbcnt_lo_u32_b32 v0, exec_lo, 0
	v_mbcnt_hi_u32_b32 v0, exec_hi, v0
	v_cmp_eq_u32_e32 vcc, 0, v0
	s_and_saveexec_b64 s[6:7], vcc
	s_cbranch_execz .LBB13_114
; %bb.113:
	v_mov_b32_e32 v0, 0
	v_mov_b32_e32 v2, s16
	global_atomic_smin v0, v2, s[14:15]
.LBB13_114:
	s_or_b64 exec, exec, s[6:7]
	v_mov_b32_e32 v0, 1.0
.LBB13_115:
	s_or_b64 exec, exec, s[4:5]
	v_cmp_lt_u32_e32 vcc, s17, v13
	s_and_saveexec_b64 s[4:5], vcc
	s_cbranch_execz .LBB13_117
; %bb.116:
	s_add_i32 s9, s8, 0x240
	v_mad_u32_u24 v2, v13, 36, s9
	v_mad_u32_u24 v3, v13, 36, s8
	ds_read_b32 v4, v2
	ds_read_b32 v3, v3 offset:864
	s_waitcnt lgkmcnt(0)
	v_sub_f32_e32 v3, v4, v3
	v_div_scale_f32 v4, s[6:7], v0, v0, v3
	v_rcp_f32_e32 v5, v4
	v_div_scale_f32 v7, vcc, v3, v0, v3
	v_fma_f32 v8, -v4, v5, 1.0
	v_fmac_f32_e32 v5, v8, v5
	v_mul_f32_e32 v8, v7, v5
	v_fma_f32 v9, -v4, v8, v7
	v_fmac_f32_e32 v8, v9, v5
	v_fma_f32 v4, -v4, v8, v7
	v_div_fmas_f32 v4, v4, v5, v8
	v_div_fixup_f32 v0, v4, v0, v3
	ds_write_b32 v2, v0
	v_mad_u32_u24 v2, v12, 36, s9
	s_waitcnt lgkmcnt(0)
	ds_read_b32 v2, v2
	ds_read_b32 v3, v6
	s_waitcnt lgkmcnt(0)
	v_fmac_f32_e32 v3, v0, v2
	ds_write_b32 v6, v3
.LBB13_117:
	s_or_b64 exec, exec, s[4:5]
	s_waitcnt lgkmcnt(0)
.LBB13_118:
	s_and_saveexec_b64 s[4:5], s[2:3]
	s_cbranch_execz .LBB13_120
; %bb.119:
	v_add_u32_e32 v0, 0x240, v1
	s_mul_i32 s33, s33, s45
	v_cndmask_b32_e64 v1, v12, v13, s[0:1]
	ds_read_b32 v2, v0
	v_cndmask_b32_e64 v0, v13, v12, s[0:1]
	v_add_u32_e32 v1, s33, v1
	v_mad_u64_u32 v[0:1], s[0:1], v1, s45, v[0:1]
	v_ashrrev_i32_e32 v1, 31, v0
	v_lshlrev_b64 v[0:1], 2, v[0:1]
	v_mov_b32_e32 v3, s23
	v_add_co_u32_e32 v0, vcc, s22, v0
	v_addc_co_u32_e32 v1, vcc, v3, v1, vcc
	s_waitcnt lgkmcnt(0)
	global_store_dword v[0:1], v2, off
.LBB13_120:
	s_or_b64 exec, exec, s[4:5]
	v_or_b32_e32 v0, v12, v13
	v_cmp_eq_u32_e64 s[0:1], 0, v0
	s_branch .LBB13_126
.LBB13_121:
	v_or_b32_e32 v0, v12, v13
	v_cmp_eq_u32_e32 vcc, 0, v0
	s_and_saveexec_b64 s[2:3], vcc
	s_cbranch_execz .LBB13_125
; %bb.122:
	v_mbcnt_lo_u32_b32 v0, exec_lo, 0
	v_mbcnt_hi_u32_b32 v0, exec_hi, v0
	v_cmp_eq_u32_e32 vcc, 0, v0
	s_and_saveexec_b64 s[4:5], vcc
	s_cbranch_execz .LBB13_124
; %bb.123:
	s_add_i32 s6, s20, s21
	v_mov_b32_e32 v0, 0
	v_mov_b32_e32 v1, s6
	global_atomic_smin v0, v1, s[14:15]
.LBB13_124:
	s_or_b64 exec, exec, s[4:5]
	s_or_b64 s[0:1], s[0:1], exec
.LBB13_125:
	s_or_b64 exec, exec, s[2:3]
.LBB13_126:
	s_and_saveexec_b64 s[2:3], s[0:1]
	s_cbranch_execnz .LBB13_128
; %bb.127:
	s_endpgm
.LBB13_128:
	s_add_u32 s0, s10, s12
	s_addc_u32 s1, s11, s13
	v_mov_b32_e32 v0, 0
	v_mov_b32_e32 v1, 1
	s_waitcnt vmcnt(0)
	global_store_dword v0, v1, s[0:1]
	s_endpgm
	.section	.rodata,"a",@progbits
	.p2align	6, 0x0
	.amdhsa_kernel _ZN9rocsparseL17bsric0_2_8_kernelILi64ELi64ELi8EfEEv20rocsparse_direction_iiPKiS3_PT2_S3_PiS3_S6_21rocsparse_index_base_
		.amdhsa_group_segment_fixed_size 1920
		.amdhsa_private_segment_fixed_size 0
		.amdhsa_kernarg_size 76
		.amdhsa_user_sgpr_count 6
		.amdhsa_user_sgpr_private_segment_buffer 1
		.amdhsa_user_sgpr_dispatch_ptr 0
		.amdhsa_user_sgpr_queue_ptr 0
		.amdhsa_user_sgpr_kernarg_segment_ptr 1
		.amdhsa_user_sgpr_dispatch_id 0
		.amdhsa_user_sgpr_flat_scratch_init 0
		.amdhsa_user_sgpr_kernarg_preload_length 0
		.amdhsa_user_sgpr_kernarg_preload_offset 0
		.amdhsa_user_sgpr_private_segment_size 0
		.amdhsa_uses_dynamic_stack 0
		.amdhsa_system_sgpr_private_segment_wavefront_offset 0
		.amdhsa_system_sgpr_workgroup_id_x 1
		.amdhsa_system_sgpr_workgroup_id_y 0
		.amdhsa_system_sgpr_workgroup_id_z 0
		.amdhsa_system_sgpr_workgroup_info 0
		.amdhsa_system_vgpr_workitem_id 1
		.amdhsa_next_free_vgpr 70
		.amdhsa_next_free_sgpr 55
		.amdhsa_accum_offset 72
		.amdhsa_reserve_vcc 1
		.amdhsa_reserve_flat_scratch 0
		.amdhsa_float_round_mode_32 0
		.amdhsa_float_round_mode_16_64 0
		.amdhsa_float_denorm_mode_32 3
		.amdhsa_float_denorm_mode_16_64 3
		.amdhsa_dx10_clamp 1
		.amdhsa_ieee_mode 1
		.amdhsa_fp16_overflow 0
		.amdhsa_tg_split 0
		.amdhsa_exception_fp_ieee_invalid_op 0
		.amdhsa_exception_fp_denorm_src 0
		.amdhsa_exception_fp_ieee_div_zero 0
		.amdhsa_exception_fp_ieee_overflow 0
		.amdhsa_exception_fp_ieee_underflow 0
		.amdhsa_exception_fp_ieee_inexact 0
		.amdhsa_exception_int_div_zero 0
	.end_amdhsa_kernel
	.section	.text._ZN9rocsparseL17bsric0_2_8_kernelILi64ELi64ELi8EfEEv20rocsparse_direction_iiPKiS3_PT2_S3_PiS3_S6_21rocsparse_index_base_,"axG",@progbits,_ZN9rocsparseL17bsric0_2_8_kernelILi64ELi64ELi8EfEEv20rocsparse_direction_iiPKiS3_PT2_S3_PiS3_S6_21rocsparse_index_base_,comdat
.Lfunc_end13:
	.size	_ZN9rocsparseL17bsric0_2_8_kernelILi64ELi64ELi8EfEEv20rocsparse_direction_iiPKiS3_PT2_S3_PiS3_S6_21rocsparse_index_base_, .Lfunc_end13-_ZN9rocsparseL17bsric0_2_8_kernelILi64ELi64ELi8EfEEv20rocsparse_direction_iiPKiS3_PT2_S3_PiS3_S6_21rocsparse_index_base_
                                        ; -- End function
	.section	.AMDGPU.csdata,"",@progbits
; Kernel info:
; codeLenInByte = 5776
; NumSgprs: 59
; NumVgprs: 70
; NumAgprs: 0
; TotalNumVgprs: 70
; ScratchSize: 0
; MemoryBound: 0
; FloatMode: 240
; IeeeMode: 1
; LDSByteSize: 1920 bytes/workgroup (compile time only)
; SGPRBlocks: 7
; VGPRBlocks: 8
; NumSGPRsForWavesPerEU: 59
; NumVGPRsForWavesPerEU: 70
; AccumOffset: 72
; Occupancy: 7
; WaveLimiterHint : 1
; COMPUTE_PGM_RSRC2:SCRATCH_EN: 0
; COMPUTE_PGM_RSRC2:USER_SGPR: 6
; COMPUTE_PGM_RSRC2:TRAP_HANDLER: 0
; COMPUTE_PGM_RSRC2:TGID_X_EN: 1
; COMPUTE_PGM_RSRC2:TGID_Y_EN: 0
; COMPUTE_PGM_RSRC2:TGID_Z_EN: 0
; COMPUTE_PGM_RSRC2:TIDIG_COMP_CNT: 1
; COMPUTE_PGM_RSRC3_GFX90A:ACCUM_OFFSET: 17
; COMPUTE_PGM_RSRC3_GFX90A:TG_SPLIT: 0
	.section	.text._ZN9rocsparseL18bsric0_9_16_kernelILi64ELi64ELi16EfEEv20rocsparse_direction_iiPKiS3_PT2_S3_PiS3_S6_21rocsparse_index_base_,"axG",@progbits,_ZN9rocsparseL18bsric0_9_16_kernelILi64ELi64ELi16EfEEv20rocsparse_direction_iiPKiS3_PT2_S3_PiS3_S6_21rocsparse_index_base_,comdat
	.globl	_ZN9rocsparseL18bsric0_9_16_kernelILi64ELi64ELi16EfEEv20rocsparse_direction_iiPKiS3_PT2_S3_PiS3_S6_21rocsparse_index_base_ ; -- Begin function _ZN9rocsparseL18bsric0_9_16_kernelILi64ELi64ELi16EfEEv20rocsparse_direction_iiPKiS3_PT2_S3_PiS3_S6_21rocsparse_index_base_
	.p2align	8
	.type	_ZN9rocsparseL18bsric0_9_16_kernelILi64ELi64ELi16EfEEv20rocsparse_direction_iiPKiS3_PT2_S3_PiS3_S6_21rocsparse_index_base_,@function
_ZN9rocsparseL18bsric0_9_16_kernelILi64ELi64ELi16EfEEv20rocsparse_direction_iiPKiS3_PT2_S3_PiS3_S6_21rocsparse_index_base_: ; @_ZN9rocsparseL18bsric0_9_16_kernelILi64ELi64ELi16EfEEv20rocsparse_direction_iiPKiS3_PT2_S3_PiS3_S6_21rocsparse_index_base_
; %bb.0:
	s_load_dwordx8 s[16:23], s[4:5], 0x28
	s_mov_b32 s7, 0
	s_lshl_b64 s[0:1], s[6:7], 2
	v_and_b32_e32 v14, 0x3ff, v0
	v_bfe_u32 v0, v0, 10, 10
	s_waitcnt lgkmcnt(0)
	s_add_u32 s0, s20, s0
	s_addc_u32 s1, s21, s1
	s_load_dword s20, s[0:1], 0x0
	s_waitcnt lgkmcnt(0)
	s_ashr_i32 s21, s20, 31
	s_lshl_b64 s[14:15], s[20:21], 2
	s_add_u32 s0, s16, s14
	s_addc_u32 s1, s17, s15
	s_load_dword s33, s[0:1], 0x0
	s_load_dword s21, s[4:5], 0x48
	s_waitcnt lgkmcnt(0)
	s_cmp_lg_u32 s33, -1
	s_cbranch_scc0 .LBB14_283
; %bb.1:
	s_load_dwordx4 s[24:27], s[4:5], 0x10
	v_lshlrev_b32_e32 v15, 2, v0
	v_add_u32_e32 v1, v15, v14
	s_waitcnt lgkmcnt(0)
	s_add_u32 s0, s24, s14
	s_addc_u32 s1, s25, s15
	s_load_dword s28, s[0:1], 0x0
	s_waitcnt lgkmcnt(0)
	s_sub_i32 s57, s28, s21
	v_add_u32_e32 v2, s57, v1
	v_cmp_ge_i32_e32 vcc, s33, v2
	s_and_saveexec_b64 s[2:3], vcc
	s_cbranch_execz .LBB14_16
; %bb.2:
	v_add_u32_e32 v1, s28, v1
	v_subrev_u32_e32 v1, s21, v1
	v_add_u32_e32 v1, 64, v1
	s_add_i32 s0, s33, 1
	v_max_i32_e32 v1, s0, v1
	v_not_b32_e32 v3, v14
	v_add3_u32 v1, v1, s21, v3
	v_add_u32_e32 v3, s28, v15
	v_sub_u32_e32 v1, v1, v3
	s_movk_i32 s0, 0x640
	v_cmp_gt_u32_e32 vcc, s0, v1
	s_movk_i32 s0, 0x63f
	v_cmp_lt_u32_e64 s[0:1], s0, v1
	s_and_saveexec_b64 s[6:7], s[0:1]
	s_cbranch_execz .LBB14_13
; %bb.3:
	v_and_b32_e32 v3, 0xffffffc0, v1
	v_add_u32_e32 v3, v2, v3
	v_cmp_ge_i32_e64 s[0:1], v3, v2
	s_mov_b64 s[10:11], -1
	s_and_saveexec_b64 s[8:9], s[0:1]
	s_cbranch_execz .LBB14_12
; %bb.4:
	v_lshrrev_b32_e32 v1, 6, v1
	v_add_u32_e32 v4, -1, v1
	v_add_u32_e32 v3, 64, v2
	v_lshrrev_b32_e32 v5, 1, v4
	v_add_u32_e32 v16, 1, v5
	v_cmp_lt_u32_e64 s[0:1], 13, v4
	v_pk_mov_b32 v[4:5], v[2:3], v[2:3] op_sel:[0,1]
	s_and_saveexec_b64 s[10:11], s[0:1]
	s_cbranch_execz .LBB14_8
; %bb.5:
	v_and_b32_e32 v17, -8, v16
	s_mov_b64 s[12:13], 0
	v_mov_b32_e32 v18, s27
	v_pk_mov_b32 v[4:5], v[2:3], v[2:3] op_sel:[0,1]
.LBB14_6:                               ; =>This Inner Loop Header: Depth=1
	v_ashrrev_i32_e32 v23, 31, v4
	v_mov_b32_e32 v22, v4
	v_lshlrev_b64 v[22:23], 2, v[22:23]
	v_ashrrev_i32_e32 v21, 31, v5
	v_mov_b32_e32 v20, v5
	v_add_co_u32_e64 v22, s[0:1], s26, v22
	v_add_u32_e32 v6, 0x80, v4
	v_lshlrev_b64 v[20:21], 2, v[20:21]
	v_addc_co_u32_e64 v23, s[0:1], v18, v23, s[0:1]
	v_ashrrev_i32_e32 v7, 31, v6
	v_add_co_u32_e64 v20, s[0:1], s26, v20
	v_add_u32_e32 v8, 0x80, v5
	v_addc_co_u32_e64 v21, s[0:1], v18, v21, s[0:1]
	v_lshlrev_b64 v[44:45], 2, v[6:7]
	v_ashrrev_i32_e32 v9, 31, v8
	global_load_dword v3, v[22:23], off
	global_load_dword v7, v[20:21], off
	v_add_co_u32_e64 v20, s[0:1], s26, v44
	v_add_u32_e32 v10, 0x100, v4
	v_lshlrev_b64 v[46:47], 2, v[8:9]
	v_addc_co_u32_e64 v21, s[0:1], v18, v45, s[0:1]
	v_ashrrev_i32_e32 v11, 31, v10
	v_add_co_u32_e64 v22, s[0:1], s26, v46
	v_add_u32_e32 v12, 0x100, v5
	v_lshlrev_b64 v[48:49], 2, v[10:11]
	v_addc_co_u32_e64 v23, s[0:1], v18, v47, s[0:1]
	v_ashrrev_i32_e32 v13, 31, v12
	;; [unrolled: 5-line block ×12, first 2 shown]
	v_add_co_u32_e64 v64, s[0:1], s26, v68
	v_lshlrev_b64 v[70:71], 2, v[42:43]
	v_addc_co_u32_e64 v65, s[0:1], v18, v69, s[0:1]
	v_add_co_u32_e64 v66, s[0:1], s26, v70
	v_addc_co_u32_e64 v67, s[0:1], v18, v71, s[0:1]
	global_load_dword v9, v[22:23], off
	global_load_dword v11, v[20:21], off
	;; [unrolled: 1-line block ×14, first 2 shown]
	v_subrev_u32_e32 v21, s57, v4
	v_add_u32_e32 v17, -8, v17
	v_subrev_u32_e32 v20, s57, v5
	v_lshlrev_b32_e32 v21, 2, v21
	v_subrev_u32_e32 v6, s57, v6
	v_cmp_eq_u32_e64 s[0:1], 0, v17
	s_waitcnt vmcnt(14)
	v_subrev_u32_e32 v7, s21, v7
	v_subrev_u32_e32 v3, s21, v3
	v_add_u32_e32 v5, 0x400, v5
	v_add_u32_e32 v4, 0x400, v4
	v_lshlrev_b32_e32 v20, 2, v20
	v_subrev_u32_e32 v8, s57, v8
	v_subrev_u32_e32 v12, s57, v12
	;; [unrolled: 1-line block ×13, first 2 shown]
	v_lshlrev_b32_e32 v6, 2, v6
	s_or_b64 s[12:13], s[0:1], s[12:13]
	ds_write_b32 v21, v3 offset:4864
	ds_write_b32 v20, v7 offset:4864
	v_lshlrev_b32_e32 v8, 2, v8
	v_lshlrev_b32_e32 v10, 2, v10
	;; [unrolled: 1-line block ×13, first 2 shown]
	s_waitcnt vmcnt(13)
	v_subrev_u32_e32 v3, s21, v9
	s_waitcnt vmcnt(12)
	v_subrev_u32_e32 v7, s21, v11
	;; [unrolled: 2-line block ×14, first 2 shown]
	ds_write_b32 v6, v7 offset:4864
	ds_write_b32 v8, v3 offset:4864
	;; [unrolled: 1-line block ×14, first 2 shown]
	s_andn2_b64 exec, exec, s[12:13]
	s_cbranch_execnz .LBB14_6
; %bb.7:
	s_or_b64 exec, exec, s[12:13]
.LBB14_8:
	s_or_b64 exec, exec, s[10:11]
	v_and_b32_e32 v3, 7, v16
	v_cmp_ne_u32_e64 s[0:1], 0, v3
	s_and_saveexec_b64 s[10:11], s[0:1]
	s_cbranch_execz .LBB14_11
; %bb.9:
	s_mov_b64 s[12:13], 0
	v_mov_b32_e32 v6, s27
.LBB14_10:                              ; =>This Inner Loop Header: Depth=1
	v_ashrrev_i32_e32 v11, 31, v4
	v_mov_b32_e32 v10, v4
	v_lshlrev_b64 v[10:11], 2, v[10:11]
	v_ashrrev_i32_e32 v9, 31, v5
	v_mov_b32_e32 v8, v5
	v_add_co_u32_e64 v10, s[0:1], s26, v10
	v_lshlrev_b64 v[8:9], 2, v[8:9]
	v_addc_co_u32_e64 v11, s[0:1], v6, v11, s[0:1]
	v_add_co_u32_e64 v8, s[0:1], s26, v8
	v_addc_co_u32_e64 v9, s[0:1], v6, v9, s[0:1]
	global_load_dword v7, v[8:9], off
	global_load_dword v12, v[10:11], off
	v_add_u32_e32 v3, -1, v3
	v_subrev_u32_e32 v9, s57, v4
	v_cmp_eq_u32_e64 s[0:1], 0, v3
	v_subrev_u32_e32 v8, s57, v5
	v_add_u32_e32 v5, 0x80, v5
	v_add_u32_e32 v4, 0x80, v4
	v_lshlrev_b32_e32 v9, 2, v9
	s_or_b64 s[12:13], s[0:1], s[12:13]
	v_lshlrev_b32_e32 v8, 2, v8
	s_waitcnt vmcnt(1)
	v_subrev_u32_e32 v7, s21, v7
	s_waitcnt vmcnt(0)
	v_subrev_u32_e32 v10, s21, v12
	ds_write_b32 v9, v10 offset:4864
	ds_write_b32 v8, v7 offset:4864
	s_andn2_b64 exec, exec, s[12:13]
	s_cbranch_execnz .LBB14_10
.LBB14_11:
	s_or_b64 exec, exec, s[10:11]
	v_add_u32_e32 v1, 1, v1
	v_and_b32_e32 v3, 0x7fffffe, v1
	v_cmp_ne_u32_e64 s[0:1], v1, v3
	v_lshl_add_u32 v2, v3, 6, v2
	s_orn2_b64 s[10:11], s[0:1], exec
.LBB14_12:
	s_or_b64 exec, exec, s[8:9]
	s_andn2_b64 s[0:1], vcc, exec
	s_and_b64 s[8:9], s[10:11], exec
	s_or_b64 vcc, s[0:1], s[8:9]
.LBB14_13:
	s_or_b64 exec, exec, s[6:7]
	s_and_b64 exec, exec, vcc
	s_cbranch_execz .LBB14_16
; %bb.14:
	v_add_u32_e32 v1, s21, v2
	v_subrev_u32_e32 v1, s28, v1
	v_mov_b32_e32 v3, 0x1300
	v_lshl_add_u32 v1, v1, 2, v3
	s_mov_b64 s[0:1], 0
	v_mov_b32_e32 v4, s27
.LBB14_15:                              ; =>This Inner Loop Header: Depth=1
	v_ashrrev_i32_e32 v3, 31, v2
	v_lshlrev_b64 v[6:7], 2, v[2:3]
	v_add_co_u32_e32 v6, vcc, s26, v6
	v_addc_co_u32_e32 v7, vcc, v4, v7, vcc
	global_load_dword v3, v[6:7], off
	v_add_u32_e32 v2, 64, v2
	v_cmp_lt_i32_e32 vcc, s33, v2
	s_or_b64 s[0:1], vcc, s[0:1]
	s_waitcnt vmcnt(0)
	v_subrev_u32_e32 v3, s21, v3
	ds_write_b32 v1, v3
	v_add_u32_e32 v1, 0x100, v1
	s_andn2_b64 exec, exec, s[0:1]
	s_cbranch_execnz .LBB14_15
.LBB14_16:
	s_or_b64 exec, exec, s[2:3]
	s_load_dwordx2 s[28:29], s[4:5], 0x20
	v_cmp_gt_u32_e32 vcc, 16, v14
	v_lshlrev_b32_e32 v6, 2, v14
	s_and_saveexec_b64 s[2:3], vcc
	s_cbranch_execz .LBB14_23
; %bb.17:
	v_sub_u32_e64 v1, 12, v14 clamp
	v_add_u32_e32 v1, 3, v1
	v_lshrrev_b32_e32 v2, 2, v1
	v_add_u32_e32 v1, 2, v2
	v_mul_u32_u24_e32 v4, 0x44, v0
	v_lshlrev_b32_e32 v5, 2, v14
	s_movk_i32 s0, 0xcc0
	v_and_b32_e32 v3, 14, v1
	v_mov_b32_e32 v1, v2
	v_add3_u32 v4, v4, v5, s0
	s_mov_b32 s10, 0
	s_mov_b64 s[6:7], 0
	v_mov_b32_e32 v5, 0
	s_branch .LBB14_19
.LBB14_18:                              ;   in Loop: Header=BB14_19 Depth=1
	s_or_b64 exec, exec, s[0:1]
	s_add_i32 s10, s10, 2
	v_cmp_eq_u32_e32 vcc, s10, v3
	s_or_b64 s[6:7], vcc, s[6:7]
	v_add_u32_e32 v4, 32, v4
	s_andn2_b64 exec, exec, s[6:7]
	s_cbranch_execz .LBB14_23
.LBB14_19:                              ; =>This Inner Loop Header: Depth=1
	s_or_b32 s0, s10, 1
	v_cmp_le_u32_e32 vcc, s0, v1
	v_cmp_le_u32_e64 s[0:1], s10, v2
	s_and_saveexec_b64 s[8:9], s[0:1]
	s_cbranch_execz .LBB14_21
; %bb.20:                               ;   in Loop: Header=BB14_19 Depth=1
	ds_write_b32 v4, v5
.LBB14_21:                              ;   in Loop: Header=BB14_19 Depth=1
	s_or_b64 exec, exec, s[8:9]
	s_and_saveexec_b64 s[0:1], vcc
	s_cbranch_execz .LBB14_18
; %bb.22:                               ;   in Loop: Header=BB14_19 Depth=1
	ds_write_b32 v4, v5 offset:16
	s_branch .LBB14_18
.LBB14_23:
	s_or_b64 exec, exec, s[2:3]
	s_load_dword s56, s[4:5], 0x8
	s_load_dword s58, s[4:5], 0x0
	s_cmp_ge_i32 s57, s33
	s_waitcnt lgkmcnt(0)
	v_cmp_gt_i32_e64 s[0:1], s56, v14
	v_xad_u32 v1, v14, -1, s56
	s_cbranch_scc1 .LBB14_232
; %bb.24:
	v_or_b32_e32 v2, v14, v0
	v_cmp_ne_u32_e64 s[4:5], 0, v2
	s_movk_i32 s60, 0x44
	v_mov_b32_e32 v2, 0xcc0
	v_lshlrev_b32_e32 v8, 2, v14
	v_mad_u32_u24 v9, v0, s60, v2
	v_lshlrev_b32_e32 v5, 2, v1
	v_add_u32_e32 v2, v9, v8
	s_movk_i32 s10, 0x43
	v_and_b32_e32 v5, -16, v5
	s_cmp_lg_u32 s58, 0
	v_cmp_lt_u32_e32 vcc, s10, v1
	s_brev_b32 s10, -4
	v_add_u32_e32 v5, v2, v5
	s_cselect_b64 s[30:31], -1, 0
	s_cmp_gt_i32 s56, 0
	v_cmp_lt_u32_e64 s[10:11], s10, v1
	v_cmp_lt_u32_e64 s[12:13], v5, v2
	s_cselect_b64 s[34:35], -1, 0
	s_or_b64 s[10:11], s[12:13], s[10:11]
	s_xor_b64 s[12:13], s[10:11], -1
	s_and_b64 s[36:37], vcc, s[12:13]
	s_mul_i32 s12, s56, s57
	v_add_u32_e32 v2, s12, v0
	v_lshrrev_b32_e32 v3, 2, v1
	v_mul_lo_u32 v18, s56, v2
	v_mov_b32_e32 v2, 0x440
	v_add_u32_e32 v3, 1, v3
	v_mad_u32_u24 v19, v0, s60, v2
	v_mov_b32_e32 v2, 0x880
	v_and_b32_e32 v4, 3, v3
	v_and_b32_e32 v10, 0x7ffffffe, v3
	v_mad_u32_u24 v13, v0, s60, v8
	v_mad_u32_u24 v21, v0, s60, v2
	;; [unrolled: 1-line block ×3, first 2 shown]
	v_cndmask_b32_e64 v2, 0, 1, s[30:31]
	v_cmp_gt_i32_e64 s[2:3], s56, v0
	s_mul_i32 s59, s56, s56
	v_mul_lo_u32 v7, v0, s56
	v_cmp_ne_u32_e64 s[6:7], 0, v4
	v_cmp_lt_u32_e64 s[8:9], 11, v1
	v_lshl_add_u32 v11, v10, 2, v14
	v_cmp_ne_u32_e64 s[10:11], v3, v10
	v_mul_u32_u24_e32 v12, 0x44, v0
	v_add_u32_e32 v16, 0x440, v13
	v_lshlrev_b32_e32 v17, 2, v4
	v_mul_lo_u32 v20, v14, s56
	s_lshl_b32 s61, s56, 2
	v_mul_u32_u24_e32 v22, 0x44, v14
	v_add_u32_e32 v24, 0xcc0, v13
	v_add_u32_e32 v25, 0x880, v13
	v_cmp_ne_u32_e64 s[12:13], 1, v2
	v_mov_b32_e32 v26, 0
	s_mov_b32 s38, s57
	s_branch .LBB14_26
.LBB14_25:                              ;   in Loop: Header=BB14_26 Depth=1
	s_or_b64 exec, exec, s[40:41]
	s_add_i32 s38, s38, 1
	s_cmp_ge_i32 s38, s33
	s_waitcnt vmcnt(0)
	buffer_wbinvl1_vol
	v_add_u32_e32 v18, s59, v18
	s_cselect_b64 s[40:41], -1, 0
	s_and_b64 vcc, exec, s[40:41]
	s_cbranch_vccnz .LBB14_232
.LBB14_26:                              ; =>This Loop Header: Depth=1
                                        ;     Child Loop BB14_31 Depth 2
                                        ;     Child Loop BB14_46 Depth 2
	;; [unrolled: 1-line block ×7, first 2 shown]
                                        ;       Child Loop BB14_164 Depth 3
                                        ;     Child Loop BB14_177 Depth 2
                                        ;       Child Loop BB14_183 Depth 3
                                        ;       Child Loop BB14_187 Depth 3
	;; [unrolled: 1-line block ×3, first 2 shown]
                                        ;     Child Loop BB14_199 Depth 2
                                        ;     Child Loop BB14_209 Depth 2
	s_ashr_i32 s39, s38, 31
	s_lshl_b64 s[40:41], s[38:39], 2
	s_add_u32 s40, s26, s40
	s_addc_u32 s41, s27, s41
	s_load_dword s62, s[40:41], 0x0
	s_waitcnt lgkmcnt(0)
	s_sub_i32 s42, s62, s21
	s_ashr_i32 s43, s42, 31
	s_lshl_b64 s[40:41], s[42:43], 2
	s_add_u32 s44, s16, s40
	s_addc_u32 s45, s17, s41
	s_load_dword s43, s[44:45], 0x0
	s_waitcnt lgkmcnt(0)
	s_cmp_eq_u32 s43, -1
	s_cbranch_scc1 .LBB14_41
; %bb.27:                               ;   in Loop: Header=BB14_26 Depth=1
	s_add_u32 s44, s24, s40
	s_addc_u32 s45, s25, s41
	s_load_dword s63, s[44:45], 0x0
	s_mul_i32 s39, s38, s56
	s_and_saveexec_b64 s[44:45], s[0:1]
	s_cbranch_execz .LBB14_86
; %bb.28:                               ;   in Loop: Header=BB14_26 Depth=1
	v_mov_b32_e32 v4, v14
	s_and_saveexec_b64 s[46:47], s[6:7]
	s_cbranch_execz .LBB14_43
; %bb.29:                               ;   in Loop: Header=BB14_26 Depth=1
	s_mov_b64 s[48:49], 0
	v_mov_b32_e32 v5, v17
	v_mov_b32_e32 v27, v16
	;; [unrolled: 1-line block ×3, first 2 shown]
	s_branch .LBB14_31
.LBB14_30:                              ;   in Loop: Header=BB14_31 Depth=2
	s_or_b64 exec, exec, s[52:53]
	v_add_u32_e32 v5, -4, v5
	v_cmp_eq_u32_e32 vcc, 0, v5
	s_waitcnt vmcnt(0)
	ds_write_b32 v27, v3 offset:1088
	ds_write_b32 v27, v26
	v_add_u32_e32 v4, 4, v4
	s_or_b64 s[48:49], vcc, s[48:49]
	v_add_u32_e32 v27, 16, v27
	s_andn2_b64 exec, exec, s[48:49]
	s_cbranch_execz .LBB14_42
.LBB14_31:                              ;   Parent Loop BB14_26 Depth=1
                                        ; =>  This Inner Loop Header: Depth=2
	s_and_b64 vcc, exec, s[12:13]
	s_cbranch_vccnz .LBB14_36
; %bb.32:                               ;   in Loop: Header=BB14_31 Depth=2
	s_mov_b64 s[52:53], 0
	s_mov_b64 s[50:51], 0
                                        ; implicit-def: $vgpr2
	s_and_saveexec_b64 s[54:55], s[2:3]
; %bb.33:                               ;   in Loop: Header=BB14_31 Depth=2
	v_add_u32_e32 v2, s39, v4
	s_mov_b64 s[50:51], exec
	v_mad_u64_u32 v[2:3], s[64:65], v2, s56, v[0:1]
; %bb.34:                               ;   in Loop: Header=BB14_31 Depth=2
	s_or_b64 exec, exec, s[54:55]
	s_mov_b32 s54, 0
	s_and_b64 vcc, exec, s[52:53]
	s_cbranch_vccnz .LBB14_37
.LBB14_35:                              ;   in Loop: Header=BB14_31 Depth=2
	v_mov_b32_e32 v3, s54
	s_and_saveexec_b64 s[52:53], s[50:51]
	s_cbranch_execz .LBB14_30
	s_branch .LBB14_40
.LBB14_36:                              ;   in Loop: Header=BB14_31 Depth=2
	s_mov_b64 s[50:51], 0
                                        ; implicit-def: $vgpr2
                                        ; implicit-def: $sgpr54
	s_cbranch_execz .LBB14_35
.LBB14_37:                              ;   in Loop: Header=BB14_31 Depth=2
                                        ; implicit-def: $vgpr2
	s_and_saveexec_b64 s[52:53], s[2:3]
; %bb.38:                               ;   in Loop: Header=BB14_31 Depth=2
	v_add_u32_e32 v2, v18, v4
	s_or_b64 s[50:51], s[50:51], exec
; %bb.39:                               ;   in Loop: Header=BB14_31 Depth=2
	s_or_b64 exec, exec, s[52:53]
	s_mov_b32 s54, 0
	v_mov_b32_e32 v3, s54
	s_and_saveexec_b64 s[52:53], s[50:51]
	s_cbranch_execz .LBB14_30
.LBB14_40:                              ;   in Loop: Header=BB14_31 Depth=2
	v_ashrrev_i32_e32 v3, 31, v2
	v_lshlrev_b64 v[2:3], 2, v[2:3]
	v_mov_b32_e32 v28, s29
	v_add_co_u32_e32 v2, vcc, s28, v2
	v_addc_co_u32_e32 v3, vcc, v28, v3, vcc
	global_load_dword v3, v[2:3], off
	s_branch .LBB14_30
.LBB14_41:                              ;   in Loop: Header=BB14_26 Depth=1
                                        ; implicit-def: $sgpr38
                                        ; implicit-def: $vgpr18
	s_cbranch_execz .LBB14_26
	s_branch .LBB14_232
.LBB14_42:                              ;   in Loop: Header=BB14_26 Depth=1
	s_or_b64 exec, exec, s[48:49]
.LBB14_43:                              ;   in Loop: Header=BB14_26 Depth=1
	s_or_b64 exec, exec, s[46:47]
	s_and_b64 exec, exec, s[8:9]
	s_cbranch_execz .LBB14_86
; %bb.44:                               ;   in Loop: Header=BB14_26 Depth=1
	v_lshl_add_u32 v5, v4, 2, v19
	s_mov_b64 s[46:47], 0
	s_branch .LBB14_46
.LBB14_45:                              ;   in Loop: Header=BB14_46 Depth=2
	s_or_b64 exec, exec, s[50:51]
	v_add_u32_e32 v4, 16, v4
	v_cmp_le_i32_e32 vcc, s56, v4
	s_waitcnt vmcnt(0)
	ds_write_b32 v5, v3 offset:1136
	ds_write_b32 v5, v26 offset:48
	s_or_b64 s[46:47], vcc, s[46:47]
	v_add_u32_e32 v5, 64, v5
	s_andn2_b64 exec, exec, s[46:47]
	s_cbranch_execz .LBB14_86
.LBB14_46:                              ;   Parent Loop BB14_26 Depth=1
                                        ; =>  This Inner Loop Header: Depth=2
	s_and_b64 vcc, exec, s[30:31]
	s_cbranch_vccz .LBB14_69
; %bb.47:                               ;   in Loop: Header=BB14_46 Depth=2
	s_mov_b64 s[50:51], 0
	s_mov_b64 s[48:49], 0
                                        ; implicit-def: $vgpr2
	s_and_saveexec_b64 s[52:53], s[2:3]
	s_xor_b64 s[52:53], exec, s[52:53]
; %bb.48:                               ;   in Loop: Header=BB14_46 Depth=2
	v_add_u32_e32 v2, s39, v4
	s_mov_b64 s[48:49], exec
	v_mad_u64_u32 v[2:3], s[54:55], v2, s56, v[0:1]
; %bb.49:                               ;   in Loop: Header=BB14_46 Depth=2
	s_or_b64 exec, exec, s[52:53]
	s_mov_b32 s52, 0
	s_and_b64 vcc, exec, s[50:51]
	s_cbranch_vccnz .LBB14_70
.LBB14_50:                              ;   in Loop: Header=BB14_46 Depth=2
	v_mov_b32_e32 v3, s52
	s_and_saveexec_b64 s[50:51], s[48:49]
	s_cbranch_execz .LBB14_52
.LBB14_51:                              ;   in Loop: Header=BB14_46 Depth=2
	v_ashrrev_i32_e32 v3, 31, v2
	v_lshlrev_b64 v[2:3], 2, v[2:3]
	v_mov_b32_e32 v27, s29
	v_add_co_u32_e32 v2, vcc, s28, v2
	v_addc_co_u32_e32 v3, vcc, v27, v3, vcc
	global_load_dword v3, v[2:3], off
.LBB14_52:                              ;   in Loop: Header=BB14_46 Depth=2
	s_or_b64 exec, exec, s[50:51]
	s_and_b64 vcc, exec, s[12:13]
	s_waitcnt vmcnt(0)
	ds_write_b32 v5, v3 offset:1088
	ds_write_b32 v5, v26
	s_cbranch_vccnz .LBB14_73
; %bb.53:                               ;   in Loop: Header=BB14_46 Depth=2
	s_mov_b64 s[50:51], 0
	s_mov_b64 s[48:49], 0
                                        ; implicit-def: $vgpr2
	s_and_saveexec_b64 s[52:53], s[2:3]
; %bb.54:                               ;   in Loop: Header=BB14_46 Depth=2
	v_add3_u32 v2, v4, s39, 4
	s_mov_b64 s[48:49], exec
	v_mad_u64_u32 v[2:3], s[54:55], v2, s56, v[0:1]
; %bb.55:                               ;   in Loop: Header=BB14_46 Depth=2
	s_or_b64 exec, exec, s[52:53]
	s_mov_b32 s52, 0
	s_and_b64 vcc, exec, s[50:51]
	s_cbranch_vccnz .LBB14_74
.LBB14_56:                              ;   in Loop: Header=BB14_46 Depth=2
	v_mov_b32_e32 v3, s52
	s_and_saveexec_b64 s[50:51], s[48:49]
	s_cbranch_execz .LBB14_58
.LBB14_57:                              ;   in Loop: Header=BB14_46 Depth=2
	v_ashrrev_i32_e32 v3, 31, v2
	v_lshlrev_b64 v[2:3], 2, v[2:3]
	v_mov_b32_e32 v27, s29
	v_add_co_u32_e32 v2, vcc, s28, v2
	v_addc_co_u32_e32 v3, vcc, v27, v3, vcc
	global_load_dword v3, v[2:3], off
.LBB14_58:                              ;   in Loop: Header=BB14_46 Depth=2
	s_or_b64 exec, exec, s[50:51]
	s_and_b64 vcc, exec, s[12:13]
	s_waitcnt vmcnt(0)
	ds_write_b32 v5, v3 offset:1104
	ds_write_b32 v5, v26 offset:16
	s_cbranch_vccnz .LBB14_77
; %bb.59:                               ;   in Loop: Header=BB14_46 Depth=2
	s_mov_b64 s[50:51], 0
	s_mov_b64 s[48:49], 0
                                        ; implicit-def: $vgpr2
	s_and_saveexec_b64 s[52:53], s[2:3]
; %bb.60:                               ;   in Loop: Header=BB14_46 Depth=2
	v_add3_u32 v2, v4, s39, 8
	s_mov_b64 s[48:49], exec
	v_mad_u64_u32 v[2:3], s[54:55], v2, s56, v[0:1]
; %bb.61:                               ;   in Loop: Header=BB14_46 Depth=2
	s_or_b64 exec, exec, s[52:53]
	s_mov_b32 s52, 0
	s_and_b64 vcc, exec, s[50:51]
	s_cbranch_vccnz .LBB14_78
.LBB14_62:                              ;   in Loop: Header=BB14_46 Depth=2
	v_mov_b32_e32 v3, s52
	s_and_saveexec_b64 s[50:51], s[48:49]
	s_cbranch_execz .LBB14_64
.LBB14_63:                              ;   in Loop: Header=BB14_46 Depth=2
	v_ashrrev_i32_e32 v3, 31, v2
	v_lshlrev_b64 v[2:3], 2, v[2:3]
	v_mov_b32_e32 v27, s29
	v_add_co_u32_e32 v2, vcc, s28, v2
	v_addc_co_u32_e32 v3, vcc, v27, v3, vcc
	global_load_dword v3, v[2:3], off
.LBB14_64:                              ;   in Loop: Header=BB14_46 Depth=2
	s_or_b64 exec, exec, s[50:51]
	s_and_b64 vcc, exec, s[12:13]
	s_waitcnt vmcnt(0)
	ds_write_b32 v5, v3 offset:1120
	ds_write_b32 v5, v26 offset:32
	s_cbranch_vccnz .LBB14_81
; %bb.65:                               ;   in Loop: Header=BB14_46 Depth=2
	s_mov_b64 s[50:51], 0
	s_mov_b64 s[48:49], 0
                                        ; implicit-def: $vgpr2
	s_and_saveexec_b64 s[52:53], s[2:3]
; %bb.66:                               ;   in Loop: Header=BB14_46 Depth=2
	v_add3_u32 v2, v4, s39, 12
	s_mov_b64 s[48:49], exec
	v_mad_u64_u32 v[2:3], s[54:55], v2, s56, v[0:1]
; %bb.67:                               ;   in Loop: Header=BB14_46 Depth=2
	s_or_b64 exec, exec, s[52:53]
	s_mov_b32 s52, 0
	s_and_b64 vcc, exec, s[50:51]
	s_cbranch_vccnz .LBB14_82
.LBB14_68:                              ;   in Loop: Header=BB14_46 Depth=2
	v_mov_b32_e32 v3, s52
	s_and_saveexec_b64 s[50:51], s[48:49]
	s_cbranch_execz .LBB14_45
	s_branch .LBB14_85
.LBB14_69:                              ;   in Loop: Header=BB14_46 Depth=2
	s_mov_b64 s[48:49], 0
                                        ; implicit-def: $vgpr2
                                        ; implicit-def: $sgpr52
	s_cbranch_execz .LBB14_50
.LBB14_70:                              ;   in Loop: Header=BB14_46 Depth=2
                                        ; implicit-def: $vgpr2
	s_and_saveexec_b64 s[50:51], s[2:3]
; %bb.71:                               ;   in Loop: Header=BB14_46 Depth=2
	v_add_u32_e32 v2, v18, v4
	s_or_b64 s[48:49], s[48:49], exec
; %bb.72:                               ;   in Loop: Header=BB14_46 Depth=2
	s_or_b64 exec, exec, s[50:51]
	s_mov_b32 s52, 0
	v_mov_b32_e32 v3, s52
	s_and_saveexec_b64 s[50:51], s[48:49]
	s_cbranch_execnz .LBB14_51
	s_branch .LBB14_52
.LBB14_73:                              ;   in Loop: Header=BB14_46 Depth=2
	s_mov_b64 s[48:49], 0
                                        ; implicit-def: $vgpr2
                                        ; implicit-def: $sgpr52
	s_cbranch_execz .LBB14_56
.LBB14_74:                              ;   in Loop: Header=BB14_46 Depth=2
                                        ; implicit-def: $vgpr2
	s_and_saveexec_b64 s[50:51], s[2:3]
; %bb.75:                               ;   in Loop: Header=BB14_46 Depth=2
	v_add3_u32 v2, v18, v4, 4
	s_or_b64 s[48:49], s[48:49], exec
; %bb.76:                               ;   in Loop: Header=BB14_46 Depth=2
	s_or_b64 exec, exec, s[50:51]
	s_mov_b32 s52, 0
	v_mov_b32_e32 v3, s52
	s_and_saveexec_b64 s[50:51], s[48:49]
	s_cbranch_execnz .LBB14_57
	s_branch .LBB14_58
.LBB14_77:                              ;   in Loop: Header=BB14_46 Depth=2
	s_mov_b64 s[48:49], 0
                                        ; implicit-def: $vgpr2
                                        ; implicit-def: $sgpr52
	s_cbranch_execz .LBB14_62
.LBB14_78:                              ;   in Loop: Header=BB14_46 Depth=2
                                        ; implicit-def: $vgpr2
	s_and_saveexec_b64 s[50:51], s[2:3]
; %bb.79:                               ;   in Loop: Header=BB14_46 Depth=2
	v_add3_u32 v2, v18, v4, 8
	s_or_b64 s[48:49], s[48:49], exec
; %bb.80:                               ;   in Loop: Header=BB14_46 Depth=2
	s_or_b64 exec, exec, s[50:51]
	s_mov_b32 s52, 0
	v_mov_b32_e32 v3, s52
	s_and_saveexec_b64 s[50:51], s[48:49]
	s_cbranch_execnz .LBB14_63
	s_branch .LBB14_64
.LBB14_81:                              ;   in Loop: Header=BB14_46 Depth=2
	s_mov_b64 s[48:49], 0
                                        ; implicit-def: $vgpr2
                                        ; implicit-def: $sgpr52
	s_cbranch_execz .LBB14_68
.LBB14_82:                              ;   in Loop: Header=BB14_46 Depth=2
                                        ; implicit-def: $vgpr2
	s_and_saveexec_b64 s[50:51], s[2:3]
; %bb.83:                               ;   in Loop: Header=BB14_46 Depth=2
	v_add3_u32 v2, v18, v4, 12
	s_or_b64 s[48:49], s[48:49], exec
; %bb.84:                               ;   in Loop: Header=BB14_46 Depth=2
	s_or_b64 exec, exec, s[50:51]
	s_mov_b32 s52, 0
	v_mov_b32_e32 v3, s52
	s_and_saveexec_b64 s[50:51], s[48:49]
	s_cbranch_execz .LBB14_45
.LBB14_85:                              ;   in Loop: Header=BB14_46 Depth=2
	v_ashrrev_i32_e32 v3, 31, v2
	v_lshlrev_b64 v[2:3], 2, v[2:3]
	v_mov_b32_e32 v27, s29
	v_add_co_u32_e32 v2, vcc, s28, v2
	v_addc_co_u32_e32 v3, vcc, v27, v3, vcc
	global_load_dword v3, v[2:3], off
	s_branch .LBB14_45
.LBB14_86:                              ;   in Loop: Header=BB14_26 Depth=1
	s_or_b64 exec, exec, s[44:45]
	ds_read_b32 v2, v26 offset:4864
	s_waitcnt lgkmcnt(0)
	s_sub_i32 s44, s63, s21
	s_cmp_le_i32 s44, s43
	s_cselect_b64 s[46:47], -1, 0
	s_mov_b32 s52, 0
	v_cmp_ge_i32_e32 vcc, s42, v2
	s_and_b64 s[46:47], s[46:47], vcc
	s_andn2_b64 vcc, exec, s[46:47]
	s_cbranch_vccnz .LBB14_98
; %bb.87:                               ;   in Loop: Header=BB14_26 Depth=1
	s_mov_b32 s48, 0
	s_mov_b32 s49, 0
.LBB14_88:                              ;   Parent Loop BB14_26 Depth=1
                                        ; =>  This Inner Loop Header: Depth=2
	s_ashr_i32 s45, s44, 31
	s_lshl_b64 s[46:47], s[44:45], 2
	s_add_u32 s46, s26, s46
	s_addc_u32 s47, s27, s47
	s_load_dword s45, s[46:47], 0x0
	s_lshl_b32 s46, s49, 2
	v_mov_b32_e32 v2, s46
	ds_read_b32 v2, v2 offset:4864
	s_mov_b64 s[46:47], -1
	s_waitcnt lgkmcnt(0)
	s_sub_i32 s53, s45, s21
                                        ; implicit-def: $sgpr52
                                        ; implicit-def: $sgpr51
                                        ; implicit-def: $sgpr50
	v_cmp_ge_i32_e32 vcc, s53, v2
	v_readfirstlane_b32 s45, v2
	s_cbranch_vccz .LBB14_94
; %bb.89:                               ;   in Loop: Header=BB14_88 Depth=2
	s_cmp_le_i32 s53, s45
                                        ; implicit-def: $sgpr52
                                        ; implicit-def: $sgpr51
                                        ; implicit-def: $sgpr50
	s_cbranch_scc0 .LBB14_91
; %bb.90:                               ;   in Loop: Header=BB14_88 Depth=2
	s_add_i32 s46, s49, s57
	s_mul_i32 s46, s46, s59
	s_lshl_b32 s47, s48, 2
	v_mov_b32_e32 v3, s46
	s_mul_i32 s46, s44, s59
	v_mov_b32_e32 v2, s47
	v_mov_b32_e32 v4, s46
	ds_write2st64_b32 v2, v4, v3 offset0:17 offset1:18
	s_add_i32 s50, s49, 1
	s_add_i32 s51, s44, 1
	;; [unrolled: 1-line block ×3, first 2 shown]
	s_mov_b64 s[46:47], 0
.LBB14_91:                              ;   in Loop: Header=BB14_88 Depth=2
	s_andn2_b64 vcc, exec, s[46:47]
	s_cbranch_vccnz .LBB14_93
; %bb.92:                               ;   in Loop: Header=BB14_88 Depth=2
	s_add_i32 s50, s49, 1
	s_mov_b32 s52, s48
	s_mov_b32 s51, s44
.LBB14_93:                              ;   in Loop: Header=BB14_88 Depth=2
	s_mov_b64 s[46:47], 0
.LBB14_94:                              ;   in Loop: Header=BB14_88 Depth=2
	s_andn2_b64 vcc, exec, s[46:47]
	s_cbranch_vccnz .LBB14_96
; %bb.95:                               ;   in Loop: Header=BB14_88 Depth=2
	s_add_i32 s51, s44, 1
	s_mov_b32 s50, s49
	s_mov_b32 s52, s48
.LBB14_96:                              ;   in Loop: Header=BB14_88 Depth=2
	s_cmp_le_i32 s51, s43
	s_cselect_b64 s[46:47], -1, 0
	s_cmp_le_i32 s45, s42
	s_cselect_b64 s[44:45], -1, 0
	s_and_b64 s[44:45], s[46:47], s[44:45]
	s_and_b64 vcc, exec, s[44:45]
	s_cbranch_vccz .LBB14_98
; %bb.97:                               ;   in Loop: Header=BB14_88 Depth=2
	s_mov_b32 s48, s52
	s_mov_b32 s44, s51
	;; [unrolled: 1-line block ×3, first 2 shown]
	s_branch .LBB14_88
.LBB14_98:                              ;   in Loop: Header=BB14_26 Depth=1
	s_add_u32 s40, s18, s40
	s_addc_u32 s41, s19, s41
	s_waitcnt lgkmcnt(0)
.LBB14_99:                              ;   Parent Loop BB14_26 Depth=1
                                        ; =>  This Inner Loop Header: Depth=2
	global_load_dword v2, v26, s[40:41] glc
	s_waitcnt vmcnt(0)
	v_cmp_eq_u32_e32 vcc, 0, v2
	s_cbranch_vccnz .LBB14_99
; %bb.100:                              ;   in Loop: Header=BB14_26 Depth=1
	buffer_wbinvl1_vol
	s_and_saveexec_b64 s[40:41], s[0:1]
	s_cbranch_execz .LBB14_158
; %bb.101:                              ;   in Loop: Header=BB14_26 Depth=1
	s_mul_i32 s53, s43, s56
	v_add_u32_e32 v2, s53, v0
	v_mul_lo_u32 v4, v2, s56
	v_mov_b32_e32 v5, v14
	s_and_saveexec_b64 s[42:43], s[6:7]
	s_cbranch_execz .LBB14_115
; %bb.102:                              ;   in Loop: Header=BB14_26 Depth=1
	s_mov_b64 s[44:45], 0
	v_mov_b32_e32 v27, v17
	v_mov_b32_e32 v28, v13
	v_mov_b32_e32 v5, v14
	s_branch .LBB14_104
.LBB14_103:                             ;   in Loop: Header=BB14_104 Depth=2
	s_or_b64 exec, exec, s[48:49]
	v_add_u32_e32 v27, -4, v27
	v_cmp_eq_u32_e32 vcc, 0, v27
	s_waitcnt vmcnt(0)
	ds_write_b32 v28, v3
	v_add_u32_e32 v5, 4, v5
	s_or_b64 s[44:45], vcc, s[44:45]
	v_add_u32_e32 v28, 16, v28
	s_andn2_b64 exec, exec, s[44:45]
	s_cbranch_execz .LBB14_114
.LBB14_104:                             ;   Parent Loop BB14_26 Depth=1
                                        ; =>  This Inner Loop Header: Depth=2
	s_and_b64 vcc, exec, s[12:13]
	s_cbranch_vccnz .LBB14_109
; %bb.105:                              ;   in Loop: Header=BB14_104 Depth=2
	s_mov_b64 s[48:49], 0
	s_mov_b64 s[46:47], 0
                                        ; implicit-def: $vgpr2
	s_and_saveexec_b64 s[50:51], s[2:3]
; %bb.106:                              ;   in Loop: Header=BB14_104 Depth=2
	v_add_u32_e32 v2, s53, v5
	s_mov_b64 s[46:47], exec
	v_mad_u64_u32 v[2:3], s[54:55], v2, s56, v[0:1]
; %bb.107:                              ;   in Loop: Header=BB14_104 Depth=2
	s_or_b64 exec, exec, s[50:51]
	s_mov_b32 s50, 0
	s_and_b64 vcc, exec, s[48:49]
	s_cbranch_vccnz .LBB14_110
.LBB14_108:                             ;   in Loop: Header=BB14_104 Depth=2
	v_mov_b32_e32 v3, s50
	s_and_saveexec_b64 s[48:49], s[46:47]
	s_cbranch_execz .LBB14_103
	s_branch .LBB14_113
.LBB14_109:                             ;   in Loop: Header=BB14_104 Depth=2
	s_mov_b64 s[46:47], 0
                                        ; implicit-def: $vgpr2
                                        ; implicit-def: $sgpr50
	s_cbranch_execz .LBB14_108
.LBB14_110:                             ;   in Loop: Header=BB14_104 Depth=2
                                        ; implicit-def: $vgpr2
	s_and_saveexec_b64 s[48:49], s[2:3]
; %bb.111:                              ;   in Loop: Header=BB14_104 Depth=2
	v_add_u32_e32 v2, v4, v5
	s_or_b64 s[46:47], s[46:47], exec
; %bb.112:                              ;   in Loop: Header=BB14_104 Depth=2
	s_or_b64 exec, exec, s[48:49]
	s_mov_b32 s50, 0
	v_mov_b32_e32 v3, s50
	s_and_saveexec_b64 s[48:49], s[46:47]
	s_cbranch_execz .LBB14_103
.LBB14_113:                             ;   in Loop: Header=BB14_104 Depth=2
	v_ashrrev_i32_e32 v3, 31, v2
	v_lshlrev_b64 v[2:3], 2, v[2:3]
	v_mov_b32_e32 v29, s29
	v_add_co_u32_e32 v2, vcc, s28, v2
	v_addc_co_u32_e32 v3, vcc, v29, v3, vcc
	global_load_dword v3, v[2:3], off
	s_branch .LBB14_103
.LBB14_114:                             ;   in Loop: Header=BB14_26 Depth=1
	s_or_b64 exec, exec, s[44:45]
.LBB14_115:                             ;   in Loop: Header=BB14_26 Depth=1
	s_or_b64 exec, exec, s[42:43]
	s_and_b64 exec, exec, s[8:9]
	s_cbranch_execz .LBB14_158
; %bb.116:                              ;   in Loop: Header=BB14_26 Depth=1
	v_lshl_add_u32 v27, v5, 2, v12
	s_mov_b64 s[42:43], 0
	s_branch .LBB14_118
.LBB14_117:                             ;   in Loop: Header=BB14_118 Depth=2
	s_or_b64 exec, exec, s[46:47]
	v_add_u32_e32 v5, 16, v5
	v_cmp_le_i32_e32 vcc, s56, v5
	s_waitcnt vmcnt(0)
	ds_write_b32 v27, v3 offset:48
	s_or_b64 s[42:43], vcc, s[42:43]
	v_add_u32_e32 v27, 64, v27
	s_andn2_b64 exec, exec, s[42:43]
	s_cbranch_execz .LBB14_158
.LBB14_118:                             ;   Parent Loop BB14_26 Depth=1
                                        ; =>  This Inner Loop Header: Depth=2
	s_and_b64 vcc, exec, s[30:31]
	s_cbranch_vccz .LBB14_138
; %bb.119:                              ;   in Loop: Header=BB14_118 Depth=2
	s_mov_b64 s[46:47], 0
	s_mov_b64 s[44:45], 0
                                        ; implicit-def: $vgpr2
	s_and_saveexec_b64 s[48:49], s[2:3]
	s_xor_b64 s[48:49], exec, s[48:49]
; %bb.120:                              ;   in Loop: Header=BB14_118 Depth=2
	v_add_u32_e32 v2, s53, v5
	s_mov_b64 s[44:45], exec
	v_mad_u64_u32 v[2:3], s[50:51], v2, s56, v[0:1]
; %bb.121:                              ;   in Loop: Header=BB14_118 Depth=2
	s_or_b64 exec, exec, s[48:49]
	s_mov_b32 s48, 0
	s_and_b64 vcc, exec, s[46:47]
	s_cbranch_vccnz .LBB14_139
.LBB14_122:                             ;   in Loop: Header=BB14_118 Depth=2
	v_mov_b32_e32 v3, s48
	s_and_saveexec_b64 s[46:47], s[44:45]
	s_cbranch_execnz .LBB14_142
.LBB14_123:                             ;   in Loop: Header=BB14_118 Depth=2
	s_or_b64 exec, exec, s[46:47]
	s_and_b64 vcc, exec, s[12:13]
	ds_write_b32 v27, v3
	s_cbranch_vccnz .LBB14_143
.LBB14_124:                             ;   in Loop: Header=BB14_118 Depth=2
	s_mov_b64 s[46:47], 0
	s_mov_b64 s[44:45], 0
                                        ; implicit-def: $vgpr2
	s_and_saveexec_b64 s[48:49], s[2:3]
; %bb.125:                              ;   in Loop: Header=BB14_118 Depth=2
	v_add3_u32 v2, v5, s53, 4
	s_mov_b64 s[44:45], exec
	v_mad_u64_u32 v[2:3], s[50:51], v2, s56, v[0:1]
; %bb.126:                              ;   in Loop: Header=BB14_118 Depth=2
	s_or_b64 exec, exec, s[48:49]
	s_mov_b32 s48, 0
	s_and_b64 vcc, exec, s[46:47]
	s_cbranch_vccnz .LBB14_144
.LBB14_127:                             ;   in Loop: Header=BB14_118 Depth=2
	v_mov_b32_e32 v3, s48
	s_and_saveexec_b64 s[46:47], s[44:45]
	s_cbranch_execnz .LBB14_147
.LBB14_128:                             ;   in Loop: Header=BB14_118 Depth=2
	s_or_b64 exec, exec, s[46:47]
	s_and_b64 vcc, exec, s[12:13]
	ds_write_b32 v27, v3 offset:16
	s_cbranch_vccnz .LBB14_148
.LBB14_129:                             ;   in Loop: Header=BB14_118 Depth=2
	s_mov_b64 s[46:47], 0
	s_mov_b64 s[44:45], 0
                                        ; implicit-def: $vgpr2
	s_and_saveexec_b64 s[48:49], s[2:3]
; %bb.130:                              ;   in Loop: Header=BB14_118 Depth=2
	v_add3_u32 v2, v5, s53, 8
	s_mov_b64 s[44:45], exec
	v_mad_u64_u32 v[2:3], s[50:51], v2, s56, v[0:1]
; %bb.131:                              ;   in Loop: Header=BB14_118 Depth=2
	s_or_b64 exec, exec, s[48:49]
	s_mov_b32 s48, 0
	s_and_b64 vcc, exec, s[46:47]
	s_cbranch_vccnz .LBB14_149
.LBB14_132:                             ;   in Loop: Header=BB14_118 Depth=2
	v_mov_b32_e32 v3, s48
	s_and_saveexec_b64 s[46:47], s[44:45]
	s_cbranch_execnz .LBB14_152
.LBB14_133:                             ;   in Loop: Header=BB14_118 Depth=2
	s_or_b64 exec, exec, s[46:47]
	s_and_b64 vcc, exec, s[12:13]
	ds_write_b32 v27, v3 offset:32
	s_cbranch_vccnz .LBB14_153
.LBB14_134:                             ;   in Loop: Header=BB14_118 Depth=2
	s_mov_b64 s[46:47], 0
	s_mov_b64 s[44:45], 0
                                        ; implicit-def: $vgpr2
	s_and_saveexec_b64 s[48:49], s[2:3]
; %bb.135:                              ;   in Loop: Header=BB14_118 Depth=2
	v_add3_u32 v2, v5, s53, 12
	s_mov_b64 s[44:45], exec
	v_mad_u64_u32 v[2:3], s[50:51], v2, s56, v[0:1]
; %bb.136:                              ;   in Loop: Header=BB14_118 Depth=2
	s_or_b64 exec, exec, s[48:49]
	s_mov_b32 s48, 0
	s_and_b64 vcc, exec, s[46:47]
	s_cbranch_vccnz .LBB14_154
.LBB14_137:                             ;   in Loop: Header=BB14_118 Depth=2
	v_mov_b32_e32 v3, s48
	s_and_saveexec_b64 s[46:47], s[44:45]
	s_cbranch_execz .LBB14_117
	s_branch .LBB14_157
.LBB14_138:                             ;   in Loop: Header=BB14_118 Depth=2
	s_mov_b64 s[44:45], 0
                                        ; implicit-def: $vgpr2
                                        ; implicit-def: $sgpr48
	s_cbranch_execz .LBB14_122
.LBB14_139:                             ;   in Loop: Header=BB14_118 Depth=2
                                        ; implicit-def: $vgpr2
	s_and_saveexec_b64 s[46:47], s[2:3]
; %bb.140:                              ;   in Loop: Header=BB14_118 Depth=2
	v_add_u32_e32 v2, v4, v5
	s_or_b64 s[44:45], s[44:45], exec
; %bb.141:                              ;   in Loop: Header=BB14_118 Depth=2
	s_or_b64 exec, exec, s[46:47]
	s_mov_b32 s48, 0
	v_mov_b32_e32 v3, s48
	s_and_saveexec_b64 s[46:47], s[44:45]
	s_cbranch_execz .LBB14_123
.LBB14_142:                             ;   in Loop: Header=BB14_118 Depth=2
	v_ashrrev_i32_e32 v3, 31, v2
	v_lshlrev_b64 v[2:3], 2, v[2:3]
	v_mov_b32_e32 v28, s29
	v_add_co_u32_e32 v2, vcc, s28, v2
	v_addc_co_u32_e32 v3, vcc, v28, v3, vcc
	global_load_dword v3, v[2:3], off
	s_or_b64 exec, exec, s[46:47]
	s_and_b64 vcc, exec, s[12:13]
	s_waitcnt vmcnt(0)
	ds_write_b32 v27, v3
	s_cbranch_vccz .LBB14_124
.LBB14_143:                             ;   in Loop: Header=BB14_118 Depth=2
	s_mov_b64 s[44:45], 0
                                        ; implicit-def: $vgpr2
                                        ; implicit-def: $sgpr48
	s_cbranch_execz .LBB14_127
.LBB14_144:                             ;   in Loop: Header=BB14_118 Depth=2
                                        ; implicit-def: $vgpr2
	s_and_saveexec_b64 s[46:47], s[2:3]
; %bb.145:                              ;   in Loop: Header=BB14_118 Depth=2
	v_add3_u32 v2, v4, v5, 4
	s_or_b64 s[44:45], s[44:45], exec
; %bb.146:                              ;   in Loop: Header=BB14_118 Depth=2
	s_or_b64 exec, exec, s[46:47]
	s_mov_b32 s48, 0
	v_mov_b32_e32 v3, s48
	s_and_saveexec_b64 s[46:47], s[44:45]
	s_cbranch_execz .LBB14_128
.LBB14_147:                             ;   in Loop: Header=BB14_118 Depth=2
	v_ashrrev_i32_e32 v3, 31, v2
	v_lshlrev_b64 v[2:3], 2, v[2:3]
	v_mov_b32_e32 v28, s29
	v_add_co_u32_e32 v2, vcc, s28, v2
	v_addc_co_u32_e32 v3, vcc, v28, v3, vcc
	global_load_dword v3, v[2:3], off
	s_or_b64 exec, exec, s[46:47]
	s_and_b64 vcc, exec, s[12:13]
	s_waitcnt vmcnt(0)
	ds_write_b32 v27, v3 offset:16
	s_cbranch_vccz .LBB14_129
.LBB14_148:                             ;   in Loop: Header=BB14_118 Depth=2
	s_mov_b64 s[44:45], 0
                                        ; implicit-def: $vgpr2
                                        ; implicit-def: $sgpr48
	s_cbranch_execz .LBB14_132
.LBB14_149:                             ;   in Loop: Header=BB14_118 Depth=2
                                        ; implicit-def: $vgpr2
	s_and_saveexec_b64 s[46:47], s[2:3]
; %bb.150:                              ;   in Loop: Header=BB14_118 Depth=2
	v_add3_u32 v2, v4, v5, 8
	s_or_b64 s[44:45], s[44:45], exec
; %bb.151:                              ;   in Loop: Header=BB14_118 Depth=2
	s_or_b64 exec, exec, s[46:47]
	s_mov_b32 s48, 0
	v_mov_b32_e32 v3, s48
	s_and_saveexec_b64 s[46:47], s[44:45]
	s_cbranch_execz .LBB14_133
.LBB14_152:                             ;   in Loop: Header=BB14_118 Depth=2
	v_ashrrev_i32_e32 v3, 31, v2
	v_lshlrev_b64 v[2:3], 2, v[2:3]
	v_mov_b32_e32 v28, s29
	v_add_co_u32_e32 v2, vcc, s28, v2
	v_addc_co_u32_e32 v3, vcc, v28, v3, vcc
	global_load_dword v3, v[2:3], off
	s_or_b64 exec, exec, s[46:47]
	s_and_b64 vcc, exec, s[12:13]
	s_waitcnt vmcnt(0)
	ds_write_b32 v27, v3 offset:32
	s_cbranch_vccz .LBB14_134
.LBB14_153:                             ;   in Loop: Header=BB14_118 Depth=2
	s_mov_b64 s[44:45], 0
                                        ; implicit-def: $vgpr2
                                        ; implicit-def: $sgpr48
	s_cbranch_execz .LBB14_137
.LBB14_154:                             ;   in Loop: Header=BB14_118 Depth=2
                                        ; implicit-def: $vgpr2
	s_and_saveexec_b64 s[46:47], s[2:3]
; %bb.155:                              ;   in Loop: Header=BB14_118 Depth=2
	v_add3_u32 v2, v4, v5, 12
	s_or_b64 s[44:45], s[44:45], exec
; %bb.156:                              ;   in Loop: Header=BB14_118 Depth=2
	s_or_b64 exec, exec, s[46:47]
	s_mov_b32 s48, 0
	v_mov_b32_e32 v3, s48
	s_and_saveexec_b64 s[46:47], s[44:45]
	s_cbranch_execz .LBB14_117
.LBB14_157:                             ;   in Loop: Header=BB14_118 Depth=2
	v_ashrrev_i32_e32 v3, 31, v2
	v_lshlrev_b64 v[2:3], 2, v[2:3]
	v_mov_b32_e32 v28, s29
	v_add_co_u32_e32 v2, vcc, s28, v2
	v_addc_co_u32_e32 v3, vcc, v28, v3, vcc
	global_load_dword v3, v[2:3], off
	s_branch .LBB14_117
.LBB14_158:                             ;   in Loop: Header=BB14_26 Depth=1
	s_or_b64 exec, exec, s[40:41]
	s_cmp_lt_i32 s52, 2
	s_cbranch_scc1 .LBB14_174
; %bb.159:                              ;   in Loop: Header=BB14_26 Depth=1
	s_add_i32 s46, s52, -2
	s_mov_b32 s47, 0
	s_branch .LBB14_161
.LBB14_160:                             ;   in Loop: Header=BB14_161 Depth=2
	s_or_b64 exec, exec, s[40:41]
	s_add_i32 s40, s47, 1
	s_cmp_eq_u32 s47, s46
	s_mov_b32 s47, s40
	s_cbranch_scc1 .LBB14_174
.LBB14_161:                             ;   Parent Loop BB14_26 Depth=1
                                        ; =>  This Loop Header: Depth=2
                                        ;       Child Loop BB14_164 Depth 3
	s_and_saveexec_b64 s[40:41], s[0:1]
	s_cbranch_execz .LBB14_160
; %bb.162:                              ;   in Loop: Header=BB14_161 Depth=2
	s_lshl_b32 s42, s47, 2
	v_mov_b32_e32 v2, s42
	ds_read2st64_b32 v[2:3], v2 offset0:17 offset1:18
	s_mov_b64 s[42:43], 0
	v_mov_b32_e32 v31, v14
	s_waitcnt lgkmcnt(0)
	v_add_u32_e32 v27, v3, v7
	v_add_u32_e32 v28, v0, v3
	;; [unrolled: 1-line block ×4, first 2 shown]
	s_branch .LBB14_164
.LBB14_163:                             ;   in Loop: Header=BB14_164 Depth=3
	v_lshlrev_b32_e32 v2, 2, v31
	v_mad_u32_u24 v2, v0, s60, v2
	ds_read_b32 v4, v2 offset:1088
	v_add_u32_e32 v31, 4, v31
	v_cmp_le_i32_e32 vcc, s56, v31
	v_add_u32_e32 v29, 4, v29
	s_or_b64 s[42:43], vcc, s[42:43]
	s_waitcnt lgkmcnt(0)
	v_add_f32_e32 v3, v3, v4
	v_add_u32_e32 v30, s61, v30
	ds_write_b32 v2, v3 offset:1088
	s_andn2_b64 exec, exec, s[42:43]
	s_cbranch_execz .LBB14_160
.LBB14_164:                             ;   Parent Loop BB14_26 Depth=1
                                        ;     Parent Loop BB14_161 Depth=2
                                        ; =>    This Inner Loop Header: Depth=3
	s_mov_b32 s48, 0
	v_mov_b32_e32 v32, 0
	v_mov_b32_e32 v2, v29
	;; [unrolled: 1-line block ×3, first 2 shown]
	s_and_b64 vcc, exec, s[30:31]
	s_cbranch_vccz .LBB14_168
.LBB14_165:                             ;   in Loop: Header=BB14_164 Depth=3
	v_ashrrev_i32_e32 v3, 31, v2
	v_lshlrev_b64 v[34:35], 2, v[2:3]
	v_mov_b32_e32 v3, s29
	v_add_co_u32_e32 v34, vcc, s28, v34
	v_addc_co_u32_e32 v35, vcc, v3, v35, vcc
	global_load_dword v3, v[34:35], off
	v_mov_b32_e32 v5, 0
	s_and_saveexec_b64 s[44:45], s[2:3]
	s_cbranch_execz .LBB14_167
; %bb.166:                              ;   in Loop: Header=BB14_164 Depth=3
	v_ashrrev_i32_e32 v5, 31, v4
	v_lshlrev_b64 v[34:35], 2, v[4:5]
	v_mov_b32_e32 v5, s29
	v_add_co_u32_e32 v34, vcc, s28, v34
	v_addc_co_u32_e32 v35, vcc, v5, v35, vcc
	global_load_dword v5, v[34:35], off
.LBB14_167:                             ;   in Loop: Header=BB14_164 Depth=3
	s_or_b64 exec, exec, s[44:45]
	s_waitcnt vmcnt(0)
	v_fma_f32 v3, v3, v5, v32
	s_branch .LBB14_172
.LBB14_168:                             ;   in Loop: Header=BB14_164 Depth=3
                                        ; implicit-def: $vgpr3
	s_cbranch_execz .LBB14_172
; %bb.169:                              ;   in Loop: Header=BB14_164 Depth=3
	v_add_u32_e32 v34, s48, v30
	v_ashrrev_i32_e32 v35, 31, v34
	v_lshlrev_b64 v[34:35], 2, v[34:35]
	v_mov_b32_e32 v3, s29
	v_add_co_u32_e32 v34, vcc, s28, v34
	v_addc_co_u32_e32 v35, vcc, v3, v35, vcc
	global_load_dword v3, v[34:35], off
	v_mov_b32_e32 v5, 0
	s_and_saveexec_b64 s[44:45], s[2:3]
	s_cbranch_execz .LBB14_171
; %bb.170:                              ;   in Loop: Header=BB14_164 Depth=3
	v_add_u32_e32 v34, s48, v27
	v_ashrrev_i32_e32 v35, 31, v34
	v_lshlrev_b64 v[34:35], 2, v[34:35]
	v_mov_b32_e32 v5, s29
	v_add_co_u32_e32 v34, vcc, s28, v34
	v_addc_co_u32_e32 v35, vcc, v5, v35, vcc
	global_load_dword v5, v[34:35], off
.LBB14_171:                             ;   in Loop: Header=BB14_164 Depth=3
	s_or_b64 exec, exec, s[44:45]
	s_waitcnt vmcnt(0)
	v_fmac_f32_e32 v32, v3, v5
	v_mov_b32_e32 v3, v32
.LBB14_172:                             ;   in Loop: Header=BB14_164 Depth=3
	s_add_i32 s48, s48, 1
	v_add_u32_e32 v4, s56, v4
	s_cmp_eq_u32 s56, s48
	v_add_u32_e32 v2, s56, v2
	s_cbranch_scc1 .LBB14_163
; %bb.173:                              ;   in Loop: Header=BB14_164 Depth=3
	v_mov_b32_e32 v32, v3
	s_and_b64 vcc, exec, s[30:31]
	s_cbranch_vccnz .LBB14_165
	s_branch .LBB14_168
.LBB14_174:                             ;   in Loop: Header=BB14_26 Depth=1
	s_andn2_b64 vcc, exec, s[34:35]
	s_waitcnt lgkmcnt(0)
	s_cbranch_vccnz .LBB14_194
; %bb.175:                              ;   in Loop: Header=BB14_26 Depth=1
	s_mov_b32 s48, 0
	s_mov_b32 s49, 0
	s_movk_i32 s50, 0x880
	v_mov_b32_e32 v4, v23
	s_branch .LBB14_177
.LBB14_176:                             ;   in Loop: Header=BB14_177 Depth=2
	s_or_b64 exec, exec, s[40:41]
	s_add_i32 s49, s49, 1
	s_addk_i32 s48, 0x44
	s_add_i32 s50, s50, 4
	s_cmp_eq_u32 s49, s56
	v_add_u32_e32 v4, 4, v4
	s_waitcnt lgkmcnt(0)
	s_cbranch_scc1 .LBB14_194
.LBB14_177:                             ;   Parent Loop BB14_26 Depth=1
                                        ; =>  This Loop Header: Depth=2
                                        ;       Child Loop BB14_183 Depth 3
                                        ;       Child Loop BB14_187 Depth 3
	;; [unrolled: 1-line block ×3, first 2 shown]
	s_lshl_b32 s40, s49, 2
	s_mul_i32 s41, s49, 0x44
	s_add_i32 s41, s40, s41
	v_mov_b32_e32 v2, s41
	ds_read_b32 v5, v2
	v_mov_b32_e32 v2, s40
	v_mad_u32_u24 v3, v0, s60, v2
	ds_read_b32 v2, v3 offset:2176
	s_waitcnt lgkmcnt(1)
	v_cmp_neq_f32_e32 vcc, 0, v5
	s_or_b64 s[40:41], vcc, s[4:5]
	v_cndmask_b32_e32 v5, 1.0, v5, vcc
	s_xor_b64 s[42:43], s[40:41], -1
	s_and_saveexec_b64 s[40:41], s[42:43]
	s_cbranch_execz .LBB14_181
; %bb.178:                              ;   in Loop: Header=BB14_177 Depth=2
	v_mbcnt_lo_u32_b32 v5, exec_lo, 0
	v_mbcnt_hi_u32_b32 v5, exec_hi, v5
	v_cmp_eq_u32_e32 vcc, 0, v5
	s_and_saveexec_b64 s[42:43], vcc
	s_cbranch_execz .LBB14_180
; %bb.179:                              ;   in Loop: Header=BB14_177 Depth=2
	v_mov_b32_e32 v5, s62
	global_atomic_smin v26, v5, s[22:23]
.LBB14_180:                             ;   in Loop: Header=BB14_177 Depth=2
	s_or_b64 exec, exec, s[42:43]
	v_mov_b32_e32 v5, 1.0
.LBB14_181:                             ;   in Loop: Header=BB14_177 Depth=2
	s_or_b64 exec, exec, s[40:41]
	v_lshl_add_u32 v27, s49, 2, v12
	ds_read_b32 v27, v27 offset:1088
	s_cmp_eq_u32 s49, 0
	s_cbranch_scc1 .LBB14_184
; %bb.182:                              ;   in Loop: Header=BB14_177 Depth=2
	s_mov_b32 s40, 0
	v_mov_b32_e32 v28, v21
	s_mov_b32 s41, s48
.LBB14_183:                             ;   Parent Loop BB14_26 Depth=1
                                        ;     Parent Loop BB14_177 Depth=2
                                        ; =>    This Inner Loop Header: Depth=3
	v_mov_b32_e32 v29, s41
	ds_read_b32 v30, v28
	ds_read_b32 v29, v29
	s_add_i32 s40, s40, 1
	s_add_i32 s41, s41, 4
	v_add_u32_e32 v28, 4, v28
	s_cmp_ge_u32 s40, s49
	s_waitcnt lgkmcnt(0)
	v_fmac_f32_e32 v27, v29, v30
	s_cbranch_scc0 .LBB14_183
.LBB14_184:                             ;   in Loop: Header=BB14_177 Depth=2
	s_waitcnt lgkmcnt(0)
	v_sub_f32_e32 v2, v2, v27
	v_div_scale_f32 v27, s[40:41], v5, v5, v2
	v_rcp_f32_e32 v28, v27
	v_div_scale_f32 v29, vcc, v2, v5, v2
	v_add_u32_e32 v3, 0x880, v3
	v_fma_f32 v30, -v27, v28, 1.0
	v_fmac_f32_e32 v28, v30, v28
	v_mul_f32_e32 v30, v29, v28
	v_fma_f32 v31, -v27, v30, v29
	v_fmac_f32_e32 v30, v31, v28
	v_fma_f32 v27, -v27, v30, v29
	v_div_fmas_f32 v27, v27, v28, v30
	v_div_fixup_f32 v2, v27, v5, v2
	ds_write_b32 v3, v2
	s_waitcnt lgkmcnt(0)
	s_and_saveexec_b64 s[40:41], s[0:1]
	s_cbranch_execz .LBB14_176
; %bb.185:                              ;   in Loop: Header=BB14_177 Depth=2
	s_mov_b64 s[44:45], -1
	v_mov_b32_e32 v3, v14
	v_mov_b32_e32 v5, v22
	v_mov_b32_e32 v27, v8
	s_and_saveexec_b64 s[42:43], s[36:37]
	s_cbranch_execz .LBB14_191
; %bb.186:                              ;   in Loop: Header=BB14_177 Depth=2
	v_mov_b32_e32 v3, v2
	s_mov_b64 s[44:45], 0
	v_mov_b32_e32 v5, v10
	v_mov_b32_e32 v27, v24
	;; [unrolled: 1-line block ×3, first 2 shown]
.LBB14_187:                             ;   Parent Loop BB14_26 Depth=1
                                        ;     Parent Loop BB14_177 Depth=2
                                        ; =>    This Inner Loop Header: Depth=3
	ds_read2_b32 v[30:31], v28 offset1:68
	ds_read2_b32 v[32:33], v27 offset1:4
	v_add_u32_e32 v5, -2, v5
	v_cmp_eq_u32_e32 vcc, 0, v5
	v_add_u32_e32 v28, 0x220, v28
	s_or_b64 s[44:45], vcc, s[44:45]
	s_waitcnt lgkmcnt(0)
	v_pk_fma_f32 v[30:31], v[2:3], v[30:31], v[32:33]
	ds_write2_b32 v27, v30, v31 offset1:4
	v_add_u32_e32 v27, 32, v27
	s_andn2_b64 exec, exec, s[44:45]
	s_cbranch_execnz .LBB14_187
; %bb.188:                              ;   in Loop: Header=BB14_177 Depth=2
	s_or_b64 exec, exec, s[44:45]
	s_mov_b64 s[44:45], 0
                                        ; implicit-def: $vgpr5
                                        ; implicit-def: $vgpr27
	s_and_saveexec_b64 s[46:47], s[10:11]
	s_xor_b64 s[46:47], exec, s[46:47]
; %bb.189:                              ;   in Loop: Header=BB14_177 Depth=2
	s_mov_b64 s[44:45], exec
	v_mul_lo_u32 v5, v11, s60
	v_lshlrev_b32_e32 v27, 2, v11
; %bb.190:                              ;   in Loop: Header=BB14_177 Depth=2
	s_or_b64 exec, exec, s[46:47]
	s_orn2_b64 s[44:45], s[44:45], exec
	v_mov_b32_e32 v3, v11
.LBB14_191:                             ;   in Loop: Header=BB14_177 Depth=2
	s_or_b64 exec, exec, s[42:43]
	s_and_b64 exec, exec, s[44:45]
	s_cbranch_execz .LBB14_176
; %bb.192:                              ;   in Loop: Header=BB14_177 Depth=2
	v_add_u32_e32 v5, s50, v5
	v_add_u32_e32 v27, v9, v27
	s_mov_b64 s[42:43], 0
.LBB14_193:                             ;   Parent Loop BB14_26 Depth=1
                                        ;     Parent Loop BB14_177 Depth=2
                                        ; =>    This Inner Loop Header: Depth=3
	ds_read_b32 v28, v5
	ds_read_b32 v29, v27
	v_add_u32_e32 v3, 4, v3
	v_cmp_le_i32_e32 vcc, s56, v3
	v_add_u32_e32 v5, 0x110, v5
	s_or_b64 s[42:43], vcc, s[42:43]
	s_waitcnt lgkmcnt(0)
	v_fmac_f32_e32 v29, v2, v28
	ds_write_b32 v27, v29
	v_add_u32_e32 v27, 16, v27
	s_andn2_b64 exec, exec, s[42:43]
	s_cbranch_execnz .LBB14_193
	s_branch .LBB14_176
.LBB14_194:                             ;   in Loop: Header=BB14_26 Depth=1
	s_and_saveexec_b64 s[40:41], s[0:1]
	s_cbranch_execz .LBB14_25
; %bb.195:                              ;   in Loop: Header=BB14_26 Depth=1
	v_mov_b32_e32 v4, v14
	s_and_saveexec_b64 s[42:43], s[6:7]
	s_cbranch_execz .LBB14_205
; %bb.196:                              ;   in Loop: Header=BB14_26 Depth=1
	s_mov_b64 s[44:45], 0
	v_mov_b32_e32 v5, v17
	v_mov_b32_e32 v27, v25
	;; [unrolled: 1-line block ×3, first 2 shown]
	s_branch .LBB14_199
.LBB14_197:                             ;   in Loop: Header=BB14_199 Depth=2
	v_ashrrev_i32_e32 v3, 31, v2
	v_lshlrev_b64 v[2:3], 2, v[2:3]
	v_mov_b32_e32 v29, s29
	v_add_co_u32_e32 v2, vcc, s28, v2
	v_addc_co_u32_e32 v3, vcc, v29, v3, vcc
	s_waitcnt lgkmcnt(0)
	global_store_dword v[2:3], v28, off
.LBB14_198:                             ;   in Loop: Header=BB14_199 Depth=2
	s_or_b64 exec, exec, s[46:47]
	v_add_u32_e32 v5, -4, v5
	v_cmp_eq_u32_e32 vcc, 0, v5
	v_add_u32_e32 v4, 4, v4
	s_or_b64 s[44:45], vcc, s[44:45]
	v_add_u32_e32 v27, 16, v27
	s_andn2_b64 exec, exec, s[44:45]
	s_cbranch_execz .LBB14_204
.LBB14_199:                             ;   Parent Loop BB14_26 Depth=1
                                        ; =>  This Inner Loop Header: Depth=2
	s_and_saveexec_b64 s[46:47], s[2:3]
	s_cbranch_execz .LBB14_198
; %bb.200:                              ;   in Loop: Header=BB14_199 Depth=2
	ds_read_b32 v28, v27
	s_and_b64 vcc, exec, s[12:13]
	s_cbranch_vccnz .LBB14_202
; %bb.201:                              ;   in Loop: Header=BB14_199 Depth=2
	v_add_u32_e32 v2, s39, v4
	v_mad_u64_u32 v[2:3], s[48:49], v2, s56, v[0:1]
	s_cbranch_execnz .LBB14_197
	s_branch .LBB14_203
.LBB14_202:                             ;   in Loop: Header=BB14_199 Depth=2
                                        ; implicit-def: $vgpr2
.LBB14_203:                             ;   in Loop: Header=BB14_199 Depth=2
	v_add_u32_e32 v2, v18, v4
	s_branch .LBB14_197
.LBB14_204:                             ;   in Loop: Header=BB14_26 Depth=1
	s_or_b64 exec, exec, s[44:45]
.LBB14_205:                             ;   in Loop: Header=BB14_26 Depth=1
	s_or_b64 exec, exec, s[42:43]
	s_and_b64 exec, exec, s[8:9]
	s_cbranch_execz .LBB14_25
; %bb.206:                              ;   in Loop: Header=BB14_26 Depth=1
	v_lshl_add_u32 v5, v4, 2, v21
	s_mov_b64 s[42:43], 0
	s_branch .LBB14_209
.LBB14_207:                             ;   in Loop: Header=BB14_209 Depth=2
	v_ashrrev_i32_e32 v3, 31, v2
	v_lshlrev_b64 v[2:3], 2, v[2:3]
	v_mov_b32_e32 v28, s29
	v_add_co_u32_e32 v2, vcc, s28, v2
	v_addc_co_u32_e32 v3, vcc, v28, v3, vcc
	s_waitcnt lgkmcnt(0)
	global_store_dword v[2:3], v27, off
.LBB14_208:                             ;   in Loop: Header=BB14_209 Depth=2
	s_or_b64 exec, exec, s[44:45]
	v_add_u32_e32 v4, 16, v4
	v_cmp_le_i32_e32 vcc, s56, v4
	s_or_b64 s[42:43], vcc, s[42:43]
	v_add_u32_e32 v5, 64, v5
	s_andn2_b64 exec, exec, s[42:43]
	s_cbranch_execz .LBB14_25
.LBB14_209:                             ;   Parent Loop BB14_26 Depth=1
                                        ; =>  This Inner Loop Header: Depth=2
	s_and_saveexec_b64 s[44:45], s[2:3]
	s_cbranch_execnz .LBB14_213
; %bb.210:                              ;   in Loop: Header=BB14_209 Depth=2
	s_or_b64 exec, exec, s[44:45]
	s_and_saveexec_b64 s[44:45], s[2:3]
	s_cbranch_execnz .LBB14_217
.LBB14_211:                             ;   in Loop: Header=BB14_209 Depth=2
	s_or_b64 exec, exec, s[44:45]
	s_and_saveexec_b64 s[44:45], s[2:3]
	s_cbranch_execnz .LBB14_221
.LBB14_212:                             ;   in Loop: Header=BB14_209 Depth=2
	s_or_b64 exec, exec, s[44:45]
	s_and_saveexec_b64 s[44:45], s[2:3]
	s_cbranch_execz .LBB14_208
	s_branch .LBB14_225
.LBB14_213:                             ;   in Loop: Header=BB14_209 Depth=2
	ds_read_b32 v27, v5
	s_and_b64 vcc, exec, s[30:31]
	s_cbranch_vccz .LBB14_227
; %bb.214:                              ;   in Loop: Header=BB14_209 Depth=2
	v_add_u32_e32 v2, s39, v4
	v_mad_u64_u32 v[2:3], s[46:47], v2, s56, v[0:1]
	s_cbranch_execnz .LBB14_216
.LBB14_215:                             ;   in Loop: Header=BB14_209 Depth=2
	v_add_u32_e32 v2, v18, v4
.LBB14_216:                             ;   in Loop: Header=BB14_209 Depth=2
	v_ashrrev_i32_e32 v3, 31, v2
	v_lshlrev_b64 v[2:3], 2, v[2:3]
	v_mov_b32_e32 v28, s29
	v_add_co_u32_e32 v2, vcc, s28, v2
	v_addc_co_u32_e32 v3, vcc, v28, v3, vcc
	s_waitcnt lgkmcnt(0)
	global_store_dword v[2:3], v27, off
	s_or_b64 exec, exec, s[44:45]
	s_and_saveexec_b64 s[44:45], s[2:3]
	s_cbranch_execz .LBB14_211
.LBB14_217:                             ;   in Loop: Header=BB14_209 Depth=2
	ds_read_b32 v27, v5 offset:16
	s_and_b64 vcc, exec, s[12:13]
	s_cbranch_vccnz .LBB14_228
; %bb.218:                              ;   in Loop: Header=BB14_209 Depth=2
	v_add3_u32 v2, v4, s39, 4
	v_mad_u64_u32 v[2:3], s[46:47], v2, s56, v[0:1]
	s_cbranch_execnz .LBB14_220
.LBB14_219:                             ;   in Loop: Header=BB14_209 Depth=2
	v_add3_u32 v2, v18, v4, 4
.LBB14_220:                             ;   in Loop: Header=BB14_209 Depth=2
	v_ashrrev_i32_e32 v3, 31, v2
	v_lshlrev_b64 v[2:3], 2, v[2:3]
	v_mov_b32_e32 v28, s29
	v_add_co_u32_e32 v2, vcc, s28, v2
	v_addc_co_u32_e32 v3, vcc, v28, v3, vcc
	s_waitcnt lgkmcnt(0)
	global_store_dword v[2:3], v27, off
	s_or_b64 exec, exec, s[44:45]
	s_and_saveexec_b64 s[44:45], s[2:3]
	s_cbranch_execz .LBB14_212
.LBB14_221:                             ;   in Loop: Header=BB14_209 Depth=2
	ds_read_b32 v27, v5 offset:32
	s_and_b64 vcc, exec, s[12:13]
	s_cbranch_vccnz .LBB14_229
; %bb.222:                              ;   in Loop: Header=BB14_209 Depth=2
	v_add3_u32 v2, v4, s39, 8
	v_mad_u64_u32 v[2:3], s[46:47], v2, s56, v[0:1]
	s_cbranch_execnz .LBB14_224
.LBB14_223:                             ;   in Loop: Header=BB14_209 Depth=2
	v_add3_u32 v2, v18, v4, 8
.LBB14_224:                             ;   in Loop: Header=BB14_209 Depth=2
	v_ashrrev_i32_e32 v3, 31, v2
	v_lshlrev_b64 v[2:3], 2, v[2:3]
	v_mov_b32_e32 v28, s29
	v_add_co_u32_e32 v2, vcc, s28, v2
	v_addc_co_u32_e32 v3, vcc, v28, v3, vcc
	s_waitcnt lgkmcnt(0)
	global_store_dword v[2:3], v27, off
	s_or_b64 exec, exec, s[44:45]
	s_and_saveexec_b64 s[44:45], s[2:3]
	s_cbranch_execz .LBB14_208
.LBB14_225:                             ;   in Loop: Header=BB14_209 Depth=2
	ds_read_b32 v27, v5 offset:48
	s_and_b64 vcc, exec, s[12:13]
	s_cbranch_vccnz .LBB14_230
; %bb.226:                              ;   in Loop: Header=BB14_209 Depth=2
	v_add3_u32 v2, v4, s39, 12
	v_mad_u64_u32 v[2:3], s[46:47], v2, s56, v[0:1]
	s_cbranch_execnz .LBB14_207
	s_branch .LBB14_231
.LBB14_227:                             ;   in Loop: Header=BB14_209 Depth=2
                                        ; implicit-def: $vgpr2
	s_branch .LBB14_215
.LBB14_228:                             ;   in Loop: Header=BB14_209 Depth=2
                                        ; implicit-def: $vgpr2
	s_branch .LBB14_219
.LBB14_229:                             ;   in Loop: Header=BB14_209 Depth=2
                                        ; implicit-def: $vgpr2
	s_branch .LBB14_223
.LBB14_230:                             ;   in Loop: Header=BB14_209 Depth=2
                                        ; implicit-def: $vgpr2
.LBB14_231:                             ;   in Loop: Header=BB14_209 Depth=2
	v_add3_u32 v2, v18, v4, 12
	s_branch .LBB14_207
.LBB14_232:
	v_cmp_gt_i32_e64 s[0:1], s56, v14
	s_and_saveexec_b64 s[4:5], s[0:1]
	s_cbranch_execz .LBB14_245
; %bb.233:
	s_mul_i32 s24, s33, s56
	v_add_u32_e32 v2, s24, v0
	s_cmp_lg_u32 s58, 0
	v_mul_lo_u32 v4, v2, s56
	v_mul_u32_u24_e32 v2, 0x44, v0
	v_lshlrev_b32_e32 v3, 2, v14
	s_movk_i32 s8, 0x880
	s_cselect_b64 s[6:7], -1, 0
	v_cmp_gt_i32_e64 s[2:3], s56, v0
	v_add3_u32 v5, v2, v3, s8
	s_mov_b64 s[8:9], 0
	v_mov_b32_e32 v7, v14
	s_branch .LBB14_235
.LBB14_234:                             ;   in Loop: Header=BB14_235 Depth=1
	s_or_b64 exec, exec, s[12:13]
	v_add_u32_e32 v7, 4, v7
	v_cmp_le_i32_e32 vcc, s56, v7
	s_waitcnt vmcnt(0)
	ds_write_b32 v5, v3
	s_or_b64 s[8:9], vcc, s[8:9]
	v_add_u32_e32 v5, 16, v5
	s_andn2_b64 exec, exec, s[8:9]
	s_cbranch_execz .LBB14_245
.LBB14_235:                             ; =>This Inner Loop Header: Depth=1
	s_and_b64 vcc, exec, s[6:7]
	s_cbranch_vccz .LBB14_240
; %bb.236:                              ;   in Loop: Header=BB14_235 Depth=1
	s_mov_b64 s[12:13], 0
	s_mov_b64 s[10:11], 0
                                        ; implicit-def: $vgpr2
	s_and_saveexec_b64 s[16:17], s[2:3]
	s_xor_b64 s[16:17], exec, s[16:17]
; %bb.237:                              ;   in Loop: Header=BB14_235 Depth=1
	v_add_u32_e32 v2, s24, v7
	s_mov_b64 s[10:11], exec
	v_mad_u64_u32 v[2:3], s[26:27], v2, s56, v[0:1]
; %bb.238:                              ;   in Loop: Header=BB14_235 Depth=1
	s_or_b64 exec, exec, s[16:17]
	s_mov_b32 s16, 0
	s_and_b64 vcc, exec, s[12:13]
	s_cbranch_vccnz .LBB14_241
.LBB14_239:                             ;   in Loop: Header=BB14_235 Depth=1
	v_mov_b32_e32 v3, s16
	s_and_saveexec_b64 s[12:13], s[10:11]
	s_cbranch_execz .LBB14_234
	s_branch .LBB14_244
.LBB14_240:                             ;   in Loop: Header=BB14_235 Depth=1
	s_mov_b64 s[10:11], 0
                                        ; implicit-def: $vgpr2
                                        ; implicit-def: $sgpr16
	s_cbranch_execz .LBB14_239
.LBB14_241:                             ;   in Loop: Header=BB14_235 Depth=1
                                        ; implicit-def: $vgpr2
	s_and_saveexec_b64 s[12:13], s[2:3]
; %bb.242:                              ;   in Loop: Header=BB14_235 Depth=1
	v_add_u32_e32 v2, v4, v7
	s_or_b64 s[10:11], s[10:11], exec
; %bb.243:                              ;   in Loop: Header=BB14_235 Depth=1
	s_or_b64 exec, exec, s[12:13]
	s_mov_b32 s16, 0
	v_mov_b32_e32 v3, s16
	s_and_saveexec_b64 s[12:13], s[10:11]
	s_cbranch_execz .LBB14_234
.LBB14_244:                             ;   in Loop: Header=BB14_235 Depth=1
	v_ashrrev_i32_e32 v3, 31, v2
	v_lshlrev_b64 v[2:3], 2, v[2:3]
	v_mov_b32_e32 v8, s29
	v_add_co_u32_e32 v2, vcc, s28, v2
	v_addc_co_u32_e32 v3, vcc, v8, v3, vcc
	global_load_dword v3, v[2:3], off
	s_branch .LBB14_234
.LBB14_245:
	s_or_b64 exec, exec, s[4:5]
; %bb.246:
	s_cmp_lt_i32 s56, 1
	s_waitcnt lgkmcnt(0)
	s_cbranch_scc1 .LBB14_271
; %bb.247:
	v_or_b32_e32 v2, v14, v0
	v_cmp_ne_u32_e64 s[2:3], 0, v2
	s_movk_i32 s34, 0x44
	v_mov_b32_e32 v2, 0xcc0
	v_mad_u32_u24 v7, v0, s34, v2
	v_lshrrev_b32_e32 v2, 2, v1
	v_add_u32_e32 v3, 1, v2
	v_add_u32_e32 v2, -1, v2
	v_lshrrev_b32_e32 v9, 1, v2
	s_movk_i32 s4, 0x43
	v_add_u32_e32 v11, 1, v9
	v_cmp_lt_u32_e32 vcc, s4, v1
	v_lshlrev_b32_e32 v9, 2, v1
	s_brev_b32 s4, -4
	v_and_b32_e32 v9, -16, v9
	v_cmp_lt_u32_e64 s[4:5], s4, v1
	v_add_u32_e32 v1, v7, v6
	v_add_u32_e32 v9, v1, v9
	v_cmp_lt_u32_e64 s[6:7], v9, v1
	s_or_b64 s[4:5], s[6:7], s[4:5]
	v_and_b32_e32 v12, 0x7ffffffe, v3
	v_mul_u32_u24_e32 v4, 0x44, v0
	s_movk_i32 s35, 0x880
	s_xor_b64 s[10:11], s[4:5], -1
	v_lshl_add_u32 v9, v12, 2, v14
	v_and_b32_e32 v10, 7, v11
	v_cmp_lt_u32_e64 s[4:5], 13, v2
	v_mov_b32_e32 v2, 0x880
	s_mov_b32 s30, 0
	s_add_i32 s31, s20, s21
	v_add3_u32 v5, v4, v15, s35
	v_add_u32_e32 v8, v7, v15
	v_and_b32_e32 v11, -8, v11
	v_cmp_ne_u32_e64 s[6:7], 0, v10
	v_cmp_ne_u32_e64 s[8:9], v3, v12
	s_and_b64 s[12:13], vcc, s[10:11]
	v_mul_u32_u24_e32 v12, 0x44, v14
	v_mad_u32_u24 v13, v14, s34, v2
	s_mov_b32 s36, 0xf800000
	v_mov_b32_e32 v15, 0x260
	v_mov_b32_e32 v16, 0
	s_movk_i32 s37, 0x110
	v_mul_lo_u32 v17, v9, s34
	v_lshlrev_b32_e32 v18, 2, v9
	s_branch .LBB14_249
.LBB14_248:                             ;   in Loop: Header=BB14_249 Depth=1
	s_or_b64 exec, exec, s[10:11]
	s_add_i32 s30, s30, 1
	s_add_i32 s35, s35, 4
	s_cmp_eq_u32 s30, s56
	v_add_u32_e32 v13, 4, v13
	s_waitcnt lgkmcnt(0)
	s_cbranch_scc1 .LBB14_271
.LBB14_249:                             ; =>This Loop Header: Depth=1
                                        ;     Child Loop BB14_260 Depth 2
                                        ;     Child Loop BB14_264 Depth 2
	;; [unrolled: 1-line block ×3, first 2 shown]
	v_cmp_eq_u32_e32 vcc, s30, v0
	s_and_saveexec_b64 s[16:17], vcc
	s_cbranch_execz .LBB14_251
; %bb.250:                              ;   in Loop: Header=BB14_249 Depth=1
	ds_read_b32 v2, v5
	ds_read_b32 v3, v8
	s_waitcnt lgkmcnt(0)
	v_sub_f32_e32 v2, v2, v3
	v_cmp_gt_f32_e32 vcc, 0, v2
	v_cndmask_b32_e64 v2, v2, -v2, vcc
	v_mul_f32_e32 v3, 0x4f800000, v2
	v_cmp_gt_f32_e32 vcc, s36, v2
	v_cndmask_b32_e32 v2, v2, v3, vcc
	v_sqrt_f32_e32 v3, v2
	v_add_u32_e32 v19, -1, v3
	v_add_u32_e32 v20, 1, v3
	v_fma_f32 v21, -v19, v3, v2
	v_fma_f32 v22, -v20, v3, v2
	v_cmp_ge_f32_e64 s[10:11], 0, v21
	v_cndmask_b32_e64 v3, v3, v19, s[10:11]
	v_cmp_lt_f32_e64 s[10:11], 0, v22
	v_cndmask_b32_e64 v3, v3, v20, s[10:11]
	v_mul_f32_e32 v19, 0x37800000, v3
	v_cndmask_b32_e32 v3, v3, v19, vcc
	v_cmp_class_f32_e32 vcc, v2, v15
	v_cndmask_b32_e32 v2, v3, v2, vcc
	ds_write_b32 v5, v2
.LBB14_251:                             ;   in Loop: Header=BB14_249 Depth=1
	s_or_b64 exec, exec, s[16:17]
	s_lshl_b32 s10, s30, 2
	s_mul_i32 s11, s30, 0x44
	s_add_i32 s11, s11, s10
	v_mov_b32_e32 v2, s11
	s_waitcnt lgkmcnt(0)
	ds_read_b32 v19, v2 offset:2176
	v_mov_b32_e32 v2, s10
	v_mad_u32_u24 v2, v0, s34, v2
	ds_read_b32 v3, v2 offset:2176
	s_waitcnt lgkmcnt(1)
	v_cmp_neq_f32_e32 vcc, 0, v19
	s_or_b64 s[10:11], vcc, s[2:3]
	v_cndmask_b32_e32 v19, 1.0, v19, vcc
	s_xor_b64 s[16:17], s[10:11], -1
	s_and_saveexec_b64 s[10:11], s[16:17]
	s_cbranch_execz .LBB14_255
; %bb.252:                              ;   in Loop: Header=BB14_249 Depth=1
	v_mbcnt_lo_u32_b32 v19, exec_lo, 0
	v_mbcnt_hi_u32_b32 v19, exec_hi, v19
	v_cmp_eq_u32_e32 vcc, 0, v19
	s_and_saveexec_b64 s[16:17], vcc
	s_cbranch_execz .LBB14_254
; %bb.253:                              ;   in Loop: Header=BB14_249 Depth=1
	v_mov_b32_e32 v19, s31
	global_atomic_smin v16, v19, s[22:23]
.LBB14_254:                             ;   in Loop: Header=BB14_249 Depth=1
	s_or_b64 exec, exec, s[16:17]
	v_mov_b32_e32 v19, 1.0
.LBB14_255:                             ;   in Loop: Header=BB14_249 Depth=1
	s_or_b64 exec, exec, s[10:11]
	v_cmp_lt_u32_e32 vcc, s30, v0
	s_and_saveexec_b64 s[10:11], vcc
	s_cbranch_execz .LBB14_248
; %bb.256:                              ;   in Loop: Header=BB14_249 Depth=1
	v_lshl_add_u32 v20, s30, 2, v4
	ds_read_b32 v20, v20 offset:3264
	v_add_u32_e32 v22, 0x880, v2
	s_waitcnt lgkmcnt(0)
	v_sub_f32_e32 v3, v3, v20
	v_div_scale_f32 v20, s[16:17], v19, v19, v3
	v_rcp_f32_e32 v21, v20
	v_div_scale_f32 v2, vcc, v3, v19, v3
	v_fma_f32 v23, -v20, v21, 1.0
	v_fmac_f32_e32 v21, v23, v21
	v_mul_f32_e32 v23, v2, v21
	v_fma_f32 v24, -v20, v23, v2
	v_fmac_f32_e32 v23, v24, v21
	v_fma_f32 v2, -v20, v23, v2
	v_div_fmas_f32 v2, v2, v21, v23
	v_div_fixup_f32 v2, v2, v19, v3
	ds_write_b32 v22, v2
	s_waitcnt lgkmcnt(0)
	s_and_b64 exec, exec, s[0:1]
	s_cbranch_execz .LBB14_248
; %bb.257:                              ;   in Loop: Header=BB14_249 Depth=1
	s_mov_b64 s[24:25], -1
	v_mov_b32_e32 v3, v14
	v_mov_b32_e32 v19, v12
	;; [unrolled: 1-line block ×3, first 2 shown]
	s_and_saveexec_b64 s[16:17], s[12:13]
	s_cbranch_execz .LBB14_268
; %bb.258:                              ;   in Loop: Header=BB14_249 Depth=1
	v_mov_b32_e32 v3, v2
	v_mov_b32_e32 v22, 0
	s_and_saveexec_b64 s[24:25], s[4:5]
	s_cbranch_execz .LBB14_262
; %bb.259:                              ;   in Loop: Header=BB14_249 Depth=1
	s_mov_b32 s38, 0
	s_mov_b64 s[26:27], 0
	v_mov_b32_e32 v19, v11
	v_mov_b32_e32 v20, v1
	;; [unrolled: 1-line block ×3, first 2 shown]
.LBB14_260:                             ;   Parent Loop BB14_249 Depth=1
                                        ; =>  This Inner Loop Header: Depth=2
	ds_read2_b32 v[22:23], v21 offset1:68
	ds_read2_b32 v[24:25], v20 offset1:4
	ds_read2_b32 v[26:27], v20 offset0:8 offset1:12
	ds_read2_b32 v[28:29], v21 offset0:136 offset1:204
	v_add_u32_e32 v34, 0x800, v21
	v_add_u32_e32 v19, -8, v19
	s_waitcnt lgkmcnt(2)
	v_pk_fma_f32 v[22:23], v[2:3], v[22:23], v[24:25]
	s_add_i32 s38, s38, 16
	s_waitcnt lgkmcnt(0)
	v_pk_fma_f32 v[24:25], v[2:3], v[28:29], v[26:27]
	ds_write2_b32 v20, v22, v23 offset1:4
	ds_write2_b32 v20, v24, v25 offset0:8 offset1:12
	v_add_u32_e32 v26, 0x400, v21
	ds_read2_b32 v[22:23], v26 offset0:16 offset1:84
	ds_read2_b32 v[24:25], v20 offset0:16 offset1:20
	;; [unrolled: 1-line block ×6, first 2 shown]
	v_cmp_eq_u32_e32 vcc, 0, v19
	s_waitcnt lgkmcnt(4)
	v_pk_fma_f32 v[22:23], v[2:3], v[22:23], v[24:25]
	ds_write2_b32 v20, v22, v23 offset0:16 offset1:20
	s_waitcnt lgkmcnt(3)
	v_pk_fma_f32 v[22:23], v[2:3], v[26:27], v[28:29]
	ds_write2_b32 v20, v22, v23 offset0:24 offset1:28
	;; [unrolled: 3-line block ×3, first 2 shown]
	ds_read2_b32 v[22:23], v34 offset0:168 offset1:236
	ds_read2_b32 v[24:25], v20 offset0:40 offset1:44
	v_add_u32_e32 v30, 0xc00, v21
	ds_read2_b32 v[26:27], v30 offset0:48 offset1:116
	ds_read2_b32 v[28:29], v20 offset0:48 offset1:52
	;; [unrolled: 1-line block ×4, first 2 shown]
	v_add_u32_e32 v21, 0x1100, v21
	s_or_b64 s[26:27], vcc, s[26:27]
	s_waitcnt lgkmcnt(4)
	v_pk_fma_f32 v[22:23], v[2:3], v[22:23], v[24:25]
	ds_write2_b32 v20, v22, v23 offset0:40 offset1:44
	s_waitcnt lgkmcnt(3)
	v_pk_fma_f32 v[22:23], v[2:3], v[26:27], v[28:29]
	ds_write2_b32 v20, v22, v23 offset0:48 offset1:52
	;; [unrolled: 3-line block ×3, first 2 shown]
	v_add_u32_e32 v20, 0x100, v20
	v_mov_b32_e32 v22, s38
	s_andn2_b64 exec, exec, s[26:27]
	s_cbranch_execnz .LBB14_260
; %bb.261:                              ;   in Loop: Header=BB14_249 Depth=1
	s_or_b64 exec, exec, s[26:27]
.LBB14_262:                             ;   in Loop: Header=BB14_249 Depth=1
	s_or_b64 exec, exec, s[24:25]
	s_and_saveexec_b64 s[24:25], s[6:7]
	s_cbranch_execz .LBB14_265
; %bb.263:                              ;   in Loop: Header=BB14_249 Depth=1
	v_lshl_add_u32 v19, v22, 4, v1
	v_mul_lo_u32 v20, v22, s37
	s_mov_b64 s[26:27], 0
	v_mov_b32_e32 v21, v10
.LBB14_264:                             ;   Parent Loop BB14_249 Depth=1
                                        ; =>  This Inner Loop Header: Depth=2
	v_add_u32_e32 v24, v13, v20
	ds_read2_b32 v[22:23], v19 offset1:4
	ds_read2_b32 v[24:25], v24 offset1:68
	v_add_u32_e32 v21, -1, v21
	v_cmp_eq_u32_e32 vcc, 0, v21
	s_or_b64 s[26:27], vcc, s[26:27]
	v_add_u32_e32 v20, 0x220, v20
	s_waitcnt lgkmcnt(0)
	v_pk_fma_f32 v[22:23], v[2:3], v[24:25], v[22:23]
	ds_write2_b32 v19, v22, v23 offset1:4
	v_add_u32_e32 v19, 32, v19
	s_andn2_b64 exec, exec, s[26:27]
	s_cbranch_execnz .LBB14_264
.LBB14_265:                             ;   in Loop: Header=BB14_249 Depth=1
	s_or_b64 exec, exec, s[24:25]
	s_mov_b64 s[24:25], 0
	s_and_saveexec_b64 s[26:27], s[8:9]
; %bb.266:                              ;   in Loop: Header=BB14_249 Depth=1
	s_mov_b64 s[24:25], exec
; %bb.267:                              ;   in Loop: Header=BB14_249 Depth=1
	s_or_b64 exec, exec, s[26:27]
	s_orn2_b64 s[24:25], s[24:25], exec
	v_mov_b32_e32 v3, v9
	v_mov_b32_e32 v19, v17
	;; [unrolled: 1-line block ×3, first 2 shown]
.LBB14_268:                             ;   in Loop: Header=BB14_249 Depth=1
	s_or_b64 exec, exec, s[16:17]
	s_and_b64 exec, exec, s[24:25]
	s_cbranch_execz .LBB14_248
; %bb.269:                              ;   in Loop: Header=BB14_249 Depth=1
	v_add_u32_e32 v19, s35, v19
	v_add_u32_e32 v20, v7, v20
	s_mov_b64 s[16:17], 0
.LBB14_270:                             ;   Parent Loop BB14_249 Depth=1
                                        ; =>  This Inner Loop Header: Depth=2
	ds_read_b32 v21, v19
	ds_read_b32 v22, v20
	v_add_u32_e32 v3, 4, v3
	v_cmp_le_i32_e32 vcc, s56, v3
	v_add_u32_e32 v19, 0x110, v19
	s_or_b64 s[16:17], vcc, s[16:17]
	s_waitcnt lgkmcnt(0)
	v_fmac_f32_e32 v22, v2, v21
	ds_write_b32 v20, v22
	v_add_u32_e32 v20, 16, v20
	s_andn2_b64 exec, exec, s[16:17]
	s_cbranch_execnz .LBB14_270
	s_branch .LBB14_248
.LBB14_271:
	s_and_saveexec_b64 s[2:3], s[0:1]
	s_cbranch_execz .LBB14_280
; %bb.272:
	s_mul_i32 s33, s33, s56
	s_cmp_lg_u32 s58, 0
	v_add_u32_e32 v1, s33, v0
	v_mul_u32_u24_e32 v2, 0x44, v0
	s_movk_i32 s6, 0x880
	v_cmp_gt_i32_e64 s[0:1], s56, v0
	s_cselect_b64 s[4:5], -1, 0
	v_mul_lo_u32 v1, v1, s56
	v_add3_u32 v4, v2, v6, s6
	s_mov_b64 s[6:7], 0
	v_mov_b32_e32 v5, v14
	s_branch .LBB14_275
.LBB14_273:                             ;   in Loop: Header=BB14_275 Depth=1
	v_ashrrev_i32_e32 v3, 31, v2
	v_lshlrev_b64 v[2:3], 2, v[2:3]
	v_mov_b32_e32 v7, s29
	v_add_co_u32_e32 v2, vcc, s28, v2
	v_addc_co_u32_e32 v3, vcc, v7, v3, vcc
	s_waitcnt lgkmcnt(0)
	global_store_dword v[2:3], v6, off
.LBB14_274:                             ;   in Loop: Header=BB14_275 Depth=1
	s_or_b64 exec, exec, s[8:9]
	v_add_u32_e32 v5, 4, v5
	v_cmp_le_i32_e32 vcc, s56, v5
	s_or_b64 s[6:7], vcc, s[6:7]
	v_add_u32_e32 v4, 16, v4
	s_andn2_b64 exec, exec, s[6:7]
	s_cbranch_execz .LBB14_280
.LBB14_275:                             ; =>This Inner Loop Header: Depth=1
	s_and_saveexec_b64 s[8:9], s[0:1]
	s_cbranch_execz .LBB14_274
; %bb.276:                              ;   in Loop: Header=BB14_275 Depth=1
	ds_read_b32 v6, v4
	s_and_b64 vcc, exec, s[4:5]
	s_cbranch_vccz .LBB14_278
; %bb.277:                              ;   in Loop: Header=BB14_275 Depth=1
	v_add_u32_e32 v2, s33, v5
	v_mad_u64_u32 v[2:3], s[10:11], v2, s56, v[0:1]
	s_cbranch_execnz .LBB14_273
	s_branch .LBB14_279
.LBB14_278:                             ;   in Loop: Header=BB14_275 Depth=1
                                        ; implicit-def: $vgpr2
.LBB14_279:                             ;   in Loop: Header=BB14_275 Depth=1
	v_add_u32_e32 v2, v1, v5
	s_branch .LBB14_273
.LBB14_280:
	s_or_b64 exec, exec, s[2:3]
	v_or_b32_e32 v1, v14, v0
	v_cmp_eq_u32_e64 s[0:1], 0, v1
.LBB14_281:
	s_and_saveexec_b64 s[2:3], s[0:1]
	s_cbranch_execnz .LBB14_289
.LBB14_282:
	s_endpgm
.LBB14_283:
	s_mov_b64 s[0:1], 0
	s_cbranch_execz .LBB14_281
; %bb.284:
	v_or_b32_e32 v0, v14, v0
	v_cmp_eq_u32_e32 vcc, 0, v0
	s_and_saveexec_b64 s[2:3], vcc
	s_cbranch_execz .LBB14_288
; %bb.285:
	v_mbcnt_lo_u32_b32 v0, exec_lo, 0
	v_mbcnt_hi_u32_b32 v0, exec_hi, v0
	v_cmp_eq_u32_e32 vcc, 0, v0
	s_and_saveexec_b64 s[4:5], vcc
	s_cbranch_execz .LBB14_287
; %bb.286:
	s_add_i32 s6, s20, s21
	v_mov_b32_e32 v0, 0
	v_mov_b32_e32 v1, s6
	global_atomic_smin v0, v1, s[22:23]
.LBB14_287:
	s_or_b64 exec, exec, s[4:5]
	s_or_b64 s[0:1], s[0:1], exec
.LBB14_288:
	s_or_b64 exec, exec, s[2:3]
	s_and_saveexec_b64 s[2:3], s[0:1]
	s_cbranch_execz .LBB14_282
.LBB14_289:
	s_add_u32 s0, s18, s14
	s_addc_u32 s1, s19, s15
	v_mov_b32_e32 v0, 0
	v_mov_b32_e32 v1, 1
	s_waitcnt vmcnt(0)
	global_store_dword v0, v1, s[0:1]
	s_endpgm
	.section	.rodata,"a",@progbits
	.p2align	6, 0x0
	.amdhsa_kernel _ZN9rocsparseL18bsric0_9_16_kernelILi64ELi64ELi16EfEEv20rocsparse_direction_iiPKiS3_PT2_S3_PiS3_S6_21rocsparse_index_base_
		.amdhsa_group_segment_fixed_size 5120
		.amdhsa_private_segment_fixed_size 0
		.amdhsa_kernarg_size 76
		.amdhsa_user_sgpr_count 6
		.amdhsa_user_sgpr_private_segment_buffer 1
		.amdhsa_user_sgpr_dispatch_ptr 0
		.amdhsa_user_sgpr_queue_ptr 0
		.amdhsa_user_sgpr_kernarg_segment_ptr 1
		.amdhsa_user_sgpr_dispatch_id 0
		.amdhsa_user_sgpr_flat_scratch_init 0
		.amdhsa_user_sgpr_kernarg_preload_length 0
		.amdhsa_user_sgpr_kernarg_preload_offset 0
		.amdhsa_user_sgpr_private_segment_size 0
		.amdhsa_uses_dynamic_stack 0
		.amdhsa_system_sgpr_private_segment_wavefront_offset 0
		.amdhsa_system_sgpr_workgroup_id_x 1
		.amdhsa_system_sgpr_workgroup_id_y 0
		.amdhsa_system_sgpr_workgroup_id_z 0
		.amdhsa_system_sgpr_workgroup_info 0
		.amdhsa_system_vgpr_workitem_id 1
		.amdhsa_next_free_vgpr 72
		.amdhsa_next_free_sgpr 66
		.amdhsa_accum_offset 72
		.amdhsa_reserve_vcc 1
		.amdhsa_reserve_flat_scratch 0
		.amdhsa_float_round_mode_32 0
		.amdhsa_float_round_mode_16_64 0
		.amdhsa_float_denorm_mode_32 3
		.amdhsa_float_denorm_mode_16_64 3
		.amdhsa_dx10_clamp 1
		.amdhsa_ieee_mode 1
		.amdhsa_fp16_overflow 0
		.amdhsa_tg_split 0
		.amdhsa_exception_fp_ieee_invalid_op 0
		.amdhsa_exception_fp_denorm_src 0
		.amdhsa_exception_fp_ieee_div_zero 0
		.amdhsa_exception_fp_ieee_overflow 0
		.amdhsa_exception_fp_ieee_underflow 0
		.amdhsa_exception_fp_ieee_inexact 0
		.amdhsa_exception_int_div_zero 0
	.end_amdhsa_kernel
	.section	.text._ZN9rocsparseL18bsric0_9_16_kernelILi64ELi64ELi16EfEEv20rocsparse_direction_iiPKiS3_PT2_S3_PiS3_S6_21rocsparse_index_base_,"axG",@progbits,_ZN9rocsparseL18bsric0_9_16_kernelILi64ELi64ELi16EfEEv20rocsparse_direction_iiPKiS3_PT2_S3_PiS3_S6_21rocsparse_index_base_,comdat
.Lfunc_end14:
	.size	_ZN9rocsparseL18bsric0_9_16_kernelILi64ELi64ELi16EfEEv20rocsparse_direction_iiPKiS3_PT2_S3_PiS3_S6_21rocsparse_index_base_, .Lfunc_end14-_ZN9rocsparseL18bsric0_9_16_kernelILi64ELi64ELi16EfEEv20rocsparse_direction_iiPKiS3_PT2_S3_PiS3_S6_21rocsparse_index_base_
                                        ; -- End function
	.section	.AMDGPU.csdata,"",@progbits
; Kernel info:
; codeLenInByte = 8476
; NumSgprs: 70
; NumVgprs: 72
; NumAgprs: 0
; TotalNumVgprs: 72
; ScratchSize: 0
; MemoryBound: 0
; FloatMode: 240
; IeeeMode: 1
; LDSByteSize: 5120 bytes/workgroup (compile time only)
; SGPRBlocks: 8
; VGPRBlocks: 8
; NumSGPRsForWavesPerEU: 70
; NumVGPRsForWavesPerEU: 72
; AccumOffset: 72
; Occupancy: 3
; WaveLimiterHint : 1
; COMPUTE_PGM_RSRC2:SCRATCH_EN: 0
; COMPUTE_PGM_RSRC2:USER_SGPR: 6
; COMPUTE_PGM_RSRC2:TRAP_HANDLER: 0
; COMPUTE_PGM_RSRC2:TGID_X_EN: 1
; COMPUTE_PGM_RSRC2:TGID_Y_EN: 0
; COMPUTE_PGM_RSRC2:TGID_Z_EN: 0
; COMPUTE_PGM_RSRC2:TIDIG_COMP_CNT: 1
; COMPUTE_PGM_RSRC3_GFX90A:ACCUM_OFFSET: 17
; COMPUTE_PGM_RSRC3_GFX90A:TG_SPLIT: 0
	.section	.text._ZN9rocsparseL19bsric0_17_32_kernelILi64ELi64ELi32EfEEv20rocsparse_direction_iiPKiS3_PT2_S3_PiS3_S6_21rocsparse_index_base_,"axG",@progbits,_ZN9rocsparseL19bsric0_17_32_kernelILi64ELi64ELi32EfEEv20rocsparse_direction_iiPKiS3_PT2_S3_PiS3_S6_21rocsparse_index_base_,comdat
	.globl	_ZN9rocsparseL19bsric0_17_32_kernelILi64ELi64ELi32EfEEv20rocsparse_direction_iiPKiS3_PT2_S3_PiS3_S6_21rocsparse_index_base_ ; -- Begin function _ZN9rocsparseL19bsric0_17_32_kernelILi64ELi64ELi32EfEEv20rocsparse_direction_iiPKiS3_PT2_S3_PiS3_S6_21rocsparse_index_base_
	.p2align	8
	.type	_ZN9rocsparseL19bsric0_17_32_kernelILi64ELi64ELi32EfEEv20rocsparse_direction_iiPKiS3_PT2_S3_PiS3_S6_21rocsparse_index_base_,@function
_ZN9rocsparseL19bsric0_17_32_kernelILi64ELi64ELi32EfEEv20rocsparse_direction_iiPKiS3_PT2_S3_PiS3_S6_21rocsparse_index_base_: ; @_ZN9rocsparseL19bsric0_17_32_kernelILi64ELi64ELi32EfEEv20rocsparse_direction_iiPKiS3_PT2_S3_PiS3_S6_21rocsparse_index_base_
; %bb.0:
	s_load_dwordx8 s[16:23], s[4:5], 0x28
	s_mov_b32 s7, 0
	s_lshl_b64 s[0:1], s[6:7], 2
	v_and_b32_e32 v1, 0x3ff, v0
	v_bfe_u32 v0, v0, 10, 10
	s_waitcnt lgkmcnt(0)
	s_add_u32 s0, s20, s0
	s_addc_u32 s1, s21, s1
	s_load_dword s20, s[0:1], 0x0
	s_waitcnt lgkmcnt(0)
	s_ashr_i32 s21, s20, 31
	s_lshl_b64 s[14:15], s[20:21], 2
	s_add_u32 s0, s16, s14
	s_addc_u32 s1, s17, s15
	s_load_dword s33, s[0:1], 0x0
	s_load_dword s21, s[4:5], 0x48
	s_waitcnt lgkmcnt(0)
	s_cmp_lg_u32 s33, -1
	s_cbranch_scc0 .LBB15_223
; %bb.1:
	s_load_dwordx4 s[24:27], s[4:5], 0x10
	v_lshlrev_b32_e32 v3, 1, v0
	v_add_u32_e32 v4, v3, v1
	s_waitcnt lgkmcnt(0)
	s_add_u32 s0, s24, s14
	s_addc_u32 s1, s25, s15
	s_load_dword s28, s[0:1], 0x0
	s_waitcnt lgkmcnt(0)
	s_sub_i32 s59, s28, s21
	v_add_u32_e32 v2, s59, v4
	v_cmp_ge_i32_e32 vcc, s33, v2
	s_and_saveexec_b64 s[2:3], vcc
	s_cbranch_execz .LBB15_16
; %bb.2:
	v_add_u32_e32 v4, s28, v4
	v_subrev_u32_e32 v4, s21, v4
	v_add_u32_e32 v4, 64, v4
	s_add_i32 s0, s33, 1
	v_max_i32_e32 v4, s0, v4
	v_not_b32_e32 v5, v1
	v_add3_u32 v4, v4, s21, v5
	v_add_u32_e32 v3, s28, v3
	v_sub_u32_e32 v3, v4, v3
	s_movk_i32 s0, 0x640
	v_cmp_gt_u32_e32 vcc, s0, v3
	s_movk_i32 s0, 0x63f
	v_cmp_lt_u32_e64 s[0:1], s0, v3
	s_and_saveexec_b64 s[6:7], s[0:1]
	s_cbranch_execz .LBB15_13
; %bb.3:
	v_and_b32_e32 v4, 0xffffffc0, v3
	v_add_u32_e32 v4, v2, v4
	v_cmp_ge_i32_e64 s[0:1], v4, v2
	s_mov_b64 s[10:11], -1
	s_and_saveexec_b64 s[8:9], s[0:1]
	s_cbranch_execz .LBB15_12
; %bb.4:
	v_lshrrev_b32_e32 v14, 6, v3
	v_add_u32_e32 v4, -1, v14
	v_add_u32_e32 v3, 64, v2
	v_lshrrev_b32_e32 v5, 1, v4
	v_add_u32_e32 v15, 1, v5
	v_cmp_lt_u32_e64 s[0:1], 13, v4
	v_pk_mov_b32 v[4:5], v[2:3], v[2:3] op_sel:[0,1]
	s_and_saveexec_b64 s[10:11], s[0:1]
	s_cbranch_execz .LBB15_8
; %bb.5:
	v_and_b32_e32 v16, -8, v15
	s_mov_b64 s[12:13], 0
	v_mov_b32_e32 v17, s27
	v_pk_mov_b32 v[4:5], v[2:3], v[2:3] op_sel:[0,1]
.LBB15_6:                               ; =>This Inner Loop Header: Depth=1
	v_ashrrev_i32_e32 v21, 31, v4
	v_mov_b32_e32 v20, v4
	v_lshlrev_b64 v[20:21], 2, v[20:21]
	v_ashrrev_i32_e32 v19, 31, v5
	v_mov_b32_e32 v18, v5
	v_add_co_u32_e64 v20, s[0:1], s26, v20
	v_add_u32_e32 v6, 0x80, v4
	v_lshlrev_b64 v[18:19], 2, v[18:19]
	v_addc_co_u32_e64 v21, s[0:1], v17, v21, s[0:1]
	v_ashrrev_i32_e32 v7, 31, v6
	v_add_co_u32_e64 v18, s[0:1], s26, v18
	v_add_u32_e32 v8, 0x80, v5
	v_addc_co_u32_e64 v19, s[0:1], v17, v19, s[0:1]
	v_lshlrev_b64 v[42:43], 2, v[6:7]
	v_ashrrev_i32_e32 v9, 31, v8
	global_load_dword v3, v[20:21], off
	global_load_dword v7, v[18:19], off
	v_add_co_u32_e64 v18, s[0:1], s26, v42
	v_add_u32_e32 v10, 0x100, v4
	v_lshlrev_b64 v[44:45], 2, v[8:9]
	v_addc_co_u32_e64 v19, s[0:1], v17, v43, s[0:1]
	v_ashrrev_i32_e32 v11, 31, v10
	v_add_co_u32_e64 v20, s[0:1], s26, v44
	v_add_u32_e32 v12, 0x100, v5
	v_lshlrev_b64 v[46:47], 2, v[10:11]
	v_addc_co_u32_e64 v21, s[0:1], v17, v45, s[0:1]
	v_ashrrev_i32_e32 v13, 31, v12
	v_add_co_u32_e64 v42, s[0:1], s26, v46
	v_add_u32_e32 v22, 0x180, v4
	v_lshlrev_b64 v[48:49], 2, v[12:13]
	v_addc_co_u32_e64 v43, s[0:1], v17, v47, s[0:1]
	v_ashrrev_i32_e32 v23, 31, v22
	v_add_co_u32_e64 v44, s[0:1], s26, v48
	v_add_u32_e32 v24, 0x180, v5
	v_lshlrev_b64 v[50:51], 2, v[22:23]
	v_addc_co_u32_e64 v45, s[0:1], v17, v49, s[0:1]
	v_ashrrev_i32_e32 v25, 31, v24
	v_add_co_u32_e64 v46, s[0:1], s26, v50
	v_add_u32_e32 v26, 0x200, v4
	v_lshlrev_b64 v[52:53], 2, v[24:25]
	v_addc_co_u32_e64 v47, s[0:1], v17, v51, s[0:1]
	v_ashrrev_i32_e32 v27, 31, v26
	v_add_co_u32_e64 v48, s[0:1], s26, v52
	v_add_u32_e32 v28, 0x200, v5
	v_lshlrev_b64 v[54:55], 2, v[26:27]
	v_addc_co_u32_e64 v49, s[0:1], v17, v53, s[0:1]
	v_ashrrev_i32_e32 v29, 31, v28
	v_add_co_u32_e64 v50, s[0:1], s26, v54
	v_add_u32_e32 v30, 0x280, v4
	v_lshlrev_b64 v[56:57], 2, v[28:29]
	v_addc_co_u32_e64 v51, s[0:1], v17, v55, s[0:1]
	v_ashrrev_i32_e32 v31, 31, v30
	v_add_co_u32_e64 v52, s[0:1], s26, v56
	v_add_u32_e32 v32, 0x280, v5
	v_lshlrev_b64 v[58:59], 2, v[30:31]
	v_addc_co_u32_e64 v53, s[0:1], v17, v57, s[0:1]
	v_ashrrev_i32_e32 v33, 31, v32
	v_add_co_u32_e64 v54, s[0:1], s26, v58
	v_add_u32_e32 v34, 0x300, v4
	v_lshlrev_b64 v[60:61], 2, v[32:33]
	v_addc_co_u32_e64 v55, s[0:1], v17, v59, s[0:1]
	v_ashrrev_i32_e32 v35, 31, v34
	v_add_co_u32_e64 v56, s[0:1], s26, v60
	v_add_u32_e32 v36, 0x300, v5
	v_lshlrev_b64 v[62:63], 2, v[34:35]
	v_addc_co_u32_e64 v57, s[0:1], v17, v61, s[0:1]
	v_ashrrev_i32_e32 v37, 31, v36
	v_add_co_u32_e64 v58, s[0:1], s26, v62
	v_add_u32_e32 v38, 0x380, v4
	v_lshlrev_b64 v[64:65], 2, v[36:37]
	v_addc_co_u32_e64 v59, s[0:1], v17, v63, s[0:1]
	v_ashrrev_i32_e32 v39, 31, v38
	v_add_co_u32_e64 v60, s[0:1], s26, v64
	v_add_u32_e32 v40, 0x380, v5
	v_lshlrev_b64 v[66:67], 2, v[38:39]
	v_addc_co_u32_e64 v61, s[0:1], v17, v65, s[0:1]
	v_ashrrev_i32_e32 v41, 31, v40
	v_add_co_u32_e64 v62, s[0:1], s26, v66
	v_lshlrev_b64 v[68:69], 2, v[40:41]
	v_addc_co_u32_e64 v63, s[0:1], v17, v67, s[0:1]
	v_add_co_u32_e64 v64, s[0:1], s26, v68
	v_addc_co_u32_e64 v65, s[0:1], v17, v69, s[0:1]
	global_load_dword v9, v[20:21], off
	global_load_dword v11, v[18:19], off
	;; [unrolled: 1-line block ×14, first 2 shown]
	v_subrev_u32_e32 v19, s59, v4
	v_add_u32_e32 v16, -8, v16
	v_subrev_u32_e32 v18, s59, v5
	v_lshlrev_b32_e32 v19, 2, v19
	v_subrev_u32_e32 v6, s59, v6
	v_cmp_eq_u32_e64 s[0:1], 0, v16
	s_waitcnt vmcnt(14)
	v_subrev_u32_e32 v7, s21, v7
	v_subrev_u32_e32 v3, s21, v3
	v_add_u32_e32 v5, 0x400, v5
	v_add_u32_e32 v4, 0x400, v4
	v_lshlrev_b32_e32 v18, 2, v18
	v_subrev_u32_e32 v8, s59, v8
	v_subrev_u32_e32 v12, s59, v12
	;; [unrolled: 1-line block ×13, first 2 shown]
	v_lshlrev_b32_e32 v6, 2, v6
	s_or_b64 s[12:13], s[0:1], s[12:13]
	ds_write_b32 v19, v3 offset:13184
	ds_write_b32 v18, v7 offset:13184
	v_lshlrev_b32_e32 v8, 2, v8
	v_lshlrev_b32_e32 v10, 2, v10
	;; [unrolled: 1-line block ×13, first 2 shown]
	s_waitcnt vmcnt(13)
	v_subrev_u32_e32 v3, s21, v9
	s_waitcnt vmcnt(12)
	v_subrev_u32_e32 v7, s21, v11
	;; [unrolled: 2-line block ×14, first 2 shown]
	ds_write_b32 v6, v7 offset:13184
	ds_write_b32 v8, v3 offset:13184
	;; [unrolled: 1-line block ×14, first 2 shown]
	s_andn2_b64 exec, exec, s[12:13]
	s_cbranch_execnz .LBB15_6
; %bb.7:
	s_or_b64 exec, exec, s[12:13]
.LBB15_8:
	s_or_b64 exec, exec, s[10:11]
	v_and_b32_e32 v3, 7, v15
	v_cmp_ne_u32_e64 s[0:1], 0, v3
	s_and_saveexec_b64 s[10:11], s[0:1]
	s_cbranch_execz .LBB15_11
; %bb.9:
	s_mov_b64 s[12:13], 0
	v_mov_b32_e32 v6, s27
.LBB15_10:                              ; =>This Inner Loop Header: Depth=1
	v_ashrrev_i32_e32 v11, 31, v4
	v_mov_b32_e32 v10, v4
	v_lshlrev_b64 v[10:11], 2, v[10:11]
	v_ashrrev_i32_e32 v9, 31, v5
	v_mov_b32_e32 v8, v5
	v_add_co_u32_e64 v10, s[0:1], s26, v10
	v_lshlrev_b64 v[8:9], 2, v[8:9]
	v_addc_co_u32_e64 v11, s[0:1], v6, v11, s[0:1]
	v_add_co_u32_e64 v8, s[0:1], s26, v8
	v_addc_co_u32_e64 v9, s[0:1], v6, v9, s[0:1]
	global_load_dword v7, v[8:9], off
	global_load_dword v12, v[10:11], off
	v_add_u32_e32 v3, -1, v3
	v_subrev_u32_e32 v9, s59, v4
	v_cmp_eq_u32_e64 s[0:1], 0, v3
	v_subrev_u32_e32 v8, s59, v5
	v_add_u32_e32 v5, 0x80, v5
	v_add_u32_e32 v4, 0x80, v4
	v_lshlrev_b32_e32 v9, 2, v9
	s_or_b64 s[12:13], s[0:1], s[12:13]
	v_lshlrev_b32_e32 v8, 2, v8
	s_waitcnt vmcnt(1)
	v_subrev_u32_e32 v7, s21, v7
	s_waitcnt vmcnt(0)
	v_subrev_u32_e32 v10, s21, v12
	ds_write_b32 v9, v10 offset:13184
	ds_write_b32 v8, v7 offset:13184
	s_andn2_b64 exec, exec, s[12:13]
	s_cbranch_execnz .LBB15_10
.LBB15_11:
	s_or_b64 exec, exec, s[10:11]
	v_add_u32_e32 v3, 1, v14
	v_and_b32_e32 v4, 0x7fffffe, v3
	v_cmp_ne_u32_e64 s[0:1], v3, v4
	v_lshl_add_u32 v2, v4, 6, v2
	s_orn2_b64 s[10:11], s[0:1], exec
.LBB15_12:
	s_or_b64 exec, exec, s[8:9]
	s_andn2_b64 s[0:1], vcc, exec
	s_and_b64 s[8:9], s[10:11], exec
	s_or_b64 vcc, s[0:1], s[8:9]
.LBB15_13:
	s_or_b64 exec, exec, s[6:7]
	s_and_b64 exec, exec, vcc
	s_cbranch_execz .LBB15_16
; %bb.14:
	v_add_u32_e32 v3, s21, v2
	v_subrev_u32_e32 v3, s28, v3
	v_mov_b32_e32 v4, 0x3380
	v_lshl_add_u32 v4, v3, 2, v4
	s_mov_b64 s[0:1], 0
	v_mov_b32_e32 v5, s27
.LBB15_15:                              ; =>This Inner Loop Header: Depth=1
	v_ashrrev_i32_e32 v3, 31, v2
	v_lshlrev_b64 v[6:7], 2, v[2:3]
	v_add_co_u32_e32 v6, vcc, s26, v6
	v_addc_co_u32_e32 v7, vcc, v5, v7, vcc
	global_load_dword v3, v[6:7], off
	v_add_u32_e32 v2, 64, v2
	v_cmp_lt_i32_e32 vcc, s33, v2
	s_or_b64 s[0:1], vcc, s[0:1]
	s_waitcnt vmcnt(0)
	v_subrev_u32_e32 v3, s21, v3
	ds_write_b32 v4, v3
	v_add_u32_e32 v4, 0x100, v4
	s_andn2_b64 exec, exec, s[0:1]
	s_cbranch_execnz .LBB15_15
.LBB15_16:
	s_or_b64 exec, exec, s[2:3]
	s_load_dwordx2 s[28:29], s[4:5], 0x20
	v_cmp_gt_u32_e32 vcc, 32, v1
	v_lshlrev_b32_e32 v6, 2, v1
	s_and_saveexec_b64 s[0:1], vcc
	s_cbranch_execz .LBB15_19
; %bb.17:
	v_mul_u32_u24_e32 v3, 0x84, v0
	v_lshlrev_b32_e32 v4, 2, v1
	s_movk_i32 s2, 0x2100
	v_add_u32_e32 v2, -2, v1
	v_add3_u32 v3, v3, v4, s2
	s_mov_b64 s[2:3], 0
	v_mov_b32_e32 v4, 0
.LBB15_18:                              ; =>This Inner Loop Header: Depth=1
	v_add_u32_e32 v2, 2, v2
	v_cmp_lt_u32_e32 vcc, 29, v2
	ds_write_b32 v3, v4
	s_or_b64 s[2:3], vcc, s[2:3]
	v_add_u32_e32 v3, 8, v3
	s_andn2_b64 exec, exec, s[2:3]
	s_cbranch_execnz .LBB15_18
.LBB15_19:
	s_or_b64 exec, exec, s[0:1]
	s_load_dword s58, s[4:5], 0x8
	s_load_dword s60, s[4:5], 0x0
	s_cmp_ge_i32 s59, s33
	s_waitcnt lgkmcnt(0)
	v_cmp_gt_i32_e64 s[0:1], s58, v1
	v_xad_u32 v7, v1, -1, s58
	s_cbranch_scc1 .LBB15_172
; %bb.20:
	v_or_b32_e32 v2, v1, v0
	v_cmp_ne_u32_e64 s[4:5], 0, v2
	s_movk_i32 s62, 0x84
	v_mov_b32_e32 v2, 0x2100
	v_lshlrev_b32_e32 v9, 2, v1
	v_mad_u32_u24 v10, v0, s62, v2
	v_lshlrev_b32_e32 v5, 2, v7
	s_cmp_eq_u32 s60, 0
	v_add_u32_e32 v2, v10, v9
	v_and_b32_e32 v5, -8, v5
	s_cselect_b64 s[30:31], -1, 0
	s_cmp_lg_u32 s60, 0
	s_brev_b32 s10, -4
	v_add_u32_e32 v5, v2, v5
	s_cselect_b64 s[34:35], -1, 0
	s_cmp_gt_i32 s58, 0
	v_cmp_lt_u32_e64 s[10:11], s10, v7
	v_cmp_lt_u32_e64 s[12:13], v5, v2
	s_cselect_b64 s[36:37], -1, 0
	s_or_b64 s[10:11], s[12:13], s[10:11]
	v_cmp_lt_u32_e32 vcc, 33, v7
	s_xor_b64 s[12:13], s[10:11], -1
	v_lshrrev_b32_e32 v3, 1, v7
	s_and_b64 s[38:39], vcc, s[12:13]
	s_mul_i32 s12, s58, s59
	v_add_u32_e32 v3, 1, v3
	v_add_u32_e32 v2, s12, v0
	v_and_b32_e32 v11, -2, v3
	v_mul_lo_u32 v17, s58, v2
	v_mov_b32_e32 v2, 0x1080
	v_and_b32_e32 v4, 3, v3
	v_lshl_add_u32 v12, v11, 1, v1
	v_mad_u32_u24 v14, v0, s62, v9
	v_mad_u32_u24 v18, v0, s62, v2
	;; [unrolled: 1-line block ×3, first 2 shown]
	v_cndmask_b32_e64 v2, 0, 1, s[34:35]
	s_mul_i32 s61, s58, s58
	v_cmp_gt_i32_e64 s[2:3], s58, v0
	v_mul_lo_u32 v8, v0, s58
	v_cmp_ne_u32_e64 s[6:7], 0, v4
	v_cmp_lt_u32_e64 s[8:9], 5, v7
	v_cmp_ne_u32_e64 s[10:11], v3, v11
	v_mul_u32_u24_e32 v13, 0x84, v0
	v_lshlrev_b32_e32 v15, 2, v4
	v_mul_lo_u32 v16, v1, s58
	s_lshl_b32 s63, s58, 1
	v_mul_u32_u24_e32 v19, 0x84, v1
	v_add_u32_e32 v21, 0x2100, v14
	v_add_u32_e32 v22, 0x1080, v14
	v_cmp_ne_u32_e64 s[12:13], 1, v2
	v_mov_b32_e32 v23, 0
	v_mul_lo_u32 v24, v12, s62
	v_lshlrev_b32_e32 v25, 2, v12
	s_mov_b32 s40, s59
	s_branch .LBB15_22
.LBB15_21:                              ;   in Loop: Header=BB15_22 Depth=1
	s_or_b64 exec, exec, s[42:43]
	s_add_i32 s40, s40, 1
	s_cmp_ge_i32 s40, s33
	s_waitcnt vmcnt(0)
	buffer_wbinvl1_vol
	v_add_u32_e32 v17, s61, v17
	s_cselect_b64 s[42:43], -1, 0
	s_and_b64 vcc, exec, s[42:43]
	s_cbranch_vccnz .LBB15_172
.LBB15_22:                              ; =>This Loop Header: Depth=1
                                        ;     Child Loop BB15_27 Depth 2
                                        ;     Child Loop BB15_42 Depth 2
	;; [unrolled: 1-line block ×5, first 2 shown]
                                        ;       Child Loop BB15_102 Depth 3
                                        ;     Child Loop BB15_115 Depth 2
                                        ;       Child Loop BB15_122 Depth 3
                                        ;       Child Loop BB15_127 Depth 3
	;; [unrolled: 1-line block ×3, first 2 shown]
                                        ;     Child Loop BB15_139 Depth 2
                                        ;     Child Loop BB15_149 Depth 2
	s_ashr_i32 s41, s40, 31
	s_lshl_b64 s[42:43], s[40:41], 2
	s_add_u32 s42, s26, s42
	s_addc_u32 s43, s27, s43
	s_load_dword s64, s[42:43], 0x0
	s_waitcnt lgkmcnt(0)
	s_sub_i32 s44, s64, s21
	s_ashr_i32 s45, s44, 31
	s_lshl_b64 s[42:43], s[44:45], 2
	s_add_u32 s46, s16, s42
	s_addc_u32 s47, s17, s43
	s_load_dword s65, s[46:47], 0x0
	s_waitcnt lgkmcnt(0)
	s_cmp_eq_u32 s65, -1
	s_cbranch_scc1 .LBB15_37
; %bb.23:                               ;   in Loop: Header=BB15_22 Depth=1
	s_add_u32 s46, s24, s42
	s_addc_u32 s47, s25, s43
	s_load_dword s45, s[46:47], 0x0
	s_mul_i32 s41, s40, s58
	s_and_saveexec_b64 s[46:47], s[0:1]
	s_cbranch_execz .LBB15_82
; %bb.24:                               ;   in Loop: Header=BB15_22 Depth=1
	v_mov_b32_e32 v4, v1
	s_and_saveexec_b64 s[48:49], s[6:7]
	s_cbranch_execz .LBB15_39
; %bb.25:                               ;   in Loop: Header=BB15_22 Depth=1
	s_mov_b64 s[50:51], 0
	v_mov_b32_e32 v5, v15
	v_mov_b32_e32 v26, v14
	;; [unrolled: 1-line block ×3, first 2 shown]
	s_branch .LBB15_27
.LBB15_26:                              ;   in Loop: Header=BB15_27 Depth=2
	s_or_b64 exec, exec, s[54:55]
	v_add_u32_e32 v5, -4, v5
	v_cmp_eq_u32_e32 vcc, 0, v5
	s_waitcnt vmcnt(0)
	ds_write_b32 v26, v3 offset:4224
	ds_write_b32 v26, v23
	v_add_u32_e32 v4, 2, v4
	s_or_b64 s[50:51], vcc, s[50:51]
	v_add_u32_e32 v26, 8, v26
	s_andn2_b64 exec, exec, s[50:51]
	s_cbranch_execz .LBB15_38
.LBB15_27:                              ;   Parent Loop BB15_22 Depth=1
                                        ; =>  This Inner Loop Header: Depth=2
	s_and_b64 vcc, exec, s[12:13]
	s_cbranch_vccnz .LBB15_31
; %bb.28:                               ;   in Loop: Header=BB15_27 Depth=2
	s_mov_b64 s[54:55], 0
	s_mov_b64 s[52:53], 0
                                        ; implicit-def: $vgpr2
	s_and_saveexec_b64 s[56:57], s[2:3]
; %bb.29:                               ;   in Loop: Header=BB15_27 Depth=2
	v_add_u32_e32 v2, s41, v4
	s_mov_b64 s[52:53], exec
	v_mad_u64_u32 v[2:3], s[66:67], v2, s58, v[0:1]
; %bb.30:                               ;   in Loop: Header=BB15_27 Depth=2
	s_or_b64 exec, exec, s[56:57]
	s_mov_b32 s56, 0
	s_and_b64 vcc, exec, s[54:55]
	s_cbranch_vccnz .LBB15_32
	s_branch .LBB15_35
.LBB15_31:                              ;   in Loop: Header=BB15_27 Depth=2
	s_mov_b64 s[52:53], 0
                                        ; implicit-def: $vgpr2
                                        ; implicit-def: $sgpr56
	s_cbranch_execz .LBB15_35
.LBB15_32:                              ;   in Loop: Header=BB15_27 Depth=2
                                        ; implicit-def: $vgpr2
	s_and_saveexec_b64 s[54:55], s[2:3]
; %bb.33:                               ;   in Loop: Header=BB15_27 Depth=2
	v_add_u32_e32 v2, v17, v4
	s_or_b64 s[52:53], s[52:53], exec
; %bb.34:                               ;   in Loop: Header=BB15_27 Depth=2
	s_or_b64 exec, exec, s[54:55]
	s_mov_b32 s56, 0
.LBB15_35:                              ;   in Loop: Header=BB15_27 Depth=2
	v_mov_b32_e32 v3, s56
	s_and_saveexec_b64 s[54:55], s[52:53]
	s_cbranch_execz .LBB15_26
; %bb.36:                               ;   in Loop: Header=BB15_27 Depth=2
	v_ashrrev_i32_e32 v3, 31, v2
	v_lshlrev_b64 v[2:3], 2, v[2:3]
	v_mov_b32_e32 v27, s29
	v_add_co_u32_e32 v2, vcc, s28, v2
	v_addc_co_u32_e32 v3, vcc, v27, v3, vcc
	global_load_dword v3, v[2:3], off
	s_branch .LBB15_26
.LBB15_37:                              ;   in Loop: Header=BB15_22 Depth=1
                                        ; implicit-def: $sgpr40
                                        ; implicit-def: $vgpr17
	s_cbranch_execz .LBB15_22
	s_branch .LBB15_172
.LBB15_38:                              ;   in Loop: Header=BB15_22 Depth=1
	s_or_b64 exec, exec, s[50:51]
.LBB15_39:                              ;   in Loop: Header=BB15_22 Depth=1
	s_or_b64 exec, exec, s[48:49]
	s_and_b64 exec, exec, s[8:9]
	s_cbranch_execz .LBB15_82
; %bb.40:                               ;   in Loop: Header=BB15_22 Depth=1
	v_lshl_add_u32 v5, v4, 2, v13
	s_mov_b64 s[48:49], 0
	s_branch .LBB15_42
.LBB15_41:                              ;   in Loop: Header=BB15_42 Depth=2
	s_or_b64 exec, exec, s[52:53]
	v_add_u32_e32 v4, 8, v4
	v_cmp_le_i32_e32 vcc, s58, v4
	s_waitcnt vmcnt(0)
	ds_write_b32 v5, v3 offset:4248
	ds_write_b32 v5, v23 offset:24
	s_or_b64 s[48:49], vcc, s[48:49]
	v_add_u32_e32 v5, 32, v5
	s_andn2_b64 exec, exec, s[48:49]
	s_cbranch_execz .LBB15_82
.LBB15_42:                              ;   Parent Loop BB15_22 Depth=1
                                        ; =>  This Inner Loop Header: Depth=2
	s_and_b64 vcc, exec, s[34:35]
	s_cbranch_vccz .LBB15_46
; %bb.43:                               ;   in Loop: Header=BB15_42 Depth=2
	s_mov_b64 s[52:53], 0
	s_mov_b64 s[50:51], 0
                                        ; implicit-def: $vgpr2
	s_and_saveexec_b64 s[54:55], s[2:3]
	s_xor_b64 s[54:55], exec, s[54:55]
; %bb.44:                               ;   in Loop: Header=BB15_42 Depth=2
	v_add_u32_e32 v2, s41, v4
	s_mov_b64 s[50:51], exec
	v_mad_u64_u32 v[2:3], s[56:57], v2, s58, v[0:1]
; %bb.45:                               ;   in Loop: Header=BB15_42 Depth=2
	s_or_b64 exec, exec, s[54:55]
	s_mov_b32 s54, 0
	s_and_b64 vcc, exec, s[52:53]
	s_cbranch_vccnz .LBB15_47
	s_branch .LBB15_50
.LBB15_46:                              ;   in Loop: Header=BB15_42 Depth=2
	s_mov_b64 s[50:51], 0
                                        ; implicit-def: $vgpr2
                                        ; implicit-def: $sgpr54
	s_cbranch_execz .LBB15_50
.LBB15_47:                              ;   in Loop: Header=BB15_42 Depth=2
                                        ; implicit-def: $vgpr2
	s_and_saveexec_b64 s[52:53], s[2:3]
; %bb.48:                               ;   in Loop: Header=BB15_42 Depth=2
	v_add_u32_e32 v2, v17, v4
	s_or_b64 s[50:51], s[50:51], exec
; %bb.49:                               ;   in Loop: Header=BB15_42 Depth=2
	s_or_b64 exec, exec, s[52:53]
	s_mov_b32 s54, 0
.LBB15_50:                              ;   in Loop: Header=BB15_42 Depth=2
	v_mov_b32_e32 v3, s54
	s_and_saveexec_b64 s[52:53], s[50:51]
	s_cbranch_execz .LBB15_52
; %bb.51:                               ;   in Loop: Header=BB15_42 Depth=2
	v_ashrrev_i32_e32 v3, 31, v2
	v_lshlrev_b64 v[2:3], 2, v[2:3]
	v_mov_b32_e32 v26, s29
	v_add_co_u32_e32 v2, vcc, s28, v2
	v_addc_co_u32_e32 v3, vcc, v26, v3, vcc
	global_load_dword v3, v[2:3], off
.LBB15_52:                              ;   in Loop: Header=BB15_42 Depth=2
	s_or_b64 exec, exec, s[52:53]
	s_and_b64 vcc, exec, s[12:13]
	s_waitcnt vmcnt(0)
	ds_write_b32 v5, v3 offset:4224
	ds_write_b32 v5, v23
	s_cbranch_vccnz .LBB15_56
; %bb.53:                               ;   in Loop: Header=BB15_42 Depth=2
	s_mov_b64 s[52:53], 0
	s_mov_b64 s[50:51], 0
                                        ; implicit-def: $vgpr2
	s_and_saveexec_b64 s[54:55], s[2:3]
; %bb.54:                               ;   in Loop: Header=BB15_42 Depth=2
	v_add3_u32 v2, v4, s41, 2
	s_mov_b64 s[50:51], exec
	v_mad_u64_u32 v[2:3], s[56:57], v2, s58, v[0:1]
; %bb.55:                               ;   in Loop: Header=BB15_42 Depth=2
	s_or_b64 exec, exec, s[54:55]
	s_mov_b32 s54, 0
	s_and_b64 vcc, exec, s[52:53]
	s_cbranch_vccnz .LBB15_57
	s_branch .LBB15_60
.LBB15_56:                              ;   in Loop: Header=BB15_42 Depth=2
	s_mov_b64 s[50:51], 0
                                        ; implicit-def: $vgpr2
                                        ; implicit-def: $sgpr54
	s_cbranch_execz .LBB15_60
.LBB15_57:                              ;   in Loop: Header=BB15_42 Depth=2
                                        ; implicit-def: $vgpr2
	s_and_saveexec_b64 s[52:53], s[2:3]
; %bb.58:                               ;   in Loop: Header=BB15_42 Depth=2
	v_add3_u32 v2, v17, v4, 2
	s_or_b64 s[50:51], s[50:51], exec
; %bb.59:                               ;   in Loop: Header=BB15_42 Depth=2
	s_or_b64 exec, exec, s[52:53]
	s_mov_b32 s54, 0
.LBB15_60:                              ;   in Loop: Header=BB15_42 Depth=2
	v_mov_b32_e32 v3, s54
	s_and_saveexec_b64 s[52:53], s[50:51]
	s_cbranch_execz .LBB15_62
; %bb.61:                               ;   in Loop: Header=BB15_42 Depth=2
	v_ashrrev_i32_e32 v3, 31, v2
	v_lshlrev_b64 v[2:3], 2, v[2:3]
	v_mov_b32_e32 v26, s29
	v_add_co_u32_e32 v2, vcc, s28, v2
	v_addc_co_u32_e32 v3, vcc, v26, v3, vcc
	global_load_dword v3, v[2:3], off
.LBB15_62:                              ;   in Loop: Header=BB15_42 Depth=2
	s_or_b64 exec, exec, s[52:53]
	s_and_b64 vcc, exec, s[12:13]
	s_waitcnt vmcnt(0)
	ds_write_b32 v5, v3 offset:4232
	ds_write_b32 v5, v23 offset:8
	s_cbranch_vccnz .LBB15_66
; %bb.63:                               ;   in Loop: Header=BB15_42 Depth=2
	s_mov_b64 s[52:53], 0
	s_mov_b64 s[50:51], 0
                                        ; implicit-def: $vgpr2
	s_and_saveexec_b64 s[54:55], s[2:3]
; %bb.64:                               ;   in Loop: Header=BB15_42 Depth=2
	v_add3_u32 v2, v4, s41, 4
	s_mov_b64 s[50:51], exec
	v_mad_u64_u32 v[2:3], s[56:57], v2, s58, v[0:1]
; %bb.65:                               ;   in Loop: Header=BB15_42 Depth=2
	s_or_b64 exec, exec, s[54:55]
	s_mov_b32 s54, 0
	s_and_b64 vcc, exec, s[52:53]
	s_cbranch_vccnz .LBB15_67
	s_branch .LBB15_70
.LBB15_66:                              ;   in Loop: Header=BB15_42 Depth=2
	s_mov_b64 s[50:51], 0
                                        ; implicit-def: $vgpr2
                                        ; implicit-def: $sgpr54
	s_cbranch_execz .LBB15_70
.LBB15_67:                              ;   in Loop: Header=BB15_42 Depth=2
                                        ; implicit-def: $vgpr2
	s_and_saveexec_b64 s[52:53], s[2:3]
; %bb.68:                               ;   in Loop: Header=BB15_42 Depth=2
	v_add3_u32 v2, v17, v4, 4
	s_or_b64 s[50:51], s[50:51], exec
; %bb.69:                               ;   in Loop: Header=BB15_42 Depth=2
	s_or_b64 exec, exec, s[52:53]
	s_mov_b32 s54, 0
.LBB15_70:                              ;   in Loop: Header=BB15_42 Depth=2
	v_mov_b32_e32 v3, s54
	s_and_saveexec_b64 s[52:53], s[50:51]
	s_cbranch_execz .LBB15_72
; %bb.71:                               ;   in Loop: Header=BB15_42 Depth=2
	v_ashrrev_i32_e32 v3, 31, v2
	v_lshlrev_b64 v[2:3], 2, v[2:3]
	v_mov_b32_e32 v26, s29
	v_add_co_u32_e32 v2, vcc, s28, v2
	v_addc_co_u32_e32 v3, vcc, v26, v3, vcc
	global_load_dword v3, v[2:3], off
.LBB15_72:                              ;   in Loop: Header=BB15_42 Depth=2
	s_or_b64 exec, exec, s[52:53]
	s_and_b64 vcc, exec, s[12:13]
	s_waitcnt vmcnt(0)
	ds_write_b32 v5, v3 offset:4240
	ds_write_b32 v5, v23 offset:16
	s_cbranch_vccnz .LBB15_76
; %bb.73:                               ;   in Loop: Header=BB15_42 Depth=2
	s_mov_b64 s[52:53], 0
	s_mov_b64 s[50:51], 0
                                        ; implicit-def: $vgpr2
	s_and_saveexec_b64 s[54:55], s[2:3]
; %bb.74:                               ;   in Loop: Header=BB15_42 Depth=2
	v_add3_u32 v2, v4, s41, 6
	s_mov_b64 s[50:51], exec
	v_mad_u64_u32 v[2:3], s[56:57], v2, s58, v[0:1]
; %bb.75:                               ;   in Loop: Header=BB15_42 Depth=2
	s_or_b64 exec, exec, s[54:55]
	s_mov_b32 s54, 0
	s_and_b64 vcc, exec, s[52:53]
	s_cbranch_vccnz .LBB15_77
	s_branch .LBB15_80
.LBB15_76:                              ;   in Loop: Header=BB15_42 Depth=2
	s_mov_b64 s[50:51], 0
                                        ; implicit-def: $vgpr2
                                        ; implicit-def: $sgpr54
	s_cbranch_execz .LBB15_80
.LBB15_77:                              ;   in Loop: Header=BB15_42 Depth=2
                                        ; implicit-def: $vgpr2
	s_and_saveexec_b64 s[52:53], s[2:3]
; %bb.78:                               ;   in Loop: Header=BB15_42 Depth=2
	v_add3_u32 v2, v17, v4, 6
	s_or_b64 s[50:51], s[50:51], exec
; %bb.79:                               ;   in Loop: Header=BB15_42 Depth=2
	s_or_b64 exec, exec, s[52:53]
	s_mov_b32 s54, 0
.LBB15_80:                              ;   in Loop: Header=BB15_42 Depth=2
	v_mov_b32_e32 v3, s54
	s_and_saveexec_b64 s[52:53], s[50:51]
	s_cbranch_execz .LBB15_41
; %bb.81:                               ;   in Loop: Header=BB15_42 Depth=2
	v_ashrrev_i32_e32 v3, 31, v2
	v_lshlrev_b64 v[2:3], 2, v[2:3]
	v_mov_b32_e32 v26, s29
	v_add_co_u32_e32 v2, vcc, s28, v2
	v_addc_co_u32_e32 v3, vcc, v26, v3, vcc
	global_load_dword v3, v[2:3], off
	s_branch .LBB15_41
.LBB15_82:                              ;   in Loop: Header=BB15_22 Depth=1
	s_or_b64 exec, exec, s[46:47]
	ds_read_b32 v2, v23 offset:13184
	s_waitcnt lgkmcnt(0)
	s_sub_i32 s46, s45, s21
	s_cmp_le_i32 s46, s65
	s_cselect_b64 s[48:49], -1, 0
	s_mov_b32 s47, 0
	v_cmp_ge_i32_e32 vcc, s44, v2
	s_and_b64 s[48:49], s[48:49], vcc
	s_andn2_b64 vcc, exec, s[48:49]
	s_cbranch_vccnz .LBB15_94
; %bb.83:                               ;   in Loop: Header=BB15_22 Depth=1
	s_mov_b32 s45, 0
	s_mov_b32 s50, 0
.LBB15_84:                              ;   Parent Loop BB15_22 Depth=1
                                        ; =>  This Inner Loop Header: Depth=2
	s_ashr_i32 s47, s46, 31
	s_lshl_b64 s[48:49], s[46:47], 2
	s_add_u32 s48, s26, s48
	s_addc_u32 s49, s27, s49
	s_load_dword s47, s[48:49], 0x0
	s_lshl_b32 s48, s50, 2
	v_mov_b32_e32 v2, s48
	ds_read_b32 v2, v2 offset:13184
	s_mov_b64 s[48:49], -1
	s_waitcnt lgkmcnt(0)
	s_sub_i32 s54, s47, s21
                                        ; implicit-def: $sgpr47
                                        ; implicit-def: $sgpr53
                                        ; implicit-def: $sgpr52
	v_cmp_ge_i32_e32 vcc, s54, v2
	v_readfirstlane_b32 s51, v2
	s_cbranch_vccz .LBB15_90
; %bb.85:                               ;   in Loop: Header=BB15_84 Depth=2
	s_cmp_le_i32 s54, s51
                                        ; implicit-def: $sgpr47
                                        ; implicit-def: $sgpr53
                                        ; implicit-def: $sgpr52
	s_cbranch_scc0 .LBB15_87
; %bb.86:                               ;   in Loop: Header=BB15_84 Depth=2
	s_add_i32 s47, s50, s59
	s_mul_i32 s47, s47, s61
	s_lshl_b32 s48, s45, 2
	v_mov_b32_e32 v2, s48
	v_mov_b32_e32 v3, s47
	s_mul_i32 s47, s46, s61
	v_mov_b32_e32 v4, s47
	v_add_u32_e32 v2, 0x80, v2
	ds_write2st64_b32 v2, v4, v3 offset0:49 offset1:50
	s_add_i32 s52, s50, 1
	s_add_i32 s53, s46, 1
	;; [unrolled: 1-line block ×3, first 2 shown]
	s_mov_b64 s[48:49], 0
.LBB15_87:                              ;   in Loop: Header=BB15_84 Depth=2
	s_andn2_b64 vcc, exec, s[48:49]
	s_cbranch_vccnz .LBB15_89
; %bb.88:                               ;   in Loop: Header=BB15_84 Depth=2
	s_add_i32 s52, s50, 1
	s_mov_b32 s47, s45
	s_mov_b32 s53, s46
.LBB15_89:                              ;   in Loop: Header=BB15_84 Depth=2
	s_mov_b64 s[48:49], 0
.LBB15_90:                              ;   in Loop: Header=BB15_84 Depth=2
	s_andn2_b64 vcc, exec, s[48:49]
	s_cbranch_vccnz .LBB15_92
; %bb.91:                               ;   in Loop: Header=BB15_84 Depth=2
	s_add_i32 s53, s46, 1
	s_mov_b32 s52, s50
	s_mov_b32 s47, s45
.LBB15_92:                              ;   in Loop: Header=BB15_84 Depth=2
	s_cmp_le_i32 s53, s65
	s_cselect_b64 s[48:49], -1, 0
	s_cmp_le_i32 s51, s44
	s_cselect_b64 s[50:51], -1, 0
	s_and_b64 s[48:49], s[48:49], s[50:51]
	s_and_b64 vcc, exec, s[48:49]
	s_cbranch_vccz .LBB15_94
; %bb.93:                               ;   in Loop: Header=BB15_84 Depth=2
	s_mov_b32 s45, s47
	s_mov_b32 s46, s53
	;; [unrolled: 1-line block ×3, first 2 shown]
	s_branch .LBB15_84
.LBB15_94:                              ;   in Loop: Header=BB15_22 Depth=1
	s_add_u32 s42, s18, s42
	s_addc_u32 s43, s19, s43
	s_waitcnt lgkmcnt(0)
.LBB15_95:                              ;   Parent Loop BB15_22 Depth=1
                                        ; =>  This Inner Loop Header: Depth=2
	global_load_dword v2, v23, s[42:43] glc
	s_waitcnt vmcnt(0)
	v_cmp_eq_u32_e32 vcc, 0, v2
	s_cbranch_vccnz .LBB15_95
; %bb.96:                               ;   in Loop: Header=BB15_22 Depth=1
	s_cmp_lt_i32 s47, 2
	buffer_wbinvl1_vol
	s_cbranch_scc1 .LBB15_112
; %bb.97:                               ;   in Loop: Header=BB15_22 Depth=1
	s_add_i32 s48, s47, -2
	s_mov_b32 s49, 0
	s_branch .LBB15_99
.LBB15_98:                              ;   in Loop: Header=BB15_99 Depth=2
	s_or_b64 exec, exec, s[42:43]
	s_add_i32 s42, s49, 1
	s_cmp_eq_u32 s49, s48
	s_mov_b32 s49, s42
	s_cbranch_scc1 .LBB15_112
.LBB15_99:                              ;   Parent Loop BB15_22 Depth=1
                                        ; =>  This Loop Header: Depth=2
                                        ;       Child Loop BB15_102 Depth 3
	s_and_saveexec_b64 s[42:43], s[0:1]
	s_cbranch_execz .LBB15_98
; %bb.100:                              ;   in Loop: Header=BB15_99 Depth=2
	s_lshl_b32 s44, s49, 2
	v_mov_b32_e32 v2, s44
	v_add_u32_e32 v2, 0x80, v2
	ds_read2st64_b32 v[2:3], v2 offset0:49 offset1:50
	s_mov_b64 s[44:45], 0
	v_mov_b32_e32 v30, v1
	s_waitcnt lgkmcnt(0)
	v_add_u32_e32 v26, v3, v8
	v_add_u32_e32 v27, v0, v3
	v_add_u32_e32 v28, v1, v2
	v_add_u32_e32 v29, v16, v2
	s_branch .LBB15_102
.LBB15_101:                             ;   in Loop: Header=BB15_102 Depth=3
	v_lshlrev_b32_e32 v2, 2, v30
	v_mad_u32_u24 v2, v0, s62, v2
	ds_read_b32 v4, v2
	v_add_u32_e32 v30, 2, v30
	v_cmp_le_i32_e32 vcc, s58, v30
	v_add_u32_e32 v28, 2, v28
	s_or_b64 s[44:45], vcc, s[44:45]
	s_waitcnt lgkmcnt(0)
	v_add_f32_e32 v3, v3, v4
	v_add_u32_e32 v29, s63, v29
	ds_write_b32 v2, v3
	s_andn2_b64 exec, exec, s[44:45]
	s_cbranch_execz .LBB15_98
.LBB15_102:                             ;   Parent Loop BB15_22 Depth=1
                                        ;     Parent Loop BB15_99 Depth=2
                                        ; =>    This Inner Loop Header: Depth=3
	s_mov_b32 s50, 0
	v_mov_b32_e32 v31, 0
	v_mov_b32_e32 v2, v28
	;; [unrolled: 1-line block ×3, first 2 shown]
	s_and_b64 vcc, exec, s[34:35]
	s_cbranch_vccz .LBB15_106
.LBB15_103:                             ;   in Loop: Header=BB15_102 Depth=3
	v_ashrrev_i32_e32 v3, 31, v2
	v_lshlrev_b64 v[32:33], 2, v[2:3]
	v_mov_b32_e32 v3, s29
	v_add_co_u32_e32 v32, vcc, s28, v32
	v_addc_co_u32_e32 v33, vcc, v3, v33, vcc
	global_load_dword v3, v[32:33], off
	v_mov_b32_e32 v5, 0
	s_and_saveexec_b64 s[46:47], s[2:3]
	s_cbranch_execz .LBB15_105
; %bb.104:                              ;   in Loop: Header=BB15_102 Depth=3
	v_ashrrev_i32_e32 v5, 31, v4
	v_lshlrev_b64 v[32:33], 2, v[4:5]
	v_mov_b32_e32 v5, s29
	v_add_co_u32_e32 v32, vcc, s28, v32
	v_addc_co_u32_e32 v33, vcc, v5, v33, vcc
	global_load_dword v5, v[32:33], off
.LBB15_105:                             ;   in Loop: Header=BB15_102 Depth=3
	s_or_b64 exec, exec, s[46:47]
	s_waitcnt vmcnt(0)
	v_fma_f32 v3, v3, v5, v31
	s_branch .LBB15_110
.LBB15_106:                             ;   in Loop: Header=BB15_102 Depth=3
                                        ; implicit-def: $vgpr3
	s_cbranch_execz .LBB15_110
; %bb.107:                              ;   in Loop: Header=BB15_102 Depth=3
	v_add_u32_e32 v32, s50, v29
	v_ashrrev_i32_e32 v33, 31, v32
	v_lshlrev_b64 v[32:33], 2, v[32:33]
	v_mov_b32_e32 v3, s29
	v_add_co_u32_e32 v32, vcc, s28, v32
	v_addc_co_u32_e32 v33, vcc, v3, v33, vcc
	global_load_dword v3, v[32:33], off
	v_mov_b32_e32 v5, 0
	s_and_saveexec_b64 s[46:47], s[2:3]
	s_cbranch_execz .LBB15_109
; %bb.108:                              ;   in Loop: Header=BB15_102 Depth=3
	v_add_u32_e32 v32, s50, v26
	v_ashrrev_i32_e32 v33, 31, v32
	v_lshlrev_b64 v[32:33], 2, v[32:33]
	v_mov_b32_e32 v5, s29
	v_add_co_u32_e32 v32, vcc, s28, v32
	v_addc_co_u32_e32 v33, vcc, v5, v33, vcc
	global_load_dword v5, v[32:33], off
.LBB15_109:                             ;   in Loop: Header=BB15_102 Depth=3
	s_or_b64 exec, exec, s[46:47]
	s_waitcnt vmcnt(0)
	v_fmac_f32_e32 v31, v3, v5
	v_mov_b32_e32 v3, v31
.LBB15_110:                             ;   in Loop: Header=BB15_102 Depth=3
	s_add_i32 s50, s50, 1
	v_add_u32_e32 v4, s58, v4
	s_cmp_eq_u32 s58, s50
	v_add_u32_e32 v2, s58, v2
	s_cbranch_scc1 .LBB15_101
; %bb.111:                              ;   in Loop: Header=BB15_102 Depth=3
	v_mov_b32_e32 v31, v3
	s_and_b64 vcc, exec, s[34:35]
	s_cbranch_vccz .LBB15_106
	s_branch .LBB15_103
.LBB15_112:                             ;   in Loop: Header=BB15_22 Depth=1
	s_andn2_b64 vcc, exec, s[36:37]
	s_waitcnt lgkmcnt(0)
	s_cbranch_vccnz .LBB15_134
; %bb.113:                              ;   in Loop: Header=BB15_22 Depth=1
	s_mul_i32 s50, s61, s65
	s_mov_b32 s51, 0
	s_movk_i32 s52, 0x1080
	v_mov_b32_e32 v4, v20
	s_mov_b32 s53, s50
	s_branch .LBB15_115
.LBB15_114:                             ;   in Loop: Header=BB15_115 Depth=2
	s_or_b64 exec, exec, s[42:43]
	s_add_i32 s51, s51, 1
	s_add_i32 s53, s53, 1
	;; [unrolled: 1-line block ×3, first 2 shown]
	s_cmp_eq_u32 s51, s58
	v_add_u32_e32 v4, 4, v4
	s_waitcnt lgkmcnt(0)
	s_cbranch_scc1 .LBB15_134
.LBB15_115:                             ;   Parent Loop BB15_22 Depth=1
                                        ; =>  This Loop Header: Depth=2
                                        ;       Child Loop BB15_122 Depth 3
                                        ;       Child Loop BB15_127 Depth 3
	;; [unrolled: 1-line block ×3, first 2 shown]
	s_mul_i32 s46, s51, s58
	s_add_i32 s46, s46, s50
	s_add_i32 s42, s46, s51
	s_ashr_i32 s43, s42, 31
	s_lshl_b64 s[42:43], s[42:43], 2
	s_add_u32 s42, s28, s42
	s_addc_u32 s43, s29, s43
	global_load_dword v5, v23, s[42:43]
	v_lshl_add_u32 v3, s51, 2, v13
	ds_read_b32 v2, v3 offset:4224
	s_waitcnt vmcnt(0)
	v_cmp_neq_f32_e32 vcc, 0, v5
	s_or_b64 s[42:43], vcc, s[4:5]
	v_cndmask_b32_e32 v5, 1.0, v5, vcc
	s_xor_b64 s[44:45], s[42:43], -1
	s_and_saveexec_b64 s[42:43], s[44:45]
	s_cbranch_execz .LBB15_119
; %bb.116:                              ;   in Loop: Header=BB15_115 Depth=2
	v_mbcnt_lo_u32_b32 v5, exec_lo, 0
	v_mbcnt_hi_u32_b32 v5, exec_hi, v5
	v_cmp_eq_u32_e32 vcc, 0, v5
	s_and_saveexec_b64 s[44:45], vcc
	s_cbranch_execz .LBB15_118
; %bb.117:                              ;   in Loop: Header=BB15_115 Depth=2
	v_mov_b32_e32 v5, s64
	global_atomic_smin v23, v5, s[22:23]
.LBB15_118:                             ;   in Loop: Header=BB15_115 Depth=2
	s_or_b64 exec, exec, s[44:45]
	v_mov_b32_e32 v5, 1.0
.LBB15_119:                             ;   in Loop: Header=BB15_115 Depth=2
	s_or_b64 exec, exec, s[42:43]
	ds_read_b32 v26, v3
	s_cmp_eq_u32 s51, 0
	s_cbranch_scc1 .LBB15_124
; %bb.120:                              ;   in Loop: Header=BB15_115 Depth=2
	s_mov_b32 s44, 0
	s_mov_b32 s45, s53
	v_mov_b32_e32 v27, v18
	s_branch .LBB15_122
.LBB15_121:                             ;   in Loop: Header=BB15_122 Depth=3
	s_ashr_i32 s43, s42, 31
	s_lshl_b64 s[42:43], s[42:43], 2
	s_add_u32 s42, s28, s42
	s_addc_u32 s43, s29, s43
	global_load_dword v28, v23, s[42:43]
	ds_read_b32 v29, v27
	s_add_i32 s44, s44, 1
	s_add_i32 s45, s45, s58
	s_cmp_ge_u32 s44, s51
	v_add_u32_e32 v27, 4, v27
	s_waitcnt vmcnt(0) lgkmcnt(0)
	v_fmac_f32_e32 v26, v28, v29
	s_cbranch_scc1 .LBB15_124
.LBB15_122:                             ;   Parent Loop BB15_22 Depth=1
                                        ;     Parent Loop BB15_115 Depth=2
                                        ; =>    This Inner Loop Header: Depth=3
	s_andn2_b64 vcc, exec, s[30:31]
	s_mov_b32 s42, s45
	s_cbranch_vccnz .LBB15_121
; %bb.123:                              ;   in Loop: Header=BB15_122 Depth=3
	s_add_i32 s42, s44, s46
	s_branch .LBB15_121
.LBB15_124:                             ;   in Loop: Header=BB15_115 Depth=2
	s_waitcnt lgkmcnt(0)
	v_sub_f32_e32 v2, v2, v26
	v_div_scale_f32 v26, s[42:43], v5, v5, v2
	v_rcp_f32_e32 v27, v26
	v_div_scale_f32 v28, vcc, v2, v5, v2
	v_add_u32_e32 v3, 0x1080, v3
	v_fma_f32 v29, -v26, v27, 1.0
	v_fmac_f32_e32 v27, v29, v27
	v_mul_f32_e32 v29, v28, v27
	v_fma_f32 v30, -v26, v29, v28
	v_fmac_f32_e32 v29, v30, v27
	v_fma_f32 v26, -v26, v29, v28
	v_div_fmas_f32 v26, v26, v27, v29
	v_div_fixup_f32 v2, v26, v5, v2
	ds_write_b32 v3, v2
	s_waitcnt lgkmcnt(0)
	s_and_saveexec_b64 s[42:43], s[0:1]
	s_cbranch_execz .LBB15_114
; %bb.125:                              ;   in Loop: Header=BB15_115 Depth=2
	s_mov_b64 s[46:47], -1
	v_mov_b32_e32 v3, v1
	v_mov_b32_e32 v5, v19
	;; [unrolled: 1-line block ×3, first 2 shown]
	s_and_saveexec_b64 s[44:45], s[38:39]
	s_cbranch_execz .LBB15_131
; %bb.126:                              ;   in Loop: Header=BB15_115 Depth=2
	v_mov_b32_e32 v3, v2
	s_mov_b64 s[46:47], 0
	v_mov_b32_e32 v5, v11
	v_mov_b32_e32 v26, v21
	;; [unrolled: 1-line block ×3, first 2 shown]
.LBB15_127:                             ;   Parent Loop BB15_22 Depth=1
                                        ;     Parent Loop BB15_115 Depth=2
                                        ; =>    This Inner Loop Header: Depth=3
	ds_read2_b32 v[28:29], v27 offset1:66
	ds_read2_b32 v[30:31], v26 offset1:2
	v_add_u32_e32 v5, -2, v5
	v_cmp_eq_u32_e32 vcc, 0, v5
	v_add_u32_e32 v27, 0x210, v27
	s_or_b64 s[46:47], vcc, s[46:47]
	s_waitcnt lgkmcnt(0)
	v_pk_fma_f32 v[28:29], v[2:3], v[28:29], v[30:31]
	ds_write2_b32 v26, v28, v29 offset1:2
	v_add_u32_e32 v26, 16, v26
	s_andn2_b64 exec, exec, s[46:47]
	s_cbranch_execnz .LBB15_127
; %bb.128:                              ;   in Loop: Header=BB15_115 Depth=2
	s_or_b64 exec, exec, s[46:47]
	s_mov_b64 s[46:47], 0
	s_and_saveexec_b64 s[48:49], s[10:11]
	s_xor_b64 s[48:49], exec, s[48:49]
; %bb.129:                              ;   in Loop: Header=BB15_115 Depth=2
	s_mov_b64 s[46:47], exec
; %bb.130:                              ;   in Loop: Header=BB15_115 Depth=2
	s_or_b64 exec, exec, s[48:49]
	s_orn2_b64 s[46:47], s[46:47], exec
	v_mov_b32_e32 v3, v12
	v_mov_b32_e32 v5, v24
	;; [unrolled: 1-line block ×3, first 2 shown]
.LBB15_131:                             ;   in Loop: Header=BB15_115 Depth=2
	s_or_b64 exec, exec, s[44:45]
	s_and_b64 exec, exec, s[46:47]
	s_cbranch_execz .LBB15_114
; %bb.132:                              ;   in Loop: Header=BB15_115 Depth=2
	v_add_u32_e32 v5, s52, v5
	v_add_u32_e32 v26, v10, v26
	s_mov_b64 s[44:45], 0
.LBB15_133:                             ;   Parent Loop BB15_22 Depth=1
                                        ;     Parent Loop BB15_115 Depth=2
                                        ; =>    This Inner Loop Header: Depth=3
	ds_read_b32 v27, v5
	ds_read_b32 v28, v26
	v_add_u32_e32 v3, 2, v3
	v_cmp_le_i32_e32 vcc, s58, v3
	v_add_u32_e32 v5, 0x108, v5
	s_or_b64 s[44:45], vcc, s[44:45]
	s_waitcnt lgkmcnt(0)
	v_fmac_f32_e32 v28, v2, v27
	ds_write_b32 v26, v28
	v_add_u32_e32 v26, 8, v26
	s_andn2_b64 exec, exec, s[44:45]
	s_cbranch_execnz .LBB15_133
	s_branch .LBB15_114
.LBB15_134:                             ;   in Loop: Header=BB15_22 Depth=1
	s_and_saveexec_b64 s[42:43], s[0:1]
	s_cbranch_execz .LBB15_21
; %bb.135:                              ;   in Loop: Header=BB15_22 Depth=1
	v_mov_b32_e32 v4, v1
	s_and_saveexec_b64 s[44:45], s[6:7]
	s_cbranch_execz .LBB15_145
; %bb.136:                              ;   in Loop: Header=BB15_22 Depth=1
	s_mov_b64 s[46:47], 0
	v_mov_b32_e32 v5, v15
	v_mov_b32_e32 v26, v22
	;; [unrolled: 1-line block ×3, first 2 shown]
	s_branch .LBB15_139
.LBB15_137:                             ;   in Loop: Header=BB15_139 Depth=2
	v_ashrrev_i32_e32 v3, 31, v2
	v_lshlrev_b64 v[2:3], 2, v[2:3]
	v_mov_b32_e32 v28, s29
	v_add_co_u32_e32 v2, vcc, s28, v2
	v_addc_co_u32_e32 v3, vcc, v28, v3, vcc
	s_waitcnt lgkmcnt(0)
	global_store_dword v[2:3], v27, off
.LBB15_138:                             ;   in Loop: Header=BB15_139 Depth=2
	s_or_b64 exec, exec, s[48:49]
	v_add_u32_e32 v5, -4, v5
	v_cmp_eq_u32_e32 vcc, 0, v5
	v_add_u32_e32 v4, 2, v4
	s_or_b64 s[46:47], vcc, s[46:47]
	v_add_u32_e32 v26, 8, v26
	s_andn2_b64 exec, exec, s[46:47]
	s_cbranch_execz .LBB15_144
.LBB15_139:                             ;   Parent Loop BB15_22 Depth=1
                                        ; =>  This Inner Loop Header: Depth=2
	s_and_saveexec_b64 s[48:49], s[2:3]
	s_cbranch_execz .LBB15_138
; %bb.140:                              ;   in Loop: Header=BB15_139 Depth=2
	ds_read_b32 v27, v26
	s_and_b64 vcc, exec, s[12:13]
	s_cbranch_vccnz .LBB15_142
; %bb.141:                              ;   in Loop: Header=BB15_139 Depth=2
	v_add_u32_e32 v2, s41, v4
	v_mad_u64_u32 v[2:3], s[50:51], v2, s58, v[0:1]
	s_cbranch_execnz .LBB15_137
	s_branch .LBB15_143
.LBB15_142:                             ;   in Loop: Header=BB15_139 Depth=2
                                        ; implicit-def: $vgpr2
.LBB15_143:                             ;   in Loop: Header=BB15_139 Depth=2
	v_add_u32_e32 v2, v17, v4
	s_branch .LBB15_137
.LBB15_144:                             ;   in Loop: Header=BB15_22 Depth=1
	s_or_b64 exec, exec, s[46:47]
.LBB15_145:                             ;   in Loop: Header=BB15_22 Depth=1
	s_or_b64 exec, exec, s[44:45]
	s_and_b64 exec, exec, s[8:9]
	s_cbranch_execz .LBB15_21
; %bb.146:                              ;   in Loop: Header=BB15_22 Depth=1
	v_lshl_add_u32 v5, v4, 2, v18
	s_mov_b64 s[44:45], 0
	s_branch .LBB15_149
.LBB15_147:                             ;   in Loop: Header=BB15_149 Depth=2
	v_ashrrev_i32_e32 v3, 31, v2
	v_lshlrev_b64 v[2:3], 2, v[2:3]
	v_mov_b32_e32 v27, s29
	v_add_co_u32_e32 v2, vcc, s28, v2
	v_addc_co_u32_e32 v3, vcc, v27, v3, vcc
	s_waitcnt lgkmcnt(0)
	global_store_dword v[2:3], v26, off
.LBB15_148:                             ;   in Loop: Header=BB15_149 Depth=2
	s_or_b64 exec, exec, s[46:47]
	v_add_u32_e32 v4, 8, v4
	v_cmp_le_i32_e32 vcc, s58, v4
	s_or_b64 s[44:45], vcc, s[44:45]
	v_add_u32_e32 v5, 32, v5
	s_andn2_b64 exec, exec, s[44:45]
	s_cbranch_execz .LBB15_21
.LBB15_149:                             ;   Parent Loop BB15_22 Depth=1
                                        ; =>  This Inner Loop Header: Depth=2
	s_and_saveexec_b64 s[46:47], s[2:3]
	s_cbranch_execnz .LBB15_153
; %bb.150:                              ;   in Loop: Header=BB15_149 Depth=2
	s_or_b64 exec, exec, s[46:47]
	s_and_saveexec_b64 s[46:47], s[2:3]
	s_cbranch_execnz .LBB15_158
.LBB15_151:                             ;   in Loop: Header=BB15_149 Depth=2
	s_or_b64 exec, exec, s[46:47]
	s_and_saveexec_b64 s[46:47], s[2:3]
	s_cbranch_execnz .LBB15_163
.LBB15_152:                             ;   in Loop: Header=BB15_149 Depth=2
	s_or_b64 exec, exec, s[46:47]
	s_and_saveexec_b64 s[46:47], s[2:3]
	s_cbranch_execz .LBB15_148
	s_branch .LBB15_168
.LBB15_153:                             ;   in Loop: Header=BB15_149 Depth=2
	ds_read_b32 v26, v5
	s_and_b64 vcc, exec, s[34:35]
	s_cbranch_vccz .LBB15_155
; %bb.154:                              ;   in Loop: Header=BB15_149 Depth=2
	v_add_u32_e32 v2, s41, v4
	v_mad_u64_u32 v[2:3], s[48:49], v2, s58, v[0:1]
	s_cbranch_execz .LBB15_156
	s_branch .LBB15_157
.LBB15_155:                             ;   in Loop: Header=BB15_149 Depth=2
                                        ; implicit-def: $vgpr2
.LBB15_156:                             ;   in Loop: Header=BB15_149 Depth=2
	v_add_u32_e32 v2, v17, v4
.LBB15_157:                             ;   in Loop: Header=BB15_149 Depth=2
	v_ashrrev_i32_e32 v3, 31, v2
	v_lshlrev_b64 v[2:3], 2, v[2:3]
	v_mov_b32_e32 v27, s29
	v_add_co_u32_e32 v2, vcc, s28, v2
	v_addc_co_u32_e32 v3, vcc, v27, v3, vcc
	s_waitcnt lgkmcnt(0)
	global_store_dword v[2:3], v26, off
	s_or_b64 exec, exec, s[46:47]
	s_and_saveexec_b64 s[46:47], s[2:3]
	s_cbranch_execz .LBB15_151
.LBB15_158:                             ;   in Loop: Header=BB15_149 Depth=2
	ds_read_b32 v26, v5 offset:8
	s_and_b64 vcc, exec, s[12:13]
	s_cbranch_vccnz .LBB15_160
; %bb.159:                              ;   in Loop: Header=BB15_149 Depth=2
	v_add3_u32 v2, v4, s41, 2
	v_mad_u64_u32 v[2:3], s[48:49], v2, s58, v[0:1]
	s_cbranch_execz .LBB15_161
	s_branch .LBB15_162
.LBB15_160:                             ;   in Loop: Header=BB15_149 Depth=2
                                        ; implicit-def: $vgpr2
.LBB15_161:                             ;   in Loop: Header=BB15_149 Depth=2
	v_add3_u32 v2, v17, v4, 2
.LBB15_162:                             ;   in Loop: Header=BB15_149 Depth=2
	v_ashrrev_i32_e32 v3, 31, v2
	v_lshlrev_b64 v[2:3], 2, v[2:3]
	v_mov_b32_e32 v27, s29
	v_add_co_u32_e32 v2, vcc, s28, v2
	v_addc_co_u32_e32 v3, vcc, v27, v3, vcc
	s_waitcnt lgkmcnt(0)
	global_store_dword v[2:3], v26, off
	s_or_b64 exec, exec, s[46:47]
	s_and_saveexec_b64 s[46:47], s[2:3]
	s_cbranch_execz .LBB15_152
.LBB15_163:                             ;   in Loop: Header=BB15_149 Depth=2
	ds_read_b32 v26, v5 offset:16
	s_and_b64 vcc, exec, s[12:13]
	s_cbranch_vccnz .LBB15_165
; %bb.164:                              ;   in Loop: Header=BB15_149 Depth=2
	v_add3_u32 v2, v4, s41, 4
	v_mad_u64_u32 v[2:3], s[48:49], v2, s58, v[0:1]
	s_cbranch_execz .LBB15_166
	s_branch .LBB15_167
.LBB15_165:                             ;   in Loop: Header=BB15_149 Depth=2
                                        ; implicit-def: $vgpr2
.LBB15_166:                             ;   in Loop: Header=BB15_149 Depth=2
	v_add3_u32 v2, v17, v4, 4
.LBB15_167:                             ;   in Loop: Header=BB15_149 Depth=2
	v_ashrrev_i32_e32 v3, 31, v2
	v_lshlrev_b64 v[2:3], 2, v[2:3]
	v_mov_b32_e32 v27, s29
	v_add_co_u32_e32 v2, vcc, s28, v2
	v_addc_co_u32_e32 v3, vcc, v27, v3, vcc
	s_waitcnt lgkmcnt(0)
	global_store_dword v[2:3], v26, off
	s_or_b64 exec, exec, s[46:47]
	s_and_saveexec_b64 s[46:47], s[2:3]
	s_cbranch_execz .LBB15_148
.LBB15_168:                             ;   in Loop: Header=BB15_149 Depth=2
	ds_read_b32 v26, v5 offset:24
	s_and_b64 vcc, exec, s[12:13]
	s_cbranch_vccnz .LBB15_170
; %bb.169:                              ;   in Loop: Header=BB15_149 Depth=2
	v_add3_u32 v2, v4, s41, 6
	v_mad_u64_u32 v[2:3], s[48:49], v2, s58, v[0:1]
	s_cbranch_execnz .LBB15_147
	s_branch .LBB15_171
.LBB15_170:                             ;   in Loop: Header=BB15_149 Depth=2
                                        ; implicit-def: $vgpr2
.LBB15_171:                             ;   in Loop: Header=BB15_149 Depth=2
	v_add3_u32 v2, v17, v4, 6
	s_branch .LBB15_147
.LBB15_172:
	v_cmp_gt_i32_e64 s[0:1], s58, v1
	s_and_saveexec_b64 s[4:5], s[0:1]
	s_cbranch_execz .LBB15_185
; %bb.173:
	s_mul_i32 s24, s33, s58
	v_add_u32_e32 v2, s24, v0
	s_cmp_lg_u32 s60, 0
	v_mul_lo_u32 v4, v2, s58
	v_mul_u32_u24_e32 v2, 0x84, v0
	v_lshlrev_b32_e32 v3, 2, v1
	s_movk_i32 s8, 0x1080
	s_cselect_b64 s[6:7], -1, 0
	v_cmp_gt_i32_e64 s[2:3], s58, v0
	v_add3_u32 v5, v2, v3, s8
	s_mov_b64 s[8:9], 0
	v_mov_b32_e32 v8, v1
	s_branch .LBB15_175
.LBB15_174:                             ;   in Loop: Header=BB15_175 Depth=1
	s_or_b64 exec, exec, s[12:13]
	v_add_u32_e32 v8, 2, v8
	v_cmp_le_i32_e32 vcc, s58, v8
	s_waitcnt vmcnt(0)
	ds_write_b32 v5, v3
	s_or_b64 s[8:9], vcc, s[8:9]
	v_add_u32_e32 v5, 8, v5
	s_andn2_b64 exec, exec, s[8:9]
	s_cbranch_execz .LBB15_185
.LBB15_175:                             ; =>This Inner Loop Header: Depth=1
	s_and_b64 vcc, exec, s[6:7]
	s_cbranch_vccz .LBB15_180
; %bb.176:                              ;   in Loop: Header=BB15_175 Depth=1
	s_mov_b64 s[12:13], 0
	s_mov_b64 s[10:11], 0
                                        ; implicit-def: $vgpr2
	s_and_saveexec_b64 s[16:17], s[2:3]
	s_xor_b64 s[16:17], exec, s[16:17]
; %bb.177:                              ;   in Loop: Header=BB15_175 Depth=1
	v_add_u32_e32 v2, s24, v8
	s_mov_b64 s[10:11], exec
	v_mad_u64_u32 v[2:3], s[26:27], v2, s58, v[0:1]
; %bb.178:                              ;   in Loop: Header=BB15_175 Depth=1
	s_or_b64 exec, exec, s[16:17]
	s_mov_b32 s16, 0
	s_and_b64 vcc, exec, s[12:13]
	s_cbranch_vccnz .LBB15_181
.LBB15_179:                             ;   in Loop: Header=BB15_175 Depth=1
	v_mov_b32_e32 v3, s16
	s_and_saveexec_b64 s[12:13], s[10:11]
	s_cbranch_execz .LBB15_174
	s_branch .LBB15_184
.LBB15_180:                             ;   in Loop: Header=BB15_175 Depth=1
	s_mov_b64 s[10:11], 0
                                        ; implicit-def: $vgpr2
                                        ; implicit-def: $sgpr16
	s_cbranch_execz .LBB15_179
.LBB15_181:                             ;   in Loop: Header=BB15_175 Depth=1
                                        ; implicit-def: $vgpr2
	s_and_saveexec_b64 s[12:13], s[2:3]
; %bb.182:                              ;   in Loop: Header=BB15_175 Depth=1
	v_add_u32_e32 v2, v4, v8
	s_or_b64 s[10:11], s[10:11], exec
; %bb.183:                              ;   in Loop: Header=BB15_175 Depth=1
	s_or_b64 exec, exec, s[12:13]
	s_mov_b32 s16, 0
	v_mov_b32_e32 v3, s16
	s_and_saveexec_b64 s[12:13], s[10:11]
	s_cbranch_execz .LBB15_174
.LBB15_184:                             ;   in Loop: Header=BB15_175 Depth=1
	v_ashrrev_i32_e32 v3, 31, v2
	v_lshlrev_b64 v[2:3], 2, v[2:3]
	v_mov_b32_e32 v9, s29
	v_add_co_u32_e32 v2, vcc, s28, v2
	v_addc_co_u32_e32 v3, vcc, v9, v3, vcc
	global_load_dword v3, v[2:3], off
	s_branch .LBB15_174
.LBB15_185:
	s_or_b64 exec, exec, s[4:5]
; %bb.186:
	s_cmp_lt_i32 s58, 1
	s_waitcnt lgkmcnt(0)
	s_cbranch_scc1 .LBB15_211
; %bb.187:
	v_or_b32_e32 v2, v1, v0
	s_movk_i32 s34, 0x84
	v_mov_b32_e32 v3, 0x2100
	v_cmp_ne_u32_e64 s[2:3], 0, v2
	v_lshlrev_b32_e32 v2, 2, v0
	v_mul_u32_u24_e32 v4, 0x84, v0
	s_movk_i32 s35, 0x1080
	v_mad_u32_u24 v8, v0, s34, v3
	v_add3_u32 v5, v4, v2, s35
	v_add_u32_e32 v9, v8, v2
	v_lshrrev_b32_e32 v2, 1, v7
	v_add_u32_e32 v3, 1, v2
	v_add_u32_e32 v2, -1, v2
	v_lshrrev_b32_e32 v10, 1, v2
	v_add_u32_e32 v12, 1, v10
	v_lshlrev_b32_e32 v10, 2, v7
	s_brev_b32 s4, -4
	v_cmp_lt_u32_e32 vcc, 33, v7
	v_and_b32_e32 v10, -8, v10
	v_cmp_lt_u32_e64 s[4:5], s4, v7
	v_add_u32_e32 v7, v8, v6
	v_add_u32_e32 v10, v7, v10
	v_cmp_lt_u32_e64 s[6:7], v10, v7
	s_or_b64 s[4:5], s[6:7], s[4:5]
	v_and_b32_e32 v13, -2, v3
	s_xor_b64 s[10:11], s[4:5], -1
	v_lshl_add_u32 v10, v13, 1, v1
	v_and_b32_e32 v11, 7, v12
	v_cmp_lt_u32_e64 s[4:5], 13, v2
	v_mov_b32_e32 v2, 0x1080
	s_mov_b32 s30, 0
	s_add_i32 s31, s20, s21
	v_and_b32_e32 v12, -8, v12
	v_cmp_ne_u32_e64 s[6:7], 0, v11
	v_cmp_ne_u32_e64 s[8:9], v3, v13
	s_and_b64 s[12:13], vcc, s[10:11]
	v_mul_u32_u24_e32 v13, 0x84, v1
	v_mad_u32_u24 v14, v1, s34, v2
	s_mov_b32 s36, 0xf800000
	v_mov_b32_e32 v15, 0x260
	v_mov_b32_e32 v16, 0
	s_movk_i32 s37, 0x108
	v_mul_lo_u32 v17, v10, s34
	v_lshlrev_b32_e32 v18, 2, v10
	s_branch .LBB15_189
.LBB15_188:                             ;   in Loop: Header=BB15_189 Depth=1
	s_or_b64 exec, exec, s[10:11]
	s_add_i32 s30, s30, 1
	s_add_i32 s35, s35, 4
	s_cmp_eq_u32 s30, s58
	v_add_u32_e32 v14, 4, v14
	s_waitcnt lgkmcnt(0)
	s_cbranch_scc1 .LBB15_211
.LBB15_189:                             ; =>This Loop Header: Depth=1
                                        ;     Child Loop BB15_200 Depth 2
                                        ;     Child Loop BB15_204 Depth 2
	;; [unrolled: 1-line block ×3, first 2 shown]
	v_cmp_eq_u32_e32 vcc, s30, v0
	s_and_saveexec_b64 s[16:17], vcc
	s_cbranch_execz .LBB15_191
; %bb.190:                              ;   in Loop: Header=BB15_189 Depth=1
	ds_read_b32 v2, v5
	ds_read_b32 v3, v9
	s_waitcnt lgkmcnt(0)
	v_sub_f32_e32 v2, v2, v3
	v_cmp_gt_f32_e32 vcc, 0, v2
	v_cndmask_b32_e64 v2, v2, -v2, vcc
	v_mul_f32_e32 v3, 0x4f800000, v2
	v_cmp_gt_f32_e32 vcc, s36, v2
	v_cndmask_b32_e32 v2, v2, v3, vcc
	v_sqrt_f32_e32 v3, v2
	v_add_u32_e32 v19, -1, v3
	v_add_u32_e32 v20, 1, v3
	v_fma_f32 v21, -v19, v3, v2
	v_fma_f32 v22, -v20, v3, v2
	v_cmp_ge_f32_e64 s[10:11], 0, v21
	v_cndmask_b32_e64 v3, v3, v19, s[10:11]
	v_cmp_lt_f32_e64 s[10:11], 0, v22
	v_cndmask_b32_e64 v3, v3, v20, s[10:11]
	v_mul_f32_e32 v19, 0x37800000, v3
	v_cndmask_b32_e32 v3, v3, v19, vcc
	v_cmp_class_f32_e32 vcc, v2, v15
	v_cndmask_b32_e32 v2, v3, v2, vcc
	ds_write_b32 v5, v2
.LBB15_191:                             ;   in Loop: Header=BB15_189 Depth=1
	s_or_b64 exec, exec, s[16:17]
	s_lshl_b32 s10, s30, 2
	s_mul_i32 s11, s30, 0x84
	s_add_i32 s11, s11, s10
	v_mov_b32_e32 v2, s11
	s_waitcnt lgkmcnt(0)
	ds_read_b32 v19, v2 offset:4224
	v_mov_b32_e32 v2, s10
	v_mad_u32_u24 v2, v0, s34, v2
	ds_read_b32 v3, v2 offset:4224
	s_waitcnt lgkmcnt(1)
	v_cmp_neq_f32_e32 vcc, 0, v19
	s_or_b64 s[10:11], vcc, s[2:3]
	v_cndmask_b32_e32 v19, 1.0, v19, vcc
	s_xor_b64 s[16:17], s[10:11], -1
	s_and_saveexec_b64 s[10:11], s[16:17]
	s_cbranch_execz .LBB15_195
; %bb.192:                              ;   in Loop: Header=BB15_189 Depth=1
	v_mbcnt_lo_u32_b32 v19, exec_lo, 0
	v_mbcnt_hi_u32_b32 v19, exec_hi, v19
	v_cmp_eq_u32_e32 vcc, 0, v19
	s_and_saveexec_b64 s[16:17], vcc
	s_cbranch_execz .LBB15_194
; %bb.193:                              ;   in Loop: Header=BB15_189 Depth=1
	v_mov_b32_e32 v19, s31
	global_atomic_smin v16, v19, s[22:23]
.LBB15_194:                             ;   in Loop: Header=BB15_189 Depth=1
	s_or_b64 exec, exec, s[16:17]
	v_mov_b32_e32 v19, 1.0
.LBB15_195:                             ;   in Loop: Header=BB15_189 Depth=1
	s_or_b64 exec, exec, s[10:11]
	v_cmp_lt_u32_e32 vcc, s30, v0
	s_and_saveexec_b64 s[10:11], vcc
	s_cbranch_execz .LBB15_188
; %bb.196:                              ;   in Loop: Header=BB15_189 Depth=1
	v_lshl_add_u32 v20, s30, 2, v4
	ds_read_b32 v20, v20 offset:8448
	v_add_u32_e32 v22, 0x1080, v2
	s_waitcnt lgkmcnt(0)
	v_sub_f32_e32 v3, v3, v20
	v_div_scale_f32 v20, s[16:17], v19, v19, v3
	v_rcp_f32_e32 v21, v20
	v_div_scale_f32 v2, vcc, v3, v19, v3
	v_fma_f32 v23, -v20, v21, 1.0
	v_fmac_f32_e32 v21, v23, v21
	v_mul_f32_e32 v23, v2, v21
	v_fma_f32 v24, -v20, v23, v2
	v_fmac_f32_e32 v23, v24, v21
	v_fma_f32 v2, -v20, v23, v2
	v_div_fmas_f32 v2, v2, v21, v23
	v_div_fixup_f32 v2, v2, v19, v3
	ds_write_b32 v22, v2
	s_waitcnt lgkmcnt(0)
	s_and_b64 exec, exec, s[0:1]
	s_cbranch_execz .LBB15_188
; %bb.197:                              ;   in Loop: Header=BB15_189 Depth=1
	s_mov_b64 s[24:25], -1
	v_mov_b32_e32 v3, v1
	v_mov_b32_e32 v19, v13
	;; [unrolled: 1-line block ×3, first 2 shown]
	s_and_saveexec_b64 s[16:17], s[12:13]
	s_cbranch_execz .LBB15_208
; %bb.198:                              ;   in Loop: Header=BB15_189 Depth=1
	v_mov_b32_e32 v3, v2
	v_mov_b32_e32 v22, 0
	s_and_saveexec_b64 s[24:25], s[4:5]
	s_cbranch_execz .LBB15_202
; %bb.199:                              ;   in Loop: Header=BB15_189 Depth=1
	s_mov_b32 s38, 0
	s_mov_b64 s[26:27], 0
	v_mov_b32_e32 v19, v12
	v_mov_b32_e32 v20, v7
	;; [unrolled: 1-line block ×3, first 2 shown]
.LBB15_200:                             ;   Parent Loop BB15_189 Depth=1
                                        ; =>  This Inner Loop Header: Depth=2
	ds_read2_b32 v[22:23], v21 offset1:66
	ds_read2_b32 v[24:25], v20 offset1:2
	ds_read2_b32 v[26:27], v20 offset0:4 offset1:6
	ds_read2_b32 v[28:29], v21 offset0:132 offset1:198
	ds_read2_b32 v[30:31], v20 offset0:8 offset1:10
	v_add_u32_e32 v34, 0x800, v21
	s_waitcnt lgkmcnt(3)
	v_pk_fma_f32 v[22:23], v[2:3], v[22:23], v[24:25]
	ds_write2_b32 v20, v22, v23 offset1:2
	s_waitcnt lgkmcnt(2)
	v_pk_fma_f32 v[22:23], v[2:3], v[28:29], v[26:27]
	ds_write2_b32 v20, v22, v23 offset0:4 offset1:6
	v_add_u32_e32 v24, 0x400, v21
	ds_read2_b32 v[22:23], v24 offset0:8 offset1:74
	ds_read2_b32 v[24:25], v24 offset0:140 offset1:206
	;; [unrolled: 1-line block ×5, first 2 shown]
	v_add_u32_e32 v19, -8, v19
	s_waitcnt lgkmcnt(4)
	v_pk_fma_f32 v[22:23], v[2:3], v[22:23], v[30:31]
	ds_write2_b32 v20, v22, v23 offset0:8 offset1:10
	s_waitcnt lgkmcnt(3)
	v_pk_fma_f32 v[22:23], v[2:3], v[24:25], v[26:27]
	ds_write2_b32 v20, v22, v23 offset0:12 offset1:14
	;; [unrolled: 3-line block ×3, first 2 shown]
	ds_read2_b32 v[22:23], v34 offset0:148 offset1:214
	ds_read2_b32 v[24:25], v20 offset0:20 offset1:22
	v_add_u32_e32 v30, 0xc00, v21
	ds_read2_b32 v[26:27], v30 offset0:24 offset1:90
	ds_read2_b32 v[28:29], v20 offset0:24 offset1:26
	;; [unrolled: 1-line block ×4, first 2 shown]
	s_add_i32 s38, s38, 16
	v_cmp_eq_u32_e32 vcc, 0, v19
	s_waitcnt lgkmcnt(4)
	v_pk_fma_f32 v[22:23], v[2:3], v[22:23], v[24:25]
	ds_write2_b32 v20, v22, v23 offset0:20 offset1:22
	s_waitcnt lgkmcnt(3)
	v_pk_fma_f32 v[22:23], v[2:3], v[26:27], v[28:29]
	ds_write2_b32 v20, v22, v23 offset0:24 offset1:26
	;; [unrolled: 3-line block ×3, first 2 shown]
	v_add_u32_e32 v21, 0x1080, v21
	v_add_u32_e32 v20, 0x80, v20
	s_or_b64 s[26:27], vcc, s[26:27]
	v_mov_b32_e32 v22, s38
	s_andn2_b64 exec, exec, s[26:27]
	s_cbranch_execnz .LBB15_200
; %bb.201:                              ;   in Loop: Header=BB15_189 Depth=1
	s_or_b64 exec, exec, s[26:27]
.LBB15_202:                             ;   in Loop: Header=BB15_189 Depth=1
	s_or_b64 exec, exec, s[24:25]
	s_and_saveexec_b64 s[24:25], s[6:7]
	s_cbranch_execz .LBB15_205
; %bb.203:                              ;   in Loop: Header=BB15_189 Depth=1
	v_lshl_add_u32 v19, v22, 3, v7
	v_mul_lo_u32 v20, v22, s37
	s_mov_b64 s[26:27], 0
	v_mov_b32_e32 v21, v11
.LBB15_204:                             ;   Parent Loop BB15_189 Depth=1
                                        ; =>  This Inner Loop Header: Depth=2
	v_add_u32_e32 v24, v14, v20
	ds_read2_b32 v[22:23], v19 offset1:2
	ds_read2_b32 v[24:25], v24 offset1:66
	v_add_u32_e32 v21, -1, v21
	v_cmp_eq_u32_e32 vcc, 0, v21
	s_or_b64 s[26:27], vcc, s[26:27]
	v_add_u32_e32 v20, 0x210, v20
	s_waitcnt lgkmcnt(0)
	v_pk_fma_f32 v[22:23], v[2:3], v[24:25], v[22:23]
	ds_write2_b32 v19, v22, v23 offset1:2
	v_add_u32_e32 v19, 16, v19
	s_andn2_b64 exec, exec, s[26:27]
	s_cbranch_execnz .LBB15_204
.LBB15_205:                             ;   in Loop: Header=BB15_189 Depth=1
	s_or_b64 exec, exec, s[24:25]
	s_mov_b64 s[24:25], 0
	s_and_saveexec_b64 s[26:27], s[8:9]
; %bb.206:                              ;   in Loop: Header=BB15_189 Depth=1
	s_mov_b64 s[24:25], exec
; %bb.207:                              ;   in Loop: Header=BB15_189 Depth=1
	s_or_b64 exec, exec, s[26:27]
	s_orn2_b64 s[24:25], s[24:25], exec
	v_mov_b32_e32 v3, v10
	v_mov_b32_e32 v19, v17
	;; [unrolled: 1-line block ×3, first 2 shown]
.LBB15_208:                             ;   in Loop: Header=BB15_189 Depth=1
	s_or_b64 exec, exec, s[16:17]
	s_and_b64 exec, exec, s[24:25]
	s_cbranch_execz .LBB15_188
; %bb.209:                              ;   in Loop: Header=BB15_189 Depth=1
	v_add_u32_e32 v19, s35, v19
	v_add_u32_e32 v20, v8, v20
	s_mov_b64 s[16:17], 0
.LBB15_210:                             ;   Parent Loop BB15_189 Depth=1
                                        ; =>  This Inner Loop Header: Depth=2
	ds_read_b32 v21, v19
	ds_read_b32 v22, v20
	v_add_u32_e32 v3, 2, v3
	v_cmp_le_i32_e32 vcc, s58, v3
	v_add_u32_e32 v19, 0x108, v19
	s_or_b64 s[16:17], vcc, s[16:17]
	s_waitcnt lgkmcnt(0)
	v_fmac_f32_e32 v22, v2, v21
	ds_write_b32 v20, v22
	v_add_u32_e32 v20, 8, v20
	s_andn2_b64 exec, exec, s[16:17]
	s_cbranch_execnz .LBB15_210
	s_branch .LBB15_188
.LBB15_211:
	s_and_saveexec_b64 s[2:3], s[0:1]
	s_cbranch_execz .LBB15_220
; %bb.212:
	s_mul_i32 s33, s33, s58
	v_add_u32_e32 v2, s33, v0
	s_cmp_lg_u32 s60, 0
	v_mul_lo_u32 v4, v2, s58
	v_mul_u32_u24_e32 v2, 0x84, v0
	s_movk_i32 s6, 0x1080
	v_cmp_gt_i32_e64 s[0:1], s58, v0
	s_cselect_b64 s[4:5], -1, 0
	v_add3_u32 v5, v2, v6, s6
	s_mov_b64 s[6:7], 0
	v_mov_b32_e32 v6, v1
	s_branch .LBB15_215
.LBB15_213:                             ;   in Loop: Header=BB15_215 Depth=1
	v_ashrrev_i32_e32 v3, 31, v2
	v_lshlrev_b64 v[2:3], 2, v[2:3]
	v_mov_b32_e32 v8, s29
	v_add_co_u32_e32 v2, vcc, s28, v2
	v_addc_co_u32_e32 v3, vcc, v8, v3, vcc
	s_waitcnt lgkmcnt(0)
	global_store_dword v[2:3], v7, off
.LBB15_214:                             ;   in Loop: Header=BB15_215 Depth=1
	s_or_b64 exec, exec, s[8:9]
	v_add_u32_e32 v6, 2, v6
	v_cmp_le_i32_e32 vcc, s58, v6
	s_or_b64 s[6:7], vcc, s[6:7]
	v_add_u32_e32 v5, 8, v5
	s_andn2_b64 exec, exec, s[6:7]
	s_cbranch_execz .LBB15_220
.LBB15_215:                             ; =>This Inner Loop Header: Depth=1
	s_and_saveexec_b64 s[8:9], s[0:1]
	s_cbranch_execz .LBB15_214
; %bb.216:                              ;   in Loop: Header=BB15_215 Depth=1
	ds_read_b32 v7, v5
	s_and_b64 vcc, exec, s[4:5]
	s_cbranch_vccz .LBB15_218
; %bb.217:                              ;   in Loop: Header=BB15_215 Depth=1
	v_add_u32_e32 v2, s33, v6
	v_mad_u64_u32 v[2:3], s[10:11], v2, s58, v[0:1]
	s_cbranch_execnz .LBB15_213
	s_branch .LBB15_219
.LBB15_218:                             ;   in Loop: Header=BB15_215 Depth=1
                                        ; implicit-def: $vgpr2
.LBB15_219:                             ;   in Loop: Header=BB15_215 Depth=1
	v_add_u32_e32 v2, v4, v6
	s_branch .LBB15_213
.LBB15_220:
	s_or_b64 exec, exec, s[2:3]
	v_or_b32_e32 v2, v1, v0
	v_cmp_eq_u32_e64 s[0:1], 0, v2
.LBB15_221:
	s_and_saveexec_b64 s[2:3], s[0:1]
	s_cbranch_execnz .LBB15_229
.LBB15_222:
	s_endpgm
.LBB15_223:
	s_mov_b64 s[0:1], 0
	s_cbranch_execz .LBB15_221
; %bb.224:
	v_or_b32_e32 v0, v1, v0
	v_cmp_eq_u32_e32 vcc, 0, v0
	s_and_saveexec_b64 s[2:3], vcc
	s_cbranch_execz .LBB15_228
; %bb.225:
	v_mbcnt_lo_u32_b32 v0, exec_lo, 0
	v_mbcnt_hi_u32_b32 v0, exec_hi, v0
	v_cmp_eq_u32_e32 vcc, 0, v0
	s_and_saveexec_b64 s[4:5], vcc
	s_cbranch_execz .LBB15_227
; %bb.226:
	s_add_i32 s6, s20, s21
	v_mov_b32_e32 v0, 0
	v_mov_b32_e32 v1, s6
	global_atomic_smin v0, v1, s[22:23]
.LBB15_227:
	s_or_b64 exec, exec, s[4:5]
	s_or_b64 s[0:1], s[0:1], exec
.LBB15_228:
	s_or_b64 exec, exec, s[2:3]
	s_and_saveexec_b64 s[2:3], s[0:1]
	s_cbranch_execz .LBB15_222
.LBB15_229:
	s_add_u32 s0, s18, s14
	s_addc_u32 s1, s19, s15
	v_mov_b32_e32 v0, 0
	v_mov_b32_e32 v1, 1
	s_waitcnt vmcnt(0)
	global_store_dword v0, v1, s[0:1]
	s_endpgm
	.section	.rodata,"a",@progbits
	.p2align	6, 0x0
	.amdhsa_kernel _ZN9rocsparseL19bsric0_17_32_kernelILi64ELi64ELi32EfEEv20rocsparse_direction_iiPKiS3_PT2_S3_PiS3_S6_21rocsparse_index_base_
		.amdhsa_group_segment_fixed_size 13440
		.amdhsa_private_segment_fixed_size 0
		.amdhsa_kernarg_size 76
		.amdhsa_user_sgpr_count 6
		.amdhsa_user_sgpr_private_segment_buffer 1
		.amdhsa_user_sgpr_dispatch_ptr 0
		.amdhsa_user_sgpr_queue_ptr 0
		.amdhsa_user_sgpr_kernarg_segment_ptr 1
		.amdhsa_user_sgpr_dispatch_id 0
		.amdhsa_user_sgpr_flat_scratch_init 0
		.amdhsa_user_sgpr_kernarg_preload_length 0
		.amdhsa_user_sgpr_kernarg_preload_offset 0
		.amdhsa_user_sgpr_private_segment_size 0
		.amdhsa_uses_dynamic_stack 0
		.amdhsa_system_sgpr_private_segment_wavefront_offset 0
		.amdhsa_system_sgpr_workgroup_id_x 1
		.amdhsa_system_sgpr_workgroup_id_y 0
		.amdhsa_system_sgpr_workgroup_id_z 0
		.amdhsa_system_sgpr_workgroup_info 0
		.amdhsa_system_vgpr_workitem_id 1
		.amdhsa_next_free_vgpr 70
		.amdhsa_next_free_sgpr 68
		.amdhsa_accum_offset 72
		.amdhsa_reserve_vcc 1
		.amdhsa_reserve_flat_scratch 0
		.amdhsa_float_round_mode_32 0
		.amdhsa_float_round_mode_16_64 0
		.amdhsa_float_denorm_mode_32 3
		.amdhsa_float_denorm_mode_16_64 3
		.amdhsa_dx10_clamp 1
		.amdhsa_ieee_mode 1
		.amdhsa_fp16_overflow 0
		.amdhsa_tg_split 0
		.amdhsa_exception_fp_ieee_invalid_op 0
		.amdhsa_exception_fp_denorm_src 0
		.amdhsa_exception_fp_ieee_div_zero 0
		.amdhsa_exception_fp_ieee_overflow 0
		.amdhsa_exception_fp_ieee_underflow 0
		.amdhsa_exception_fp_ieee_inexact 0
		.amdhsa_exception_int_div_zero 0
	.end_amdhsa_kernel
	.section	.text._ZN9rocsparseL19bsric0_17_32_kernelILi64ELi64ELi32EfEEv20rocsparse_direction_iiPKiS3_PT2_S3_PiS3_S6_21rocsparse_index_base_,"axG",@progbits,_ZN9rocsparseL19bsric0_17_32_kernelILi64ELi64ELi32EfEEv20rocsparse_direction_iiPKiS3_PT2_S3_PiS3_S6_21rocsparse_index_base_,comdat
.Lfunc_end15:
	.size	_ZN9rocsparseL19bsric0_17_32_kernelILi64ELi64ELi32EfEEv20rocsparse_direction_iiPKiS3_PT2_S3_PiS3_S6_21rocsparse_index_base_, .Lfunc_end15-_ZN9rocsparseL19bsric0_17_32_kernelILi64ELi64ELi32EfEEv20rocsparse_direction_iiPKiS3_PT2_S3_PiS3_S6_21rocsparse_index_base_
                                        ; -- End function
	.section	.AMDGPU.csdata,"",@progbits
; Kernel info:
; codeLenInByte = 7356
; NumSgprs: 72
; NumVgprs: 70
; NumAgprs: 0
; TotalNumVgprs: 70
; ScratchSize: 0
; MemoryBound: 0
; FloatMode: 240
; IeeeMode: 1
; LDSByteSize: 13440 bytes/workgroup (compile time only)
; SGPRBlocks: 8
; VGPRBlocks: 8
; NumSGPRsForWavesPerEU: 72
; NumVGPRsForWavesPerEU: 70
; AccumOffset: 72
; Occupancy: 1
; WaveLimiterHint : 1
; COMPUTE_PGM_RSRC2:SCRATCH_EN: 0
; COMPUTE_PGM_RSRC2:USER_SGPR: 6
; COMPUTE_PGM_RSRC2:TRAP_HANDLER: 0
; COMPUTE_PGM_RSRC2:TGID_X_EN: 1
; COMPUTE_PGM_RSRC2:TGID_Y_EN: 0
; COMPUTE_PGM_RSRC2:TGID_Z_EN: 0
; COMPUTE_PGM_RSRC2:TIDIG_COMP_CNT: 1
; COMPUTE_PGM_RSRC3_GFX90A:ACCUM_OFFSET: 17
; COMPUTE_PGM_RSRC3_GFX90A:TG_SPLIT: 0
	.section	.text._ZN9rocsparseL17bsric0_2_8_kernelILi64ELi128ELi8EfEEv20rocsparse_direction_iiPKiS3_PT2_S3_PiS3_S6_21rocsparse_index_base_,"axG",@progbits,_ZN9rocsparseL17bsric0_2_8_kernelILi64ELi128ELi8EfEEv20rocsparse_direction_iiPKiS3_PT2_S3_PiS3_S6_21rocsparse_index_base_,comdat
	.globl	_ZN9rocsparseL17bsric0_2_8_kernelILi64ELi128ELi8EfEEv20rocsparse_direction_iiPKiS3_PT2_S3_PiS3_S6_21rocsparse_index_base_ ; -- Begin function _ZN9rocsparseL17bsric0_2_8_kernelILi64ELi128ELi8EfEEv20rocsparse_direction_iiPKiS3_PT2_S3_PiS3_S6_21rocsparse_index_base_
	.p2align	8
	.type	_ZN9rocsparseL17bsric0_2_8_kernelILi64ELi128ELi8EfEEv20rocsparse_direction_iiPKiS3_PT2_S3_PiS3_S6_21rocsparse_index_base_,@function
_ZN9rocsparseL17bsric0_2_8_kernelILi64ELi128ELi8EfEEv20rocsparse_direction_iiPKiS3_PT2_S3_PiS3_S6_21rocsparse_index_base_: ; @_ZN9rocsparseL17bsric0_2_8_kernelILi64ELi128ELi8EfEEv20rocsparse_direction_iiPKiS3_PT2_S3_PiS3_S6_21rocsparse_index_base_
; %bb.0:
	s_load_dwordx8 s[8:15], s[4:5], 0x28
	s_mov_b32 s7, 0
	s_lshl_b64 s[0:1], s[6:7], 2
	v_and_b32_e32 v12, 0x3ff, v0
	v_bfe_u32 v13, v0, 10, 10
	s_waitcnt lgkmcnt(0)
	s_add_u32 s0, s12, s0
	s_addc_u32 s1, s13, s1
	s_load_dword s20, s[0:1], 0x0
	s_waitcnt lgkmcnt(0)
	s_ashr_i32 s21, s20, 31
	s_lshl_b64 s[12:13], s[20:21], 2
	s_add_u32 s0, s8, s12
	s_addc_u32 s1, s9, s13
	s_load_dword s33, s[0:1], 0x0
	s_load_dword s21, s[4:5], 0x48
	s_waitcnt lgkmcnt(0)
	s_cmp_lg_u32 s33, -1
	s_cbranch_scc0 .LBB16_106
; %bb.1:
	s_load_dwordx4 s[16:19], s[4:5], 0x10
	s_load_dwordx2 s[22:23], s[4:5], 0x20
	v_lshlrev_b32_e32 v1, 3, v13
	v_add_u32_e32 v2, v1, v12
	s_waitcnt lgkmcnt(0)
	s_add_u32 s0, s16, s12
	s_addc_u32 s1, s17, s13
	s_load_dword s26, s[0:1], 0x0
	s_waitcnt lgkmcnt(0)
	s_sub_i32 s44, s26, s21
	v_add_u32_e32 v0, s44, v2
	v_cmp_ge_i32_e32 vcc, s33, v0
	s_and_saveexec_b64 s[0:1], vcc
	s_cbranch_execz .LBB16_14
; %bb.2:
	v_add_u32_e32 v2, s26, v2
	v_subrev_u32_e32 v2, s21, v2
	v_add_u32_e32 v2, 64, v2
	s_add_i32 s2, s33, 1
	v_max_i32_e32 v2, s2, v2
	v_not_b32_e32 v3, v12
	v_add3_u32 v2, v2, s21, v3
	v_add_u32_e32 v1, s26, v1
	v_sub_u32_e32 v1, v2, v1
	v_cmp_lt_u32_e32 vcc, 63, v1
	s_mov_b64 s[6:7], -1
	s_and_saveexec_b64 s[2:3], vcc
	s_cbranch_execz .LBB16_11
; %bb.3:
	v_lshrrev_b32_e32 v14, 6, v1
	v_add_u32_e32 v2, -1, v14
	v_add_u32_e32 v1, 64, v0
	v_lshrrev_b32_e32 v3, 1, v2
	v_add_u32_e32 v15, 1, v3
	v_cmp_lt_u32_e32 vcc, 13, v2
	v_pk_mov_b32 v[2:3], v[0:1], v[0:1] op_sel:[0,1]
	s_and_saveexec_b64 s[6:7], vcc
	s_cbranch_execz .LBB16_7
; %bb.4:
	v_and_b32_e32 v16, -8, v15
	s_mov_b64 s[24:25], 0
	v_mov_b32_e32 v17, s19
	v_pk_mov_b32 v[2:3], v[0:1], v[0:1] op_sel:[0,1]
.LBB16_5:                               ; =>This Inner Loop Header: Depth=1
	v_ashrrev_i32_e32 v21, 31, v2
	v_mov_b32_e32 v20, v2
	v_lshlrev_b64 v[20:21], 2, v[20:21]
	v_ashrrev_i32_e32 v19, 31, v3
	v_mov_b32_e32 v18, v3
	v_add_co_u32_e32 v20, vcc, s18, v20
	v_add_u32_e32 v4, 0x80, v2
	v_lshlrev_b64 v[18:19], 2, v[18:19]
	v_addc_co_u32_e32 v21, vcc, v17, v21, vcc
	v_ashrrev_i32_e32 v5, 31, v4
	v_add_co_u32_e32 v18, vcc, s18, v18
	v_add_u32_e32 v6, 0x80, v3
	v_addc_co_u32_e32 v19, vcc, v17, v19, vcc
	v_lshlrev_b64 v[42:43], 2, v[4:5]
	v_ashrrev_i32_e32 v7, 31, v6
	global_load_dword v1, v[20:21], off
	global_load_dword v5, v[18:19], off
	v_add_co_u32_e32 v18, vcc, s18, v42
	v_add_u32_e32 v8, 0x100, v2
	v_lshlrev_b64 v[44:45], 2, v[6:7]
	v_addc_co_u32_e32 v19, vcc, v17, v43, vcc
	v_ashrrev_i32_e32 v9, 31, v8
	v_add_co_u32_e32 v20, vcc, s18, v44
	v_add_u32_e32 v10, 0x100, v3
	v_lshlrev_b64 v[46:47], 2, v[8:9]
	v_addc_co_u32_e32 v21, vcc, v17, v45, vcc
	v_ashrrev_i32_e32 v11, 31, v10
	;; [unrolled: 5-line block ×12, first 2 shown]
	v_add_co_u32_e32 v62, vcc, s18, v66
	v_lshlrev_b64 v[68:69], 2, v[40:41]
	v_addc_co_u32_e32 v63, vcc, v17, v67, vcc
	v_add_co_u32_e32 v64, vcc, s18, v68
	v_addc_co_u32_e32 v65, vcc, v17, v69, vcc
	global_load_dword v7, v[20:21], off
	global_load_dword v9, v[18:19], off
	;; [unrolled: 1-line block ×14, first 2 shown]
	v_subrev_u32_e32 v19, s44, v2
	v_add_u32_e32 v16, -8, v16
	v_subrev_u32_e32 v18, s44, v3
	v_lshlrev_b32_e32 v19, 2, v19
	v_subrev_u32_e32 v4, s44, v4
	v_cmp_eq_u32_e32 vcc, 0, v16
	s_waitcnt vmcnt(14)
	v_subrev_u32_e32 v5, s21, v5
	v_subrev_u32_e32 v1, s21, v1
	v_add_u32_e32 v3, 0x400, v3
	v_add_u32_e32 v2, 0x400, v2
	v_lshlrev_b32_e32 v18, 2, v18
	v_subrev_u32_e32 v6, s44, v6
	v_subrev_u32_e32 v10, s44, v10
	;; [unrolled: 1-line block ×13, first 2 shown]
	v_lshlrev_b32_e32 v4, 2, v4
	s_or_b64 s[24:25], vcc, s[24:25]
	ds_write_b32 v19, v1 offset:1024
	ds_write_b32 v18, v5 offset:1024
	v_lshlrev_b32_e32 v6, 2, v6
	v_lshlrev_b32_e32 v8, 2, v8
	;; [unrolled: 1-line block ×13, first 2 shown]
	s_waitcnt vmcnt(13)
	v_subrev_u32_e32 v1, s21, v7
	s_waitcnt vmcnt(12)
	v_subrev_u32_e32 v5, s21, v9
	;; [unrolled: 2-line block ×14, first 2 shown]
	ds_write_b32 v4, v5 offset:1024
	ds_write_b32 v6, v1 offset:1024
	;; [unrolled: 1-line block ×14, first 2 shown]
	s_andn2_b64 exec, exec, s[24:25]
	s_cbranch_execnz .LBB16_5
; %bb.6:
	s_or_b64 exec, exec, s[24:25]
.LBB16_7:
	s_or_b64 exec, exec, s[6:7]
	v_and_b32_e32 v1, 7, v15
	v_cmp_ne_u32_e32 vcc, 0, v1
	s_and_saveexec_b64 s[6:7], vcc
	s_cbranch_execz .LBB16_10
; %bb.8:
	s_mov_b64 s[24:25], 0
	v_mov_b32_e32 v4, s19
.LBB16_9:                               ; =>This Inner Loop Header: Depth=1
	v_ashrrev_i32_e32 v9, 31, v2
	v_mov_b32_e32 v8, v2
	v_lshlrev_b64 v[8:9], 2, v[8:9]
	v_ashrrev_i32_e32 v7, 31, v3
	v_mov_b32_e32 v6, v3
	v_add_co_u32_e32 v8, vcc, s18, v8
	v_lshlrev_b64 v[6:7], 2, v[6:7]
	v_addc_co_u32_e32 v9, vcc, v4, v9, vcc
	v_add_co_u32_e32 v6, vcc, s18, v6
	v_addc_co_u32_e32 v7, vcc, v4, v7, vcc
	global_load_dword v5, v[6:7], off
	global_load_dword v10, v[8:9], off
	v_add_u32_e32 v1, -1, v1
	v_subrev_u32_e32 v7, s44, v2
	v_cmp_eq_u32_e32 vcc, 0, v1
	v_subrev_u32_e32 v6, s44, v3
	v_add_u32_e32 v3, 0x80, v3
	v_add_u32_e32 v2, 0x80, v2
	v_lshlrev_b32_e32 v7, 2, v7
	s_or_b64 s[24:25], vcc, s[24:25]
	v_lshlrev_b32_e32 v6, 2, v6
	s_waitcnt vmcnt(1)
	v_subrev_u32_e32 v5, s21, v5
	s_waitcnt vmcnt(0)
	v_subrev_u32_e32 v8, s21, v10
	ds_write_b32 v7, v8 offset:1024
	ds_write_b32 v6, v5 offset:1024
	s_andn2_b64 exec, exec, s[24:25]
	s_cbranch_execnz .LBB16_9
.LBB16_10:
	s_or_b64 exec, exec, s[6:7]
	v_add_u32_e32 v1, 1, v14
	v_and_b32_e32 v2, 0x7fffffe, v1
	v_cmp_ne_u32_e32 vcc, v1, v2
	v_lshl_add_u32 v0, v2, 6, v0
	s_orn2_b64 s[6:7], vcc, exec
.LBB16_11:
	s_or_b64 exec, exec, s[2:3]
	s_and_b64 exec, exec, s[6:7]
	s_cbranch_execz .LBB16_14
; %bb.12:
	v_add_u32_e32 v1, s21, v0
	v_subrev_u32_e32 v1, s26, v1
	v_mov_b32_e32 v2, 0x400
	v_lshl_add_u32 v4, v1, 2, v2
	v_ashrrev_i32_e32 v1, 31, v0
	v_lshlrev_b64 v[2:3], 2, v[0:1]
	v_mov_b32_e32 v1, s19
	v_add_co_u32_e32 v2, vcc, s18, v2
	v_addc_co_u32_e32 v3, vcc, v1, v3, vcc
	s_mov_b64 s[2:3], 0
.LBB16_13:                              ; =>This Inner Loop Header: Depth=1
	global_load_dword v1, v[2:3], off
	v_add_co_u32_e32 v2, vcc, 0x100, v2
	v_add_u32_e32 v0, 64, v0
	v_addc_co_u32_e32 v3, vcc, 0, v3, vcc
	v_cmp_lt_i32_e32 vcc, s33, v0
	s_or_b64 s[2:3], vcc, s[2:3]
	s_waitcnt vmcnt(0)
	v_subrev_u32_e32 v1, s21, v1
	ds_write_b32 v4, v1
	v_add_u32_e32 v4, 0x100, v4
	s_andn2_b64 exec, exec, s[2:3]
	s_cbranch_execnz .LBB16_13
.LBB16_14:
	s_or_b64 exec, exec, s[0:1]
	s_load_dword s46, s[4:5], 0x0
	s_load_dword s45, s[4:5], 0x8
	v_lshlrev_b32_e32 v0, 2, v12
	v_mad_u32_u24 v1, v13, 36, v0
	v_add_u32_e32 v6, 0x960, v1
	v_mov_b32_e32 v7, 0
	s_cmp_ge_i32 s44, s33
	ds_write_b32 v1, v7 offset:2400
	s_waitcnt lgkmcnt(0)
	s_cbranch_scc1 .LBB16_84
; %bb.15:
	s_cmp_eq_u32 s46, 0
	s_cselect_b64 vcc, -1, 0
	s_cmp_lg_u32 s46, 0
	v_cmp_gt_i32_e64 s[0:1], s45, v12
	v_cmp_gt_i32_e64 s[2:3], s45, v13
	s_cselect_b64 s[24:25], -1, 0
	s_and_b64 s[26:27], s[0:1], s[2:3]
	s_cmp_gt_i32 s45, 0
	v_mov_b32_e32 v2, 0x840
	s_cselect_b64 s[6:7], -1, 0
	s_cmp_lg_u32 s45, 1
	v_mad_u32_u24 v8, v13, 36, v2
	s_cselect_b64 s[28:29], -1, 0
	s_and_b32 s48, s45, 0x7ffffffe
	v_add_u32_e32 v9, v8, v0
	v_or_b32_e32 v0, v12, v13
	s_bitcmp1_b32 s45, 0
	v_cndmask_b32_e64 v2, 0, 1, s[6:7]
	s_mul_i32 s47, s45, s45
	v_add_u32_e32 v10, 0x600, v1
	v_mul_lo_u32 v11, v12, s45
	v_mul_lo_u32 v14, v13, s45
	v_add_u32_e32 v15, 0x720, v1
	v_cmp_ne_u32_e64 s[4:5], 0, v0
	v_cndmask_b32_e32 v0, v13, v12, vcc
	v_cndmask_b32_e32 v16, v12, v13, vcc
	s_cselect_b64 s[30:31], -1, 0
	v_mov_b32_e32 v17, 0
	v_cmp_ne_u32_e64 s[6:7], 1, v2
	s_mov_b32 s34, s44
	s_branch .LBB16_18
.LBB16_16:                              ;   in Loop: Header=BB16_18 Depth=1
	s_or_b64 exec, exec, s[36:37]
	s_add_i32 s34, s34, 1
	s_cmp_ge_i32 s34, s33
	s_cselect_b64 s[40:41], -1, 0
	s_waitcnt vmcnt(0)
	buffer_wbinvl1_vol
.LBB16_17:                              ;   in Loop: Header=BB16_18 Depth=1
	s_and_b64 vcc, exec, s[40:41]
	s_cbranch_vccnz .LBB16_84
.LBB16_18:                              ; =>This Loop Header: Depth=1
                                        ;     Child Loop BB16_23 Depth 2
                                        ;     Child Loop BB16_34 Depth 2
	;; [unrolled: 1-line block ×3, first 2 shown]
                                        ;       Child Loop BB16_65 Depth 3
                                        ;       Child Loop BB16_71 Depth 3
                                        ;     Child Loop BB16_80 Depth 2
	s_ashr_i32 s35, s34, 31
	s_lshl_b64 s[36:37], s[34:35], 2
	s_add_u32 s36, s18, s36
	s_addc_u32 s37, s19, s37
	s_load_dword s35, s[36:37], 0x0
	s_waitcnt lgkmcnt(0)
	s_sub_i32 s38, s35, s21
	s_ashr_i32 s39, s38, 31
	s_lshl_b64 s[36:37], s[38:39], 2
	s_add_u32 s40, s8, s36
	s_addc_u32 s41, s9, s37
	s_load_dword s39, s[40:41], 0x0
	s_mov_b64 s[40:41], -1
	s_waitcnt lgkmcnt(0)
	s_cmp_eq_u32 s39, -1
	s_cbranch_scc1 .LBB16_17
; %bb.19:                               ;   in Loop: Header=BB16_18 Depth=1
	s_add_u32 s40, s16, s36
	s_addc_u32 s41, s17, s37
	v_mov_b32_e32 v2, 0
	s_and_saveexec_b64 s[42:43], s[26:27]
	s_cbranch_execz .LBB16_21
; %bb.20:                               ;   in Loop: Header=BB16_18 Depth=1
	s_mul_i32 s49, s34, s45
	v_add_u32_e32 v2, s49, v16
	v_mad_u64_u32 v[2:3], s[50:51], v2, s45, v[0:1]
	v_ashrrev_i32_e32 v3, 31, v2
	v_lshlrev_b64 v[2:3], 2, v[2:3]
	v_mov_b32_e32 v4, s23
	v_add_co_u32_e32 v2, vcc, s22, v2
	v_addc_co_u32_e32 v3, vcc, v4, v3, vcc
	global_load_dword v2, v[2:3], off
.LBB16_21:                              ;   in Loop: Header=BB16_18 Depth=1
	s_or_b64 exec, exec, s[42:43]
	s_load_dword s40, s[40:41], 0x0
	ds_read_b32 v3, v17 offset:1024
	s_mov_b32 s41, 0
	s_waitcnt vmcnt(0)
	ds_write_b32 v9, v2
	s_waitcnt lgkmcnt(0)
	s_sub_i32 s40, s40, s21
	s_cmp_le_i32 s40, s39
	v_cmp_ge_i32_e32 vcc, s38, v3
	s_cselect_b64 s[42:43], -1, 0
	s_and_b64 s[42:43], s[42:43], vcc
	s_andn2_b64 vcc, exec, s[42:43]
	s_cbranch_vccnz .LBB16_33
; %bb.22:                               ;   in Loop: Header=BB16_18 Depth=1
	s_mov_b32 s49, 0
	s_mov_b32 s50, 0
.LBB16_23:                              ;   Parent Loop BB16_18 Depth=1
                                        ; =>  This Inner Loop Header: Depth=2
	s_ashr_i32 s41, s40, 31
	s_lshl_b64 s[42:43], s[40:41], 2
	s_add_u32 s42, s18, s42
	s_addc_u32 s43, s19, s43
	s_load_dword s41, s[42:43], 0x0
	s_lshl_b32 s42, s50, 2
	v_mov_b32_e32 v2, s42
	ds_read_b32 v2, v2 offset:1024
	s_mov_b64 s[42:43], -1
	s_waitcnt lgkmcnt(0)
	s_sub_i32 s54, s41, s21
                                        ; implicit-def: $sgpr41
                                        ; implicit-def: $sgpr53
                                        ; implicit-def: $sgpr52
	v_cmp_ge_i32_e32 vcc, s54, v2
	v_readfirstlane_b32 s51, v2
	s_cbranch_vccz .LBB16_29
; %bb.24:                               ;   in Loop: Header=BB16_23 Depth=2
	s_cmp_le_i32 s54, s51
                                        ; implicit-def: $sgpr41
                                        ; implicit-def: $sgpr53
                                        ; implicit-def: $sgpr52
	s_cbranch_scc0 .LBB16_26
; %bb.25:                               ;   in Loop: Header=BB16_23 Depth=2
	s_add_i32 s41, s50, s44
	s_mul_i32 s41, s41, s47
	s_lshl_b32 s42, s49, 2
	v_mov_b32_e32 v3, s41
	s_mul_i32 s41, s40, s47
	v_mov_b32_e32 v2, s42
	v_mov_b32_e32 v4, s41
	ds_write2st64_b32 v2, v4, v3 offset1:2
	s_add_i32 s52, s50, 1
	s_add_i32 s53, s40, 1
	;; [unrolled: 1-line block ×3, first 2 shown]
	s_mov_b64 s[42:43], 0
.LBB16_26:                              ;   in Loop: Header=BB16_23 Depth=2
	s_andn2_b64 vcc, exec, s[42:43]
	s_cbranch_vccnz .LBB16_28
; %bb.27:                               ;   in Loop: Header=BB16_23 Depth=2
	s_add_i32 s52, s50, 1
	s_mov_b32 s41, s49
	s_mov_b32 s53, s40
.LBB16_28:                              ;   in Loop: Header=BB16_23 Depth=2
	s_mov_b64 s[42:43], 0
.LBB16_29:                              ;   in Loop: Header=BB16_23 Depth=2
	s_andn2_b64 vcc, exec, s[42:43]
	s_cbranch_vccnz .LBB16_31
; %bb.30:                               ;   in Loop: Header=BB16_23 Depth=2
	s_add_i32 s53, s40, 1
	s_mov_b32 s52, s50
	s_mov_b32 s41, s49
.LBB16_31:                              ;   in Loop: Header=BB16_23 Depth=2
	s_cmp_le_i32 s53, s39
	s_cselect_b64 s[42:43], -1, 0
	s_cmp_le_i32 s51, s38
	s_cselect_b64 s[50:51], -1, 0
	s_and_b64 s[42:43], s[42:43], s[50:51]
	s_and_b64 vcc, exec, s[42:43]
	s_cbranch_vccz .LBB16_33
; %bb.32:                               ;   in Loop: Header=BB16_23 Depth=2
	s_mov_b32 s49, s41
	s_mov_b32 s40, s53
	;; [unrolled: 1-line block ×3, first 2 shown]
	s_branch .LBB16_23
.LBB16_33:                              ;   in Loop: Header=BB16_18 Depth=1
	s_add_u32 s36, s10, s36
	s_addc_u32 s37, s11, s37
	s_waitcnt lgkmcnt(0)
.LBB16_34:                              ;   Parent Loop BB16_18 Depth=1
                                        ; =>  This Inner Loop Header: Depth=2
	global_load_dword v2, v17, s[36:37] glc
	s_waitcnt vmcnt(0)
	v_cmp_eq_u32_e32 vcc, 0, v2
	s_cbranch_vccnz .LBB16_34
; %bb.35:                               ;   in Loop: Header=BB16_18 Depth=1
	v_mov_b32_e32 v3, 0
	v_mov_b32_e32 v2, 0
	buffer_wbinvl1_vol
	s_and_saveexec_b64 s[36:37], s[26:27]
	s_cbranch_execz .LBB16_37
; %bb.36:                               ;   in Loop: Header=BB16_18 Depth=1
	s_mul_i32 s39, s39, s45
	v_add_u32_e32 v2, s39, v16
	v_mad_u64_u32 v[4:5], s[38:39], v2, s45, v[0:1]
	v_ashrrev_i32_e32 v5, 31, v4
	v_lshlrev_b64 v[4:5], 2, v[4:5]
	v_mov_b32_e32 v2, s23
	v_add_co_u32_e32 v4, vcc, s22, v4
	v_addc_co_u32_e32 v5, vcc, v2, v5, vcc
	global_load_dword v2, v[4:5], off
.LBB16_37:                              ;   in Loop: Header=BB16_18 Depth=1
	s_or_b64 exec, exec, s[36:37]
	s_cmp_lt_i32 s41, 2
	s_waitcnt vmcnt(0)
	ds_write_b32 v10, v2
	s_waitcnt lgkmcnt(0)
	s_cbranch_scc1 .LBB16_56
; %bb.38:                               ;   in Loop: Header=BB16_18 Depth=1
	s_add_i32 s38, s41, -2
	s_mov_b32 s39, 0
	v_mov_b32_e32 v18, 0
	s_and_b64 vcc, exec, s[6:7]
	s_cbranch_vccnz .LBB16_53
.LBB16_39:                              ;   in Loop: Header=BB16_18 Depth=1
	s_lshl_b32 s36, s39, 2
	v_mov_b32_e32 v2, s36
	ds_read2st64_b32 v[4:5], v2 offset1:2
	s_mov_b32 s40, 0
	s_waitcnt lgkmcnt(0)
	v_add_u32_e32 v19, v4, v11
	v_add_u32_e32 v20, v5, v14
	;; [unrolled: 1-line block ×4, first 2 shown]
	s_and_b64 vcc, exec, s[24:25]
	s_cbranch_vccz .LBB16_45
.LBB16_40:                              ;   in Loop: Header=BB16_18 Depth=1
	v_mov_b32_e32 v3, 0
	v_mov_b32_e32 v5, 0
	s_and_saveexec_b64 s[36:37], s[0:1]
	s_cbranch_execz .LBB16_42
; %bb.41:                               ;   in Loop: Header=BB16_18 Depth=1
	v_ashrrev_i32_e32 v5, 31, v4
	v_lshlrev_b64 v[22:23], 2, v[4:5]
	v_mov_b32_e32 v5, s23
	v_add_co_u32_e32 v22, vcc, s22, v22
	v_addc_co_u32_e32 v23, vcc, v5, v23, vcc
	global_load_dword v5, v[22:23], off
.LBB16_42:                              ;   in Loop: Header=BB16_18 Depth=1
	s_or_b64 exec, exec, s[36:37]
	s_and_saveexec_b64 s[36:37], s[2:3]
	s_cbranch_execz .LBB16_44
; %bb.43:                               ;   in Loop: Header=BB16_18 Depth=1
	v_ashrrev_i32_e32 v3, 31, v2
	v_lshlrev_b64 v[22:23], 2, v[2:3]
	v_mov_b32_e32 v3, s23
	v_add_co_u32_e32 v22, vcc, s22, v22
	v_addc_co_u32_e32 v23, vcc, v3, v23, vcc
	global_load_dword v3, v[22:23], off
.LBB16_44:                              ;   in Loop: Header=BB16_18 Depth=1
	s_or_b64 exec, exec, s[36:37]
	s_waitcnt vmcnt(0)
	v_fma_f32 v3, v5, v3, v18
	s_branch .LBB16_51
.LBB16_45:                              ;   in Loop: Header=BB16_18 Depth=1
                                        ; implicit-def: $vgpr3
	s_cbranch_execz .LBB16_51
; %bb.46:                               ;   in Loop: Header=BB16_18 Depth=1
	v_mov_b32_e32 v3, 0
	v_mov_b32_e32 v5, 0
	s_and_saveexec_b64 s[36:37], s[0:1]
	s_cbranch_execz .LBB16_48
; %bb.47:                               ;   in Loop: Header=BB16_18 Depth=1
	v_add_u32_e32 v22, s40, v19
	v_ashrrev_i32_e32 v23, 31, v22
	v_lshlrev_b64 v[22:23], 2, v[22:23]
	v_mov_b32_e32 v5, s23
	v_add_co_u32_e32 v22, vcc, s22, v22
	v_addc_co_u32_e32 v23, vcc, v5, v23, vcc
	global_load_dword v5, v[22:23], off
.LBB16_48:                              ;   in Loop: Header=BB16_18 Depth=1
	s_or_b64 exec, exec, s[36:37]
	s_and_saveexec_b64 s[36:37], s[2:3]
	s_cbranch_execz .LBB16_50
; %bb.49:                               ;   in Loop: Header=BB16_18 Depth=1
	v_add_u32_e32 v22, s40, v20
	v_ashrrev_i32_e32 v23, 31, v22
	v_lshlrev_b64 v[22:23], 2, v[22:23]
	v_mov_b32_e32 v3, s23
	v_add_co_u32_e32 v22, vcc, s22, v22
	v_addc_co_u32_e32 v23, vcc, v3, v23, vcc
	global_load_dword v3, v[22:23], off
.LBB16_50:                              ;   in Loop: Header=BB16_18 Depth=1
	s_or_b64 exec, exec, s[36:37]
	s_waitcnt vmcnt(0)
	v_fmac_f32_e32 v18, v5, v3
	v_mov_b32_e32 v3, v18
.LBB16_51:                              ;   in Loop: Header=BB16_18 Depth=1
	s_add_i32 s40, s40, 1
	v_add_u32_e32 v2, s45, v2
	s_cmp_eq_u32 s45, s40
	v_add_u32_e32 v4, s45, v4
	s_cbranch_scc1 .LBB16_54
; %bb.52:                               ;   in Loop: Header=BB16_18 Depth=1
	v_mov_b32_e32 v18, v3
	s_and_b64 vcc, exec, s[24:25]
	s_cbranch_vccz .LBB16_45
	s_branch .LBB16_40
.LBB16_53:                              ;   in Loop: Header=BB16_18 Depth=1
	v_mov_b32_e32 v3, v18
.LBB16_54:                              ;   in Loop: Header=BB16_18 Depth=1
	s_add_i32 s36, s39, 1
	s_cmp_eq_u32 s39, s38
	s_cbranch_scc1 .LBB16_56
; %bb.55:                               ;   in Loop: Header=BB16_18 Depth=1
	v_mov_b32_e32 v18, v3
	s_mov_b32 s39, s36
	s_and_b64 vcc, exec, s[6:7]
	s_cbranch_vccz .LBB16_39
	s_branch .LBB16_53
.LBB16_56:                              ;   in Loop: Header=BB16_18 Depth=1
	s_and_b64 vcc, exec, s[6:7]
	ds_write_b32 v15, v3
	s_waitcnt lgkmcnt(0)
	s_cbranch_vccnz .LBB16_82
; %bb.57:                               ;   in Loop: Header=BB16_18 Depth=1
	s_andn2_b64 vcc, exec, s[28:29]
	s_mov_b32 s43, 0
	s_cbranch_vccnz .LBB16_73
; %bb.58:                               ;   in Loop: Header=BB16_18 Depth=1
	s_mov_b32 s40, 0
	s_movk_i32 s41, 0x600
	s_movk_i32 s42, 0x624
.LBB16_59:                              ;   Parent Loop BB16_18 Depth=1
                                        ; =>  This Loop Header: Depth=2
                                        ;       Child Loop BB16_65 Depth 3
                                        ;       Child Loop BB16_71 Depth 3
	s_lshl_b32 s36, s40, 2
	s_mul_i32 s37, s40, 36
	s_add_i32 s43, s36, s37
	v_mov_b32_e32 v2, s43
	ds_read_b32 v4, v2 offset:1536
	v_mad_u32_u24 v2, v13, 36, s36
	ds_read_b32 v3, v2 offset:2112
	s_waitcnt lgkmcnt(1)
	v_cmp_neq_f32_e32 vcc, 0, v4
	s_or_b64 s[36:37], vcc, s[4:5]
	v_cndmask_b32_e32 v4, 1.0, v4, vcc
	s_xor_b64 s[38:39], s[36:37], -1
	s_and_saveexec_b64 s[36:37], s[38:39]
	s_cbranch_execz .LBB16_63
; %bb.60:                               ;   in Loop: Header=BB16_59 Depth=2
	v_mbcnt_lo_u32_b32 v4, exec_lo, 0
	v_mbcnt_hi_u32_b32 v4, exec_hi, v4
	v_cmp_eq_u32_e32 vcc, 0, v4
	s_and_saveexec_b64 s[38:39], vcc
	s_cbranch_execz .LBB16_62
; %bb.61:                               ;   in Loop: Header=BB16_59 Depth=2
	v_mov_b32_e32 v4, s35
	global_atomic_smin v17, v4, s[14:15]
.LBB16_62:                              ;   in Loop: Header=BB16_59 Depth=2
	s_or_b64 exec, exec, s[38:39]
	v_mov_b32_e32 v4, 1.0
.LBB16_63:                              ;   in Loop: Header=BB16_59 Depth=2
	s_or_b64 exec, exec, s[36:37]
	v_mul_u32_u24_e32 v5, 36, v13
	v_lshl_add_u32 v5, s40, 2, v5
	ds_read_b32 v18, v5 offset:1824
	s_cmp_eq_u32 s40, 0
	s_cbranch_scc1 .LBB16_66
; %bb.64:                               ;   in Loop: Header=BB16_59 Depth=2
	s_mov_b32 s36, 0
	v_mov_b32_e32 v19, v8
	s_mov_b32 s37, s41
.LBB16_65:                              ;   Parent Loop BB16_18 Depth=1
                                        ;     Parent Loop BB16_59 Depth=2
                                        ; =>    This Inner Loop Header: Depth=3
	v_mov_b32_e32 v20, s37
	ds_read_b32 v21, v19
	ds_read_b32 v20, v20
	s_add_i32 s36, s36, 1
	s_add_i32 s37, s37, 4
	v_add_u32_e32 v19, 4, v19
	s_cmp_ge_u32 s36, s40
	s_waitcnt lgkmcnt(0)
	v_fmac_f32_e32 v18, v20, v21
	s_cbranch_scc0 .LBB16_65
.LBB16_66:                              ;   in Loop: Header=BB16_59 Depth=2
	s_waitcnt lgkmcnt(0)
	v_sub_f32_e32 v3, v3, v18
	v_div_scale_f32 v18, s[38:39], v4, v4, v3
	v_rcp_f32_e32 v19, v18
	v_div_scale_f32 v20, vcc, v3, v4, v3
	v_add_u32_e32 v2, 0x840, v2
	v_fma_f32 v21, -v18, v19, 1.0
	v_fmac_f32_e32 v19, v21, v19
	v_mul_f32_e32 v21, v20, v19
	v_fma_f32 v22, -v18, v21, v20
	v_fmac_f32_e32 v21, v22, v19
	v_fma_f32 v18, -v18, v21, v20
	v_div_fmas_f32 v18, v18, v19, v21
	v_div_fixup_f32 v3, v18, v4, v3
	v_mul_u32_u24_e32 v4, 36, v12
	v_lshl_add_u32 v18, s40, 2, v4
	ds_write_b32 v2, v3
	s_waitcnt lgkmcnt(0)
	ds_read_b32 v4, v18 offset:2112
	ds_read_b32 v19, v6
	s_add_i32 s36, s43, 0x600
	v_add_u32_e32 v5, 0x720, v5
	s_waitcnt lgkmcnt(0)
	v_fmac_f32_e32 v19, v3, v4
	v_mov_b32_e32 v3, s36
	ds_write_b32 v6, v19
	s_waitcnt lgkmcnt(0)
	ds_read_b32 v4, v3 offset:40
	ds_read_b32 v3, v2 offset:4
	s_waitcnt lgkmcnt(1)
	v_cmp_neq_f32_e32 vcc, 0, v4
	s_or_b64 s[36:37], vcc, s[4:5]
	v_cndmask_b32_e32 v4, 1.0, v4, vcc
	s_xor_b64 s[38:39], s[36:37], -1
	s_and_saveexec_b64 s[36:37], s[38:39]
	s_cbranch_execz .LBB16_70
; %bb.67:                               ;   in Loop: Header=BB16_59 Depth=2
	v_mbcnt_lo_u32_b32 v4, exec_lo, 0
	v_mbcnt_hi_u32_b32 v4, exec_hi, v4
	v_cmp_eq_u32_e32 vcc, 0, v4
	s_and_saveexec_b64 s[38:39], vcc
	s_cbranch_execz .LBB16_69
; %bb.68:                               ;   in Loop: Header=BB16_59 Depth=2
	v_mov_b32_e32 v4, s35
	global_atomic_smin v17, v4, s[14:15]
.LBB16_69:                              ;   in Loop: Header=BB16_59 Depth=2
	s_or_b64 exec, exec, s[38:39]
	v_mov_b32_e32 v4, 1.0
.LBB16_70:                              ;   in Loop: Header=BB16_59 Depth=2
	s_or_b64 exec, exec, s[36:37]
	ds_read_b32 v19, v5 offset:4
	v_add_u32_e32 v5, 0x840, v18
	s_mov_b32 s36, -1
	v_mov_b32_e32 v18, v8
	s_mov_b32 s37, s42
.LBB16_71:                              ;   Parent Loop BB16_18 Depth=1
                                        ;     Parent Loop BB16_59 Depth=2
                                        ; =>    This Inner Loop Header: Depth=3
	v_mov_b32_e32 v20, s37
	ds_read_b32 v21, v18
	ds_read_b32 v20, v20
	s_add_i32 s37, s37, 4
	s_add_i32 s36, s36, 1
	v_add_u32_e32 v18, 4, v18
	s_cmp_lt_u32 s36, s40
	s_waitcnt lgkmcnt(0)
	v_fmac_f32_e32 v19, v20, v21
	s_cbranch_scc1 .LBB16_71
; %bb.72:                               ;   in Loop: Header=BB16_59 Depth=2
	v_sub_f32_e32 v3, v3, v19
	v_div_scale_f32 v18, s[36:37], v4, v4, v3
	v_rcp_f32_e32 v19, v18
	v_div_scale_f32 v20, vcc, v3, v4, v3
	s_add_i32 s40, s40, 2
	v_fma_f32 v21, -v18, v19, 1.0
	v_fmac_f32_e32 v19, v21, v19
	v_mul_f32_e32 v21, v20, v19
	v_fma_f32 v22, -v18, v21, v20
	v_fmac_f32_e32 v21, v22, v19
	v_fma_f32 v18, -v18, v21, v20
	v_div_fmas_f32 v18, v18, v19, v21
	v_div_fixup_f32 v3, v18, v4, v3
	ds_write_b32 v2, v3 offset:4
	s_waitcnt lgkmcnt(0)
	ds_read_b32 v2, v5 offset:4
	ds_read_b32 v4, v6
	s_addk_i32 s41, 0x48
	s_addk_i32 s42, 0x48
	s_cmp_eq_u32 s40, s48
	s_mov_b32 s43, s48
	s_waitcnt lgkmcnt(0)
	v_fmac_f32_e32 v4, v3, v2
	ds_write_b32 v6, v4
	s_waitcnt lgkmcnt(0)
	s_cbranch_scc0 .LBB16_59
.LBB16_73:                              ;   in Loop: Header=BB16_18 Depth=1
	s_andn2_b64 vcc, exec, s[30:31]
	s_cbranch_vccnz .LBB16_82
; %bb.74:                               ;   in Loop: Header=BB16_18 Depth=1
	s_lshl_b32 s36, s43, 2
	s_mul_i32 s40, s43, 36
	s_add_i32 s37, s36, s40
	v_mov_b32_e32 v2, s37
	ds_read_b32 v4, v2 offset:1536
	v_mad_u32_u24 v3, v13, 36, s36
	ds_read_b32 v2, v3 offset:2112
	s_waitcnt lgkmcnt(1)
	v_cmp_neq_f32_e32 vcc, 0, v4
	s_or_b64 s[36:37], vcc, s[4:5]
	v_cndmask_b32_e32 v4, 1.0, v4, vcc
	s_xor_b64 s[38:39], s[36:37], -1
	s_and_saveexec_b64 s[36:37], s[38:39]
	s_cbranch_execz .LBB16_78
; %bb.75:                               ;   in Loop: Header=BB16_18 Depth=1
	v_mbcnt_lo_u32_b32 v4, exec_lo, 0
	v_mbcnt_hi_u32_b32 v4, exec_hi, v4
	v_cmp_eq_u32_e32 vcc, 0, v4
	s_and_saveexec_b64 s[38:39], vcc
	s_cbranch_execz .LBB16_77
; %bb.76:                               ;   in Loop: Header=BB16_18 Depth=1
	v_mov_b32_e32 v4, s35
	global_atomic_smin v17, v4, s[14:15]
.LBB16_77:                              ;   in Loop: Header=BB16_18 Depth=1
	s_or_b64 exec, exec, s[38:39]
	v_mov_b32_e32 v4, 1.0
.LBB16_78:                              ;   in Loop: Header=BB16_18 Depth=1
	s_or_b64 exec, exec, s[36:37]
	v_mul_u32_u24_e32 v5, 36, v13
	v_lshl_add_u32 v5, s43, 2, v5
	ds_read_b32 v5, v5 offset:1824
	s_cmp_eq_u32 s43, 0
	s_cbranch_scc1 .LBB16_81
; %bb.79:                               ;   in Loop: Header=BB16_18 Depth=1
	s_add_i32 s35, s40, 0x600
	s_mov_b32 s36, 0
	v_mov_b32_e32 v18, v8
.LBB16_80:                              ;   Parent Loop BB16_18 Depth=1
                                        ; =>  This Inner Loop Header: Depth=2
	v_mov_b32_e32 v19, s35
	ds_read_b32 v20, v18
	ds_read_b32 v19, v19
	s_add_i32 s36, s36, 1
	s_add_i32 s35, s35, 4
	v_add_u32_e32 v18, 4, v18
	s_cmp_lt_u32 s36, s43
	s_waitcnt lgkmcnt(0)
	v_fmac_f32_e32 v5, v19, v20
	s_cbranch_scc1 .LBB16_80
.LBB16_81:                              ;   in Loop: Header=BB16_18 Depth=1
	s_waitcnt lgkmcnt(0)
	v_sub_f32_e32 v2, v2, v5
	v_div_scale_f32 v5, s[36:37], v4, v4, v2
	v_rcp_f32_e32 v18, v5
	v_div_scale_f32 v19, vcc, v2, v4, v2
	v_add_u32_e32 v3, 0x840, v3
	v_fma_f32 v20, -v5, v18, 1.0
	v_fmac_f32_e32 v18, v20, v18
	v_mul_f32_e32 v20, v19, v18
	v_fma_f32 v21, -v5, v20, v19
	v_fmac_f32_e32 v20, v21, v18
	v_fma_f32 v5, -v5, v20, v19
	v_div_fmas_f32 v5, v5, v18, v20
	v_div_fixup_f32 v2, v5, v4, v2
	ds_write_b32 v3, v2
	v_mul_u32_u24_e32 v3, 36, v12
	v_lshl_add_u32 v3, s43, 2, v3
	s_waitcnt lgkmcnt(0)
	ds_read_b32 v3, v3 offset:2112
	ds_read_b32 v4, v6
	s_waitcnt lgkmcnt(0)
	v_fmac_f32_e32 v4, v2, v3
	ds_write_b32 v6, v4
	s_waitcnt lgkmcnt(0)
.LBB16_82:                              ;   in Loop: Header=BB16_18 Depth=1
	s_and_saveexec_b64 s[36:37], s[26:27]
	s_cbranch_execz .LBB16_16
; %bb.83:                               ;   in Loop: Header=BB16_18 Depth=1
	s_mul_i32 s35, s34, s45
	v_add_u32_e32 v2, s35, v16
	ds_read_b32 v4, v9
	v_mad_u64_u32 v[2:3], s[38:39], v2, s45, v[0:1]
	v_ashrrev_i32_e32 v3, 31, v2
	v_lshlrev_b64 v[2:3], 2, v[2:3]
	v_mov_b32_e32 v5, s23
	v_add_co_u32_e32 v2, vcc, s22, v2
	v_addc_co_u32_e32 v3, vcc, v5, v3, vcc
	s_waitcnt lgkmcnt(0)
	global_store_dword v[2:3], v4, off
	s_branch .LBB16_16
.LBB16_84:
	s_cmp_eq_u32 s46, 0
	v_max_i32_e32 v0, v12, v13
	s_cselect_b64 s[0:1], -1, 0
	v_cmp_gt_i32_e64 s[2:3], s45, v0
	s_and_saveexec_b64 s[4:5], s[2:3]
	s_cbranch_execz .LBB16_86
; %bb.85:
	v_cndmask_b32_e64 v2, v12, v13, s[0:1]
	s_mul_i32 s6, s33, s45
	v_cndmask_b32_e64 v0, v13, v12, s[0:1]
	v_add_u32_e32 v2, s6, v2
	v_mad_u64_u32 v[2:3], s[6:7], v2, s45, v[0:1]
	v_ashrrev_i32_e32 v3, 31, v2
	v_lshlrev_b64 v[2:3], 2, v[2:3]
	v_mov_b32_e32 v0, s23
	v_add_co_u32_e32 v2, vcc, s22, v2
	v_addc_co_u32_e32 v3, vcc, v0, v3, vcc
	global_load_dword v7, v[2:3], off
.LBB16_86:
	s_or_b64 exec, exec, s[4:5]
	s_cmp_lt_i32 s45, 1
	s_waitcnt vmcnt(0)
	ds_write_b32 v1, v7 offset:2112
	s_waitcnt lgkmcnt(0)
	s_cbranch_scc1 .LBB16_118
; %bb.87:
	v_or_b32_e32 v0, v12, v13
	v_cmp_ne_u32_e64 s[4:5], 0, v0
	v_lshlrev_b32_e32 v0, 2, v13
	s_add_i32 s16, s20, s21
	v_mad_u32_u24 v2, v13, 36, v0
	s_mov_b32 s17, 0
	v_add_u32_e32 v0, 0x840, v2
	s_cmp_eq_u32 s45, 1
	v_add_u32_e32 v2, 0x960, v2
	s_cbranch_scc1 .LBB16_108
; %bb.88:
	v_mov_b32_e32 v4, 0x840
	s_and_b32 s17, s45, 0x7ffffffe
	s_movk_i32 s18, 0x840
	v_mad_u32_u24 v3, v12, 36, v4
	v_mad_u32_u24 v4, v13, 36, v4
	s_mov_b32 s6, 0
	s_mov_b32 s19, 0xf800000
	v_mov_b32_e32 v5, 0x260
	v_mov_b32_e32 v7, 0
	s_branch .LBB16_90
.LBB16_89:                              ;   in Loop: Header=BB16_90 Depth=1
	s_or_b64 exec, exec, s[6:7]
	s_addk_i32 s18, 0x50
	s_add_i32 s6, s25, 1
	v_add_u32_e32 v3, 8, v3
	s_cmp_eq_u32 s6, s17
	v_add_u32_e32 v4, 8, v4
	s_waitcnt lgkmcnt(0)
	s_cbranch_scc1 .LBB16_107
.LBB16_90:                              ; =>This Inner Loop Header: Depth=1
	s_mov_b32 s24, s6
	v_cmp_eq_u32_e32 vcc, s24, v13
	s_and_saveexec_b64 s[8:9], vcc
	s_cbranch_execz .LBB16_92
; %bb.91:                               ;   in Loop: Header=BB16_90 Depth=1
	ds_read_b32 v8, v0
	ds_read_b32 v9, v2
	s_waitcnt lgkmcnt(0)
	v_sub_f32_e32 v8, v8, v9
	v_cmp_gt_f32_e32 vcc, 0, v8
	v_cndmask_b32_e64 v8, v8, -v8, vcc
	v_mul_f32_e32 v9, 0x4f800000, v8
	v_cmp_gt_f32_e32 vcc, s19, v8
	v_cndmask_b32_e32 v8, v8, v9, vcc
	v_sqrt_f32_e32 v9, v8
	v_add_u32_e32 v10, -1, v9
	v_add_u32_e32 v11, 1, v9
	v_fma_f32 v14, -v10, v9, v8
	v_fma_f32 v15, -v11, v9, v8
	v_cmp_ge_f32_e64 s[6:7], 0, v14
	v_cndmask_b32_e64 v9, v9, v10, s[6:7]
	v_cmp_lt_f32_e64 s[6:7], 0, v15
	v_cndmask_b32_e64 v9, v9, v11, s[6:7]
	v_mul_f32_e32 v10, 0x37800000, v9
	v_cndmask_b32_e32 v9, v9, v10, vcc
	v_cmp_class_f32_e32 vcc, v8, v5
	v_cndmask_b32_e32 v8, v9, v8, vcc
	ds_write_b32 v0, v8
.LBB16_92:                              ;   in Loop: Header=BB16_90 Depth=1
	s_or_b64 exec, exec, s[8:9]
	v_mov_b32_e32 v8, s18
	s_waitcnt lgkmcnt(0)
	ds_read_b32 v8, v8
	s_waitcnt lgkmcnt(0)
	v_cmp_neq_f32_e32 vcc, 0, v8
	s_or_b64 s[6:7], vcc, s[4:5]
	v_cndmask_b32_e32 v8, 1.0, v8, vcc
	s_xor_b64 s[8:9], s[6:7], -1
	s_and_saveexec_b64 s[6:7], s[8:9]
	s_cbranch_execz .LBB16_96
; %bb.93:                               ;   in Loop: Header=BB16_90 Depth=1
	v_mbcnt_lo_u32_b32 v8, exec_lo, 0
	v_mbcnt_hi_u32_b32 v8, exec_hi, v8
	v_cmp_eq_u32_e32 vcc, 0, v8
	s_and_saveexec_b64 s[8:9], vcc
	s_cbranch_execz .LBB16_95
; %bb.94:                               ;   in Loop: Header=BB16_90 Depth=1
	v_mov_b32_e32 v8, s16
	global_atomic_smin v7, v8, s[14:15]
.LBB16_95:                              ;   in Loop: Header=BB16_90 Depth=1
	s_or_b64 exec, exec, s[8:9]
	v_mov_b32_e32 v8, 1.0
.LBB16_96:                              ;   in Loop: Header=BB16_90 Depth=1
	s_or_b64 exec, exec, s[6:7]
	v_cmp_lt_u32_e32 vcc, s24, v13
	s_and_saveexec_b64 s[6:7], vcc
	s_cbranch_execz .LBB16_98
; %bb.97:                               ;   in Loop: Header=BB16_90 Depth=1
	ds_read2_b32 v[10:11], v4 offset1:72
	s_waitcnt lgkmcnt(0)
	v_sub_f32_e32 v9, v10, v11
	v_div_scale_f32 v10, s[8:9], v8, v8, v9
	v_rcp_f32_e32 v11, v10
	v_div_scale_f32 v14, vcc, v9, v8, v9
	v_fma_f32 v15, -v10, v11, 1.0
	v_fmac_f32_e32 v11, v15, v11
	v_mul_f32_e32 v15, v14, v11
	v_fma_f32 v16, -v10, v15, v14
	v_fmac_f32_e32 v15, v16, v11
	v_fma_f32 v10, -v10, v15, v14
	v_div_fmas_f32 v10, v10, v11, v15
	v_div_fixup_f32 v8, v10, v8, v9
	ds_write_b32 v4, v8
	s_waitcnt lgkmcnt(0)
	ds_read_b32 v9, v3
	ds_read_b32 v10, v6
	s_waitcnt lgkmcnt(0)
	v_fmac_f32_e32 v10, v8, v9
	ds_write_b32 v6, v10
.LBB16_98:                              ;   in Loop: Header=BB16_90 Depth=1
	s_or_b64 exec, exec, s[6:7]
	s_add_i32 s25, s24, 1
	v_cmp_eq_u32_e32 vcc, s25, v13
	s_waitcnt lgkmcnt(0)
	s_and_saveexec_b64 s[8:9], vcc
	s_cbranch_execz .LBB16_100
; %bb.99:                               ;   in Loop: Header=BB16_90 Depth=1
	ds_read_b32 v8, v0
	ds_read_b32 v9, v2
	s_waitcnt lgkmcnt(0)
	v_sub_f32_e32 v8, v8, v9
	v_cmp_gt_f32_e32 vcc, 0, v8
	v_cndmask_b32_e64 v8, v8, -v8, vcc
	v_mul_f32_e32 v9, 0x4f800000, v8
	v_cmp_gt_f32_e32 vcc, s19, v8
	v_cndmask_b32_e32 v8, v8, v9, vcc
	v_sqrt_f32_e32 v9, v8
	v_add_u32_e32 v10, -1, v9
	v_add_u32_e32 v11, 1, v9
	v_fma_f32 v14, -v10, v9, v8
	v_fma_f32 v15, -v11, v9, v8
	v_cmp_ge_f32_e64 s[6:7], 0, v14
	v_cndmask_b32_e64 v9, v9, v10, s[6:7]
	v_cmp_lt_f32_e64 s[6:7], 0, v15
	v_cndmask_b32_e64 v9, v9, v11, s[6:7]
	v_mul_f32_e32 v10, 0x37800000, v9
	v_cndmask_b32_e32 v9, v9, v10, vcc
	v_cmp_class_f32_e32 vcc, v8, v5
	v_cndmask_b32_e32 v8, v9, v8, vcc
	ds_write_b32 v0, v8
.LBB16_100:                             ;   in Loop: Header=BB16_90 Depth=1
	s_or_b64 exec, exec, s[8:9]
	v_mov_b32_e32 v8, s18
	s_waitcnt lgkmcnt(0)
	ds_read_b32 v8, v8 offset:40
	s_waitcnt lgkmcnt(0)
	v_cmp_neq_f32_e32 vcc, 0, v8
	s_or_b64 s[6:7], vcc, s[4:5]
	v_cndmask_b32_e32 v8, 1.0, v8, vcc
	s_xor_b64 s[8:9], s[6:7], -1
	s_and_saveexec_b64 s[6:7], s[8:9]
	s_cbranch_execz .LBB16_104
; %bb.101:                              ;   in Loop: Header=BB16_90 Depth=1
	v_mbcnt_lo_u32_b32 v8, exec_lo, 0
	v_mbcnt_hi_u32_b32 v8, exec_hi, v8
	v_cmp_eq_u32_e32 vcc, 0, v8
	s_and_saveexec_b64 s[8:9], vcc
	s_cbranch_execz .LBB16_103
; %bb.102:                              ;   in Loop: Header=BB16_90 Depth=1
	v_mov_b32_e32 v8, s16
	global_atomic_smin v7, v8, s[14:15]
.LBB16_103:                             ;   in Loop: Header=BB16_90 Depth=1
	s_or_b64 exec, exec, s[8:9]
	v_mov_b32_e32 v8, 1.0
.LBB16_104:                             ;   in Loop: Header=BB16_90 Depth=1
	s_or_b64 exec, exec, s[6:7]
	v_cmp_lt_u32_e32 vcc, s25, v13
	s_and_saveexec_b64 s[6:7], vcc
	s_cbranch_execz .LBB16_89
; %bb.105:                              ;   in Loop: Header=BB16_90 Depth=1
	ds_read2_b32 v[10:11], v4 offset0:1 offset1:73
	s_waitcnt lgkmcnt(0)
	v_sub_f32_e32 v9, v10, v11
	v_div_scale_f32 v10, s[8:9], v8, v8, v9
	v_rcp_f32_e32 v11, v10
	v_div_scale_f32 v14, vcc, v9, v8, v9
	v_fma_f32 v15, -v10, v11, 1.0
	v_fmac_f32_e32 v11, v15, v11
	v_mul_f32_e32 v15, v14, v11
	v_fma_f32 v16, -v10, v15, v14
	v_fmac_f32_e32 v15, v16, v11
	v_fma_f32 v10, -v10, v15, v14
	v_div_fmas_f32 v10, v10, v11, v15
	v_div_fixup_f32 v8, v10, v8, v9
	ds_write_b32 v4, v8 offset:4
	s_waitcnt lgkmcnt(0)
	ds_read_b32 v9, v3 offset:4
	ds_read_b32 v10, v6
	s_waitcnt lgkmcnt(0)
	v_fmac_f32_e32 v10, v8, v9
	ds_write_b32 v6, v10
	s_branch .LBB16_89
.LBB16_106:
	s_mov_b64 s[0:1], 0
	s_cbranch_execnz .LBB16_121
	s_branch .LBB16_126
.LBB16_107:
	s_add_i32 s17, s24, 2
.LBB16_108:
	s_bitcmp0_b32 s45, 0
	s_cbranch_scc1 .LBB16_118
; %bb.109:
	v_cmp_eq_u32_e32 vcc, s17, v13
	s_and_saveexec_b64 s[8:9], vcc
	s_cbranch_execz .LBB16_111
; %bb.110:
	ds_read_b32 v3, v0
	ds_read_b32 v2, v2
	s_mov_b32 s6, 0xf800000
	s_waitcnt lgkmcnt(0)
	v_sub_f32_e32 v2, v3, v2
	v_cmp_gt_f32_e32 vcc, 0, v2
	v_cndmask_b32_e64 v2, v2, -v2, vcc
	v_mul_f32_e32 v3, 0x4f800000, v2
	v_cmp_gt_f32_e32 vcc, s6, v2
	v_cndmask_b32_e32 v2, v2, v3, vcc
	v_sqrt_f32_e32 v3, v2
	v_add_u32_e32 v4, -1, v3
	v_add_u32_e32 v5, 1, v3
	v_fma_f32 v7, -v4, v3, v2
	v_fma_f32 v8, -v5, v3, v2
	v_cmp_ge_f32_e64 s[6:7], 0, v7
	v_cndmask_b32_e64 v3, v3, v4, s[6:7]
	v_cmp_lt_f32_e64 s[6:7], 0, v8
	v_cndmask_b32_e64 v3, v3, v5, s[6:7]
	v_mul_f32_e32 v4, 0x37800000, v3
	v_cndmask_b32_e32 v3, v3, v4, vcc
	v_mov_b32_e32 v4, 0x260
	v_cmp_class_f32_e32 vcc, v2, v4
	v_cndmask_b32_e32 v2, v3, v2, vcc
	ds_write_b32 v0, v2
.LBB16_111:
	s_or_b64 exec, exec, s[8:9]
	s_lshl_b32 s8, s17, 2
	s_mul_i32 s6, s17, 36
	s_add_i32 s6, s6, s8
	v_mov_b32_e32 v0, s6
	s_waitcnt lgkmcnt(0)
	ds_read_b32 v0, v0 offset:2112
	s_waitcnt lgkmcnt(0)
	v_cmp_neq_f32_e32 vcc, 0, v0
	s_or_b64 s[4:5], vcc, s[4:5]
	v_cndmask_b32_e32 v0, 1.0, v0, vcc
	s_xor_b64 s[6:7], s[4:5], -1
	s_and_saveexec_b64 s[4:5], s[6:7]
	s_cbranch_execz .LBB16_115
; %bb.112:
	v_mbcnt_lo_u32_b32 v0, exec_lo, 0
	v_mbcnt_hi_u32_b32 v0, exec_hi, v0
	v_cmp_eq_u32_e32 vcc, 0, v0
	s_and_saveexec_b64 s[6:7], vcc
	s_cbranch_execz .LBB16_114
; %bb.113:
	v_mov_b32_e32 v0, 0
	v_mov_b32_e32 v2, s16
	global_atomic_smin v0, v2, s[14:15]
.LBB16_114:
	s_or_b64 exec, exec, s[6:7]
	v_mov_b32_e32 v0, 1.0
.LBB16_115:
	s_or_b64 exec, exec, s[4:5]
	v_cmp_lt_u32_e32 vcc, s17, v13
	s_and_saveexec_b64 s[4:5], vcc
	s_cbranch_execz .LBB16_117
; %bb.116:
	s_add_i32 s9, s8, 0x840
	v_mad_u32_u24 v2, v13, 36, s9
	v_mad_u32_u24 v3, v13, 36, s8
	ds_read_b32 v4, v2
	ds_read_b32 v3, v3 offset:2400
	s_waitcnt lgkmcnt(0)
	v_sub_f32_e32 v3, v4, v3
	v_div_scale_f32 v4, s[6:7], v0, v0, v3
	v_rcp_f32_e32 v5, v4
	v_div_scale_f32 v7, vcc, v3, v0, v3
	v_fma_f32 v8, -v4, v5, 1.0
	v_fmac_f32_e32 v5, v8, v5
	v_mul_f32_e32 v8, v7, v5
	v_fma_f32 v9, -v4, v8, v7
	v_fmac_f32_e32 v8, v9, v5
	v_fma_f32 v4, -v4, v8, v7
	v_div_fmas_f32 v4, v4, v5, v8
	v_div_fixup_f32 v0, v4, v0, v3
	ds_write_b32 v2, v0
	v_mad_u32_u24 v2, v12, 36, s9
	s_waitcnt lgkmcnt(0)
	ds_read_b32 v2, v2
	ds_read_b32 v3, v6
	s_waitcnt lgkmcnt(0)
	v_fmac_f32_e32 v3, v0, v2
	ds_write_b32 v6, v3
.LBB16_117:
	s_or_b64 exec, exec, s[4:5]
	s_waitcnt lgkmcnt(0)
.LBB16_118:
	s_and_saveexec_b64 s[4:5], s[2:3]
	s_cbranch_execz .LBB16_120
; %bb.119:
	v_add_u32_e32 v0, 0x840, v1
	s_mul_i32 s33, s33, s45
	v_cndmask_b32_e64 v1, v12, v13, s[0:1]
	ds_read_b32 v2, v0
	v_cndmask_b32_e64 v0, v13, v12, s[0:1]
	v_add_u32_e32 v1, s33, v1
	v_mad_u64_u32 v[0:1], s[0:1], v1, s45, v[0:1]
	v_ashrrev_i32_e32 v1, 31, v0
	v_lshlrev_b64 v[0:1], 2, v[0:1]
	v_mov_b32_e32 v3, s23
	v_add_co_u32_e32 v0, vcc, s22, v0
	v_addc_co_u32_e32 v1, vcc, v3, v1, vcc
	s_waitcnt lgkmcnt(0)
	global_store_dword v[0:1], v2, off
.LBB16_120:
	s_or_b64 exec, exec, s[4:5]
	v_or_b32_e32 v0, v12, v13
	v_cmp_eq_u32_e64 s[0:1], 0, v0
	s_branch .LBB16_126
.LBB16_121:
	v_or_b32_e32 v0, v12, v13
	v_cmp_eq_u32_e32 vcc, 0, v0
	s_and_saveexec_b64 s[2:3], vcc
	s_cbranch_execz .LBB16_125
; %bb.122:
	v_mbcnt_lo_u32_b32 v0, exec_lo, 0
	v_mbcnt_hi_u32_b32 v0, exec_hi, v0
	v_cmp_eq_u32_e32 vcc, 0, v0
	s_and_saveexec_b64 s[4:5], vcc
	s_cbranch_execz .LBB16_124
; %bb.123:
	s_add_i32 s6, s20, s21
	v_mov_b32_e32 v0, 0
	v_mov_b32_e32 v1, s6
	global_atomic_smin v0, v1, s[14:15]
.LBB16_124:
	s_or_b64 exec, exec, s[4:5]
	s_or_b64 s[0:1], s[0:1], exec
.LBB16_125:
	s_or_b64 exec, exec, s[2:3]
.LBB16_126:
	s_and_saveexec_b64 s[2:3], s[0:1]
	s_cbranch_execnz .LBB16_128
; %bb.127:
	s_endpgm
.LBB16_128:
	s_add_u32 s0, s10, s12
	s_addc_u32 s1, s11, s13
	v_mov_b32_e32 v0, 0
	v_mov_b32_e32 v1, 1
	s_waitcnt vmcnt(0)
	global_store_dword v0, v1, s[0:1]
	s_endpgm
	.section	.rodata,"a",@progbits
	.p2align	6, 0x0
	.amdhsa_kernel _ZN9rocsparseL17bsric0_2_8_kernelILi64ELi128ELi8EfEEv20rocsparse_direction_iiPKiS3_PT2_S3_PiS3_S6_21rocsparse_index_base_
		.amdhsa_group_segment_fixed_size 2688
		.amdhsa_private_segment_fixed_size 0
		.amdhsa_kernarg_size 76
		.amdhsa_user_sgpr_count 6
		.amdhsa_user_sgpr_private_segment_buffer 1
		.amdhsa_user_sgpr_dispatch_ptr 0
		.amdhsa_user_sgpr_queue_ptr 0
		.amdhsa_user_sgpr_kernarg_segment_ptr 1
		.amdhsa_user_sgpr_dispatch_id 0
		.amdhsa_user_sgpr_flat_scratch_init 0
		.amdhsa_user_sgpr_kernarg_preload_length 0
		.amdhsa_user_sgpr_kernarg_preload_offset 0
		.amdhsa_user_sgpr_private_segment_size 0
		.amdhsa_uses_dynamic_stack 0
		.amdhsa_system_sgpr_private_segment_wavefront_offset 0
		.amdhsa_system_sgpr_workgroup_id_x 1
		.amdhsa_system_sgpr_workgroup_id_y 0
		.amdhsa_system_sgpr_workgroup_id_z 0
		.amdhsa_system_sgpr_workgroup_info 0
		.amdhsa_system_vgpr_workitem_id 1
		.amdhsa_next_free_vgpr 70
		.amdhsa_next_free_sgpr 55
		.amdhsa_accum_offset 72
		.amdhsa_reserve_vcc 1
		.amdhsa_reserve_flat_scratch 0
		.amdhsa_float_round_mode_32 0
		.amdhsa_float_round_mode_16_64 0
		.amdhsa_float_denorm_mode_32 3
		.amdhsa_float_denorm_mode_16_64 3
		.amdhsa_dx10_clamp 1
		.amdhsa_ieee_mode 1
		.amdhsa_fp16_overflow 0
		.amdhsa_tg_split 0
		.amdhsa_exception_fp_ieee_invalid_op 0
		.amdhsa_exception_fp_denorm_src 0
		.amdhsa_exception_fp_ieee_div_zero 0
		.amdhsa_exception_fp_ieee_overflow 0
		.amdhsa_exception_fp_ieee_underflow 0
		.amdhsa_exception_fp_ieee_inexact 0
		.amdhsa_exception_int_div_zero 0
	.end_amdhsa_kernel
	.section	.text._ZN9rocsparseL17bsric0_2_8_kernelILi64ELi128ELi8EfEEv20rocsparse_direction_iiPKiS3_PT2_S3_PiS3_S6_21rocsparse_index_base_,"axG",@progbits,_ZN9rocsparseL17bsric0_2_8_kernelILi64ELi128ELi8EfEEv20rocsparse_direction_iiPKiS3_PT2_S3_PiS3_S6_21rocsparse_index_base_,comdat
.Lfunc_end16:
	.size	_ZN9rocsparseL17bsric0_2_8_kernelILi64ELi128ELi8EfEEv20rocsparse_direction_iiPKiS3_PT2_S3_PiS3_S6_21rocsparse_index_base_, .Lfunc_end16-_ZN9rocsparseL17bsric0_2_8_kernelILi64ELi128ELi8EfEEv20rocsparse_direction_iiPKiS3_PT2_S3_PiS3_S6_21rocsparse_index_base_
                                        ; -- End function
	.section	.AMDGPU.csdata,"",@progbits
; Kernel info:
; codeLenInByte = 5808
; NumSgprs: 59
; NumVgprs: 70
; NumAgprs: 0
; TotalNumVgprs: 70
; ScratchSize: 0
; MemoryBound: 0
; FloatMode: 240
; IeeeMode: 1
; LDSByteSize: 2688 bytes/workgroup (compile time only)
; SGPRBlocks: 7
; VGPRBlocks: 8
; NumSGPRsForWavesPerEU: 59
; NumVGPRsForWavesPerEU: 70
; AccumOffset: 72
; Occupancy: 6
; WaveLimiterHint : 1
; COMPUTE_PGM_RSRC2:SCRATCH_EN: 0
; COMPUTE_PGM_RSRC2:USER_SGPR: 6
; COMPUTE_PGM_RSRC2:TRAP_HANDLER: 0
; COMPUTE_PGM_RSRC2:TGID_X_EN: 1
; COMPUTE_PGM_RSRC2:TGID_Y_EN: 0
; COMPUTE_PGM_RSRC2:TGID_Z_EN: 0
; COMPUTE_PGM_RSRC2:TIDIG_COMP_CNT: 1
; COMPUTE_PGM_RSRC3_GFX90A:ACCUM_OFFSET: 17
; COMPUTE_PGM_RSRC3_GFX90A:TG_SPLIT: 0
	.section	.text._ZN9rocsparseL18bsric0_9_16_kernelILi64ELi128ELi16EfEEv20rocsparse_direction_iiPKiS3_PT2_S3_PiS3_S6_21rocsparse_index_base_,"axG",@progbits,_ZN9rocsparseL18bsric0_9_16_kernelILi64ELi128ELi16EfEEv20rocsparse_direction_iiPKiS3_PT2_S3_PiS3_S6_21rocsparse_index_base_,comdat
	.globl	_ZN9rocsparseL18bsric0_9_16_kernelILi64ELi128ELi16EfEEv20rocsparse_direction_iiPKiS3_PT2_S3_PiS3_S6_21rocsparse_index_base_ ; -- Begin function _ZN9rocsparseL18bsric0_9_16_kernelILi64ELi128ELi16EfEEv20rocsparse_direction_iiPKiS3_PT2_S3_PiS3_S6_21rocsparse_index_base_
	.p2align	8
	.type	_ZN9rocsparseL18bsric0_9_16_kernelILi64ELi128ELi16EfEEv20rocsparse_direction_iiPKiS3_PT2_S3_PiS3_S6_21rocsparse_index_base_,@function
_ZN9rocsparseL18bsric0_9_16_kernelILi64ELi128ELi16EfEEv20rocsparse_direction_iiPKiS3_PT2_S3_PiS3_S6_21rocsparse_index_base_: ; @_ZN9rocsparseL18bsric0_9_16_kernelILi64ELi128ELi16EfEEv20rocsparse_direction_iiPKiS3_PT2_S3_PiS3_S6_21rocsparse_index_base_
; %bb.0:
	s_load_dwordx8 s[16:23], s[4:5], 0x28
	s_mov_b32 s7, 0
	s_lshl_b64 s[0:1], s[6:7], 2
	v_and_b32_e32 v14, 0x3ff, v0
	v_bfe_u32 v0, v0, 10, 10
	s_waitcnt lgkmcnt(0)
	s_add_u32 s0, s20, s0
	s_addc_u32 s1, s21, s1
	s_load_dword s20, s[0:1], 0x0
	s_waitcnt lgkmcnt(0)
	s_ashr_i32 s21, s20, 31
	s_lshl_b64 s[14:15], s[20:21], 2
	s_add_u32 s0, s16, s14
	s_addc_u32 s1, s17, s15
	s_load_dword s33, s[0:1], 0x0
	s_load_dword s21, s[4:5], 0x48
	s_waitcnt lgkmcnt(0)
	s_cmp_lg_u32 s33, -1
	s_cbranch_scc0 .LBB17_283
; %bb.1:
	s_load_dwordx4 s[24:27], s[4:5], 0x10
	v_lshlrev_b32_e32 v15, 2, v0
	v_add_u32_e32 v1, v15, v14
	s_waitcnt lgkmcnt(0)
	s_add_u32 s0, s24, s14
	s_addc_u32 s1, s25, s15
	s_load_dword s28, s[0:1], 0x0
	s_waitcnt lgkmcnt(0)
	s_sub_i32 s57, s28, s21
	v_add_u32_e32 v2, s57, v1
	v_cmp_ge_i32_e32 vcc, s33, v2
	s_and_saveexec_b64 s[2:3], vcc
	s_cbranch_execz .LBB17_16
; %bb.2:
	v_add_u32_e32 v1, s28, v1
	v_subrev_u32_e32 v1, s21, v1
	v_add_u32_e32 v1, 64, v1
	s_add_i32 s0, s33, 1
	v_max_i32_e32 v1, s0, v1
	v_not_b32_e32 v3, v14
	v_add3_u32 v1, v1, s21, v3
	v_add_u32_e32 v3, s28, v15
	v_sub_u32_e32 v1, v1, v3
	s_movk_i32 s0, 0x640
	v_cmp_gt_u32_e32 vcc, s0, v1
	s_movk_i32 s0, 0x63f
	v_cmp_lt_u32_e64 s[0:1], s0, v1
	s_and_saveexec_b64 s[6:7], s[0:1]
	s_cbranch_execz .LBB17_13
; %bb.3:
	v_and_b32_e32 v3, 0xffffffc0, v1
	v_add_u32_e32 v3, v2, v3
	v_cmp_ge_i32_e64 s[0:1], v3, v2
	s_mov_b64 s[10:11], -1
	s_and_saveexec_b64 s[8:9], s[0:1]
	s_cbranch_execz .LBB17_12
; %bb.4:
	v_lshrrev_b32_e32 v1, 6, v1
	v_add_u32_e32 v4, -1, v1
	v_add_u32_e32 v3, 64, v2
	v_lshrrev_b32_e32 v5, 1, v4
	v_add_u32_e32 v16, 1, v5
	v_cmp_lt_u32_e64 s[0:1], 13, v4
	v_pk_mov_b32 v[4:5], v[2:3], v[2:3] op_sel:[0,1]
	s_and_saveexec_b64 s[10:11], s[0:1]
	s_cbranch_execz .LBB17_8
; %bb.5:
	v_and_b32_e32 v17, -8, v16
	s_mov_b64 s[12:13], 0
	v_mov_b32_e32 v18, s27
	v_pk_mov_b32 v[4:5], v[2:3], v[2:3] op_sel:[0,1]
.LBB17_6:                               ; =>This Inner Loop Header: Depth=1
	v_ashrrev_i32_e32 v23, 31, v4
	v_mov_b32_e32 v22, v4
	v_lshlrev_b64 v[22:23], 2, v[22:23]
	v_ashrrev_i32_e32 v21, 31, v5
	v_mov_b32_e32 v20, v5
	v_add_co_u32_e64 v22, s[0:1], s26, v22
	v_add_u32_e32 v6, 0x80, v4
	v_lshlrev_b64 v[20:21], 2, v[20:21]
	v_addc_co_u32_e64 v23, s[0:1], v18, v23, s[0:1]
	v_ashrrev_i32_e32 v7, 31, v6
	v_add_co_u32_e64 v20, s[0:1], s26, v20
	v_add_u32_e32 v8, 0x80, v5
	v_addc_co_u32_e64 v21, s[0:1], v18, v21, s[0:1]
	v_lshlrev_b64 v[44:45], 2, v[6:7]
	v_ashrrev_i32_e32 v9, 31, v8
	global_load_dword v3, v[22:23], off
	global_load_dword v7, v[20:21], off
	v_add_co_u32_e64 v20, s[0:1], s26, v44
	v_add_u32_e32 v10, 0x100, v4
	v_lshlrev_b64 v[46:47], 2, v[8:9]
	v_addc_co_u32_e64 v21, s[0:1], v18, v45, s[0:1]
	v_ashrrev_i32_e32 v11, 31, v10
	v_add_co_u32_e64 v22, s[0:1], s26, v46
	v_add_u32_e32 v12, 0x100, v5
	v_lshlrev_b64 v[48:49], 2, v[10:11]
	v_addc_co_u32_e64 v23, s[0:1], v18, v47, s[0:1]
	v_ashrrev_i32_e32 v13, 31, v12
	v_add_co_u32_e64 v44, s[0:1], s26, v48
	v_add_u32_e32 v24, 0x180, v4
	v_lshlrev_b64 v[50:51], 2, v[12:13]
	v_addc_co_u32_e64 v45, s[0:1], v18, v49, s[0:1]
	v_ashrrev_i32_e32 v25, 31, v24
	v_add_co_u32_e64 v46, s[0:1], s26, v50
	v_add_u32_e32 v26, 0x180, v5
	v_lshlrev_b64 v[52:53], 2, v[24:25]
	v_addc_co_u32_e64 v47, s[0:1], v18, v51, s[0:1]
	v_ashrrev_i32_e32 v27, 31, v26
	v_add_co_u32_e64 v48, s[0:1], s26, v52
	v_add_u32_e32 v28, 0x200, v4
	v_lshlrev_b64 v[54:55], 2, v[26:27]
	v_addc_co_u32_e64 v49, s[0:1], v18, v53, s[0:1]
	v_ashrrev_i32_e32 v29, 31, v28
	v_add_co_u32_e64 v50, s[0:1], s26, v54
	v_add_u32_e32 v30, 0x200, v5
	v_lshlrev_b64 v[56:57], 2, v[28:29]
	v_addc_co_u32_e64 v51, s[0:1], v18, v55, s[0:1]
	v_ashrrev_i32_e32 v31, 31, v30
	v_add_co_u32_e64 v52, s[0:1], s26, v56
	v_add_u32_e32 v32, 0x280, v4
	v_lshlrev_b64 v[58:59], 2, v[30:31]
	v_addc_co_u32_e64 v53, s[0:1], v18, v57, s[0:1]
	v_ashrrev_i32_e32 v33, 31, v32
	v_add_co_u32_e64 v54, s[0:1], s26, v58
	v_add_u32_e32 v34, 0x280, v5
	v_lshlrev_b64 v[60:61], 2, v[32:33]
	v_addc_co_u32_e64 v55, s[0:1], v18, v59, s[0:1]
	v_ashrrev_i32_e32 v35, 31, v34
	v_add_co_u32_e64 v56, s[0:1], s26, v60
	v_add_u32_e32 v36, 0x300, v4
	v_lshlrev_b64 v[62:63], 2, v[34:35]
	v_addc_co_u32_e64 v57, s[0:1], v18, v61, s[0:1]
	v_ashrrev_i32_e32 v37, 31, v36
	v_add_co_u32_e64 v58, s[0:1], s26, v62
	v_add_u32_e32 v38, 0x300, v5
	v_lshlrev_b64 v[64:65], 2, v[36:37]
	v_addc_co_u32_e64 v59, s[0:1], v18, v63, s[0:1]
	v_ashrrev_i32_e32 v39, 31, v38
	v_add_co_u32_e64 v60, s[0:1], s26, v64
	v_add_u32_e32 v40, 0x380, v4
	v_lshlrev_b64 v[66:67], 2, v[38:39]
	v_addc_co_u32_e64 v61, s[0:1], v18, v65, s[0:1]
	v_ashrrev_i32_e32 v41, 31, v40
	v_add_co_u32_e64 v62, s[0:1], s26, v66
	v_add_u32_e32 v42, 0x380, v5
	v_lshlrev_b64 v[68:69], 2, v[40:41]
	v_addc_co_u32_e64 v63, s[0:1], v18, v67, s[0:1]
	v_ashrrev_i32_e32 v43, 31, v42
	v_add_co_u32_e64 v64, s[0:1], s26, v68
	v_lshlrev_b64 v[70:71], 2, v[42:43]
	v_addc_co_u32_e64 v65, s[0:1], v18, v69, s[0:1]
	v_add_co_u32_e64 v66, s[0:1], s26, v70
	v_addc_co_u32_e64 v67, s[0:1], v18, v71, s[0:1]
	global_load_dword v9, v[22:23], off
	global_load_dword v11, v[20:21], off
	;; [unrolled: 1-line block ×14, first 2 shown]
	v_subrev_u32_e32 v21, s57, v4
	v_add_u32_e32 v17, -8, v17
	v_subrev_u32_e32 v20, s57, v5
	v_lshlrev_b32_e32 v21, 2, v21
	v_subrev_u32_e32 v6, s57, v6
	v_cmp_eq_u32_e64 s[0:1], 0, v17
	s_waitcnt vmcnt(14)
	v_subrev_u32_e32 v7, s21, v7
	v_subrev_u32_e32 v3, s21, v3
	v_add_u32_e32 v5, 0x400, v5
	v_add_u32_e32 v4, 0x400, v4
	v_lshlrev_b32_e32 v20, 2, v20
	v_subrev_u32_e32 v8, s57, v8
	v_subrev_u32_e32 v12, s57, v12
	;; [unrolled: 1-line block ×13, first 2 shown]
	v_lshlrev_b32_e32 v6, 2, v6
	s_or_b64 s[12:13], s[0:1], s[12:13]
	ds_write_b32 v21, v3 offset:5376
	ds_write_b32 v20, v7 offset:5376
	v_lshlrev_b32_e32 v8, 2, v8
	v_lshlrev_b32_e32 v10, 2, v10
	v_lshlrev_b32_e32 v12, 2, v12
	v_lshlrev_b32_e32 v23, 2, v23
	v_lshlrev_b32_e32 v22, 2, v22
	v_lshlrev_b32_e32 v26, 2, v26
	v_lshlrev_b32_e32 v24, 2, v24
	v_lshlrev_b32_e32 v30, 2, v30
	v_lshlrev_b32_e32 v28, 2, v28
	v_lshlrev_b32_e32 v34, 2, v34
	v_lshlrev_b32_e32 v32, 2, v32
	v_lshlrev_b32_e32 v38, 2, v38
	v_lshlrev_b32_e32 v36, 2, v36
	s_waitcnt vmcnt(13)
	v_subrev_u32_e32 v3, s21, v9
	s_waitcnt vmcnt(12)
	v_subrev_u32_e32 v7, s21, v11
	;; [unrolled: 2-line block ×14, first 2 shown]
	ds_write_b32 v6, v7 offset:5376
	ds_write_b32 v8, v3 offset:5376
	;; [unrolled: 1-line block ×14, first 2 shown]
	s_andn2_b64 exec, exec, s[12:13]
	s_cbranch_execnz .LBB17_6
; %bb.7:
	s_or_b64 exec, exec, s[12:13]
.LBB17_8:
	s_or_b64 exec, exec, s[10:11]
	v_and_b32_e32 v3, 7, v16
	v_cmp_ne_u32_e64 s[0:1], 0, v3
	s_and_saveexec_b64 s[10:11], s[0:1]
	s_cbranch_execz .LBB17_11
; %bb.9:
	s_mov_b64 s[12:13], 0
	v_mov_b32_e32 v6, s27
.LBB17_10:                              ; =>This Inner Loop Header: Depth=1
	v_ashrrev_i32_e32 v11, 31, v4
	v_mov_b32_e32 v10, v4
	v_lshlrev_b64 v[10:11], 2, v[10:11]
	v_ashrrev_i32_e32 v9, 31, v5
	v_mov_b32_e32 v8, v5
	v_add_co_u32_e64 v10, s[0:1], s26, v10
	v_lshlrev_b64 v[8:9], 2, v[8:9]
	v_addc_co_u32_e64 v11, s[0:1], v6, v11, s[0:1]
	v_add_co_u32_e64 v8, s[0:1], s26, v8
	v_addc_co_u32_e64 v9, s[0:1], v6, v9, s[0:1]
	global_load_dword v7, v[8:9], off
	global_load_dword v12, v[10:11], off
	v_add_u32_e32 v3, -1, v3
	v_subrev_u32_e32 v9, s57, v4
	v_cmp_eq_u32_e64 s[0:1], 0, v3
	v_subrev_u32_e32 v8, s57, v5
	v_add_u32_e32 v5, 0x80, v5
	v_add_u32_e32 v4, 0x80, v4
	v_lshlrev_b32_e32 v9, 2, v9
	s_or_b64 s[12:13], s[0:1], s[12:13]
	v_lshlrev_b32_e32 v8, 2, v8
	s_waitcnt vmcnt(1)
	v_subrev_u32_e32 v7, s21, v7
	s_waitcnt vmcnt(0)
	v_subrev_u32_e32 v10, s21, v12
	ds_write_b32 v9, v10 offset:5376
	ds_write_b32 v8, v7 offset:5376
	s_andn2_b64 exec, exec, s[12:13]
	s_cbranch_execnz .LBB17_10
.LBB17_11:
	s_or_b64 exec, exec, s[10:11]
	v_add_u32_e32 v1, 1, v1
	v_and_b32_e32 v3, 0x7fffffe, v1
	v_cmp_ne_u32_e64 s[0:1], v1, v3
	v_lshl_add_u32 v2, v3, 6, v2
	s_orn2_b64 s[10:11], s[0:1], exec
.LBB17_12:
	s_or_b64 exec, exec, s[8:9]
	s_andn2_b64 s[0:1], vcc, exec
	s_and_b64 s[8:9], s[10:11], exec
	s_or_b64 vcc, s[0:1], s[8:9]
.LBB17_13:
	s_or_b64 exec, exec, s[6:7]
	s_and_b64 exec, exec, vcc
	s_cbranch_execz .LBB17_16
; %bb.14:
	v_add_u32_e32 v1, s21, v2
	v_subrev_u32_e32 v1, s28, v1
	v_mov_b32_e32 v3, 0x1500
	v_lshl_add_u32 v1, v1, 2, v3
	s_mov_b64 s[0:1], 0
	v_mov_b32_e32 v4, s27
.LBB17_15:                              ; =>This Inner Loop Header: Depth=1
	v_ashrrev_i32_e32 v3, 31, v2
	v_lshlrev_b64 v[6:7], 2, v[2:3]
	v_add_co_u32_e32 v6, vcc, s26, v6
	v_addc_co_u32_e32 v7, vcc, v4, v7, vcc
	global_load_dword v3, v[6:7], off
	v_add_u32_e32 v2, 64, v2
	v_cmp_lt_i32_e32 vcc, s33, v2
	s_or_b64 s[0:1], vcc, s[0:1]
	s_waitcnt vmcnt(0)
	v_subrev_u32_e32 v3, s21, v3
	ds_write_b32 v1, v3
	v_add_u32_e32 v1, 0x100, v1
	s_andn2_b64 exec, exec, s[0:1]
	s_cbranch_execnz .LBB17_15
.LBB17_16:
	s_or_b64 exec, exec, s[2:3]
	s_load_dwordx2 s[28:29], s[4:5], 0x20
	v_cmp_gt_u32_e32 vcc, 16, v14
	v_lshlrev_b32_e32 v6, 2, v14
	s_and_saveexec_b64 s[2:3], vcc
	s_cbranch_execz .LBB17_23
; %bb.17:
	v_sub_u32_e64 v1, 12, v14 clamp
	v_add_u32_e32 v1, 3, v1
	v_lshrrev_b32_e32 v2, 2, v1
	v_add_u32_e32 v1, 2, v2
	v_mul_u32_u24_e32 v4, 0x44, v0
	v_lshlrev_b32_e32 v5, 2, v14
	s_movk_i32 s0, 0xcc0
	v_and_b32_e32 v3, 14, v1
	v_mov_b32_e32 v1, v2
	v_add3_u32 v4, v4, v5, s0
	s_mov_b32 s10, 0
	s_mov_b64 s[6:7], 0
	v_mov_b32_e32 v5, 0
	s_branch .LBB17_19
.LBB17_18:                              ;   in Loop: Header=BB17_19 Depth=1
	s_or_b64 exec, exec, s[0:1]
	s_add_i32 s10, s10, 2
	v_cmp_eq_u32_e32 vcc, s10, v3
	s_or_b64 s[6:7], vcc, s[6:7]
	v_add_u32_e32 v4, 32, v4
	s_andn2_b64 exec, exec, s[6:7]
	s_cbranch_execz .LBB17_23
.LBB17_19:                              ; =>This Inner Loop Header: Depth=1
	s_or_b32 s0, s10, 1
	v_cmp_le_u32_e32 vcc, s0, v1
	v_cmp_le_u32_e64 s[0:1], s10, v2
	s_and_saveexec_b64 s[8:9], s[0:1]
	s_cbranch_execz .LBB17_21
; %bb.20:                               ;   in Loop: Header=BB17_19 Depth=1
	ds_write_b32 v4, v5
.LBB17_21:                              ;   in Loop: Header=BB17_19 Depth=1
	s_or_b64 exec, exec, s[8:9]
	s_and_saveexec_b64 s[0:1], vcc
	s_cbranch_execz .LBB17_18
; %bb.22:                               ;   in Loop: Header=BB17_19 Depth=1
	ds_write_b32 v4, v5 offset:16
	s_branch .LBB17_18
.LBB17_23:
	s_or_b64 exec, exec, s[2:3]
	s_load_dword s56, s[4:5], 0x8
	s_load_dword s58, s[4:5], 0x0
	s_cmp_ge_i32 s57, s33
	s_waitcnt lgkmcnt(0)
	v_cmp_gt_i32_e64 s[0:1], s56, v14
	v_xad_u32 v1, v14, -1, s56
	s_cbranch_scc1 .LBB17_232
; %bb.24:
	v_or_b32_e32 v2, v14, v0
	v_cmp_ne_u32_e64 s[4:5], 0, v2
	s_movk_i32 s60, 0x44
	v_mov_b32_e32 v2, 0xcc0
	v_lshlrev_b32_e32 v8, 2, v14
	v_mad_u32_u24 v9, v0, s60, v2
	v_lshlrev_b32_e32 v5, 2, v1
	v_add_u32_e32 v2, v9, v8
	s_movk_i32 s10, 0x43
	v_and_b32_e32 v5, -16, v5
	s_cmp_lg_u32 s58, 0
	v_cmp_lt_u32_e32 vcc, s10, v1
	s_brev_b32 s10, -4
	v_add_u32_e32 v5, v2, v5
	s_cselect_b64 s[30:31], -1, 0
	s_cmp_gt_i32 s56, 0
	v_cmp_lt_u32_e64 s[10:11], s10, v1
	v_cmp_lt_u32_e64 s[12:13], v5, v2
	s_cselect_b64 s[34:35], -1, 0
	s_or_b64 s[10:11], s[12:13], s[10:11]
	s_xor_b64 s[12:13], s[10:11], -1
	s_and_b64 s[36:37], vcc, s[12:13]
	s_mul_i32 s12, s56, s57
	v_add_u32_e32 v2, s12, v0
	v_lshrrev_b32_e32 v3, 2, v1
	v_mul_lo_u32 v18, s56, v2
	v_mov_b32_e32 v2, 0x440
	v_add_u32_e32 v3, 1, v3
	v_mad_u32_u24 v19, v0, s60, v2
	v_mov_b32_e32 v2, 0x880
	v_and_b32_e32 v4, 3, v3
	v_and_b32_e32 v10, 0x7ffffffe, v3
	v_mad_u32_u24 v13, v0, s60, v8
	v_mad_u32_u24 v21, v0, s60, v2
	;; [unrolled: 1-line block ×3, first 2 shown]
	v_cndmask_b32_e64 v2, 0, 1, s[30:31]
	v_cmp_gt_i32_e64 s[2:3], s56, v0
	s_mul_i32 s59, s56, s56
	v_mul_lo_u32 v7, v0, s56
	v_cmp_ne_u32_e64 s[6:7], 0, v4
	v_cmp_lt_u32_e64 s[8:9], 11, v1
	v_lshl_add_u32 v11, v10, 2, v14
	v_cmp_ne_u32_e64 s[10:11], v3, v10
	v_mul_u32_u24_e32 v12, 0x44, v0
	v_add_u32_e32 v16, 0x440, v13
	v_lshlrev_b32_e32 v17, 2, v4
	v_mul_lo_u32 v20, v14, s56
	s_lshl_b32 s61, s56, 2
	v_mul_u32_u24_e32 v22, 0x44, v14
	v_add_u32_e32 v24, 0xcc0, v13
	v_add_u32_e32 v25, 0x880, v13
	v_cmp_ne_u32_e64 s[12:13], 1, v2
	v_mov_b32_e32 v26, 0
	s_mov_b32 s38, s57
	s_branch .LBB17_26
.LBB17_25:                              ;   in Loop: Header=BB17_26 Depth=1
	s_or_b64 exec, exec, s[40:41]
	s_add_i32 s38, s38, 1
	s_cmp_ge_i32 s38, s33
	s_waitcnt vmcnt(0)
	buffer_wbinvl1_vol
	v_add_u32_e32 v18, s59, v18
	s_cselect_b64 s[40:41], -1, 0
	s_and_b64 vcc, exec, s[40:41]
	s_cbranch_vccnz .LBB17_232
.LBB17_26:                              ; =>This Loop Header: Depth=1
                                        ;     Child Loop BB17_31 Depth 2
                                        ;     Child Loop BB17_46 Depth 2
	;; [unrolled: 1-line block ×7, first 2 shown]
                                        ;       Child Loop BB17_164 Depth 3
                                        ;     Child Loop BB17_177 Depth 2
                                        ;       Child Loop BB17_183 Depth 3
                                        ;       Child Loop BB17_187 Depth 3
	;; [unrolled: 1-line block ×3, first 2 shown]
                                        ;     Child Loop BB17_199 Depth 2
                                        ;     Child Loop BB17_209 Depth 2
	s_ashr_i32 s39, s38, 31
	s_lshl_b64 s[40:41], s[38:39], 2
	s_add_u32 s40, s26, s40
	s_addc_u32 s41, s27, s41
	s_load_dword s62, s[40:41], 0x0
	s_waitcnt lgkmcnt(0)
	s_sub_i32 s42, s62, s21
	s_ashr_i32 s43, s42, 31
	s_lshl_b64 s[40:41], s[42:43], 2
	s_add_u32 s44, s16, s40
	s_addc_u32 s45, s17, s41
	s_load_dword s43, s[44:45], 0x0
	s_waitcnt lgkmcnt(0)
	s_cmp_eq_u32 s43, -1
	s_cbranch_scc1 .LBB17_41
; %bb.27:                               ;   in Loop: Header=BB17_26 Depth=1
	s_add_u32 s44, s24, s40
	s_addc_u32 s45, s25, s41
	s_load_dword s63, s[44:45], 0x0
	s_mul_i32 s39, s38, s56
	s_and_saveexec_b64 s[44:45], s[0:1]
	s_cbranch_execz .LBB17_86
; %bb.28:                               ;   in Loop: Header=BB17_26 Depth=1
	v_mov_b32_e32 v4, v14
	s_and_saveexec_b64 s[46:47], s[6:7]
	s_cbranch_execz .LBB17_43
; %bb.29:                               ;   in Loop: Header=BB17_26 Depth=1
	s_mov_b64 s[48:49], 0
	v_mov_b32_e32 v5, v17
	v_mov_b32_e32 v27, v16
	;; [unrolled: 1-line block ×3, first 2 shown]
	s_branch .LBB17_31
.LBB17_30:                              ;   in Loop: Header=BB17_31 Depth=2
	s_or_b64 exec, exec, s[52:53]
	v_add_u32_e32 v5, -4, v5
	v_cmp_eq_u32_e32 vcc, 0, v5
	s_waitcnt vmcnt(0)
	ds_write_b32 v27, v3 offset:1088
	ds_write_b32 v27, v26
	v_add_u32_e32 v4, 4, v4
	s_or_b64 s[48:49], vcc, s[48:49]
	v_add_u32_e32 v27, 16, v27
	s_andn2_b64 exec, exec, s[48:49]
	s_cbranch_execz .LBB17_42
.LBB17_31:                              ;   Parent Loop BB17_26 Depth=1
                                        ; =>  This Inner Loop Header: Depth=2
	s_and_b64 vcc, exec, s[12:13]
	s_cbranch_vccnz .LBB17_36
; %bb.32:                               ;   in Loop: Header=BB17_31 Depth=2
	s_mov_b64 s[52:53], 0
	s_mov_b64 s[50:51], 0
                                        ; implicit-def: $vgpr2
	s_and_saveexec_b64 s[54:55], s[2:3]
; %bb.33:                               ;   in Loop: Header=BB17_31 Depth=2
	v_add_u32_e32 v2, s39, v4
	s_mov_b64 s[50:51], exec
	v_mad_u64_u32 v[2:3], s[64:65], v2, s56, v[0:1]
; %bb.34:                               ;   in Loop: Header=BB17_31 Depth=2
	s_or_b64 exec, exec, s[54:55]
	s_mov_b32 s54, 0
	s_and_b64 vcc, exec, s[52:53]
	s_cbranch_vccnz .LBB17_37
.LBB17_35:                              ;   in Loop: Header=BB17_31 Depth=2
	v_mov_b32_e32 v3, s54
	s_and_saveexec_b64 s[52:53], s[50:51]
	s_cbranch_execz .LBB17_30
	s_branch .LBB17_40
.LBB17_36:                              ;   in Loop: Header=BB17_31 Depth=2
	s_mov_b64 s[50:51], 0
                                        ; implicit-def: $vgpr2
                                        ; implicit-def: $sgpr54
	s_cbranch_execz .LBB17_35
.LBB17_37:                              ;   in Loop: Header=BB17_31 Depth=2
                                        ; implicit-def: $vgpr2
	s_and_saveexec_b64 s[52:53], s[2:3]
; %bb.38:                               ;   in Loop: Header=BB17_31 Depth=2
	v_add_u32_e32 v2, v18, v4
	s_or_b64 s[50:51], s[50:51], exec
; %bb.39:                               ;   in Loop: Header=BB17_31 Depth=2
	s_or_b64 exec, exec, s[52:53]
	s_mov_b32 s54, 0
	v_mov_b32_e32 v3, s54
	s_and_saveexec_b64 s[52:53], s[50:51]
	s_cbranch_execz .LBB17_30
.LBB17_40:                              ;   in Loop: Header=BB17_31 Depth=2
	v_ashrrev_i32_e32 v3, 31, v2
	v_lshlrev_b64 v[2:3], 2, v[2:3]
	v_mov_b32_e32 v28, s29
	v_add_co_u32_e32 v2, vcc, s28, v2
	v_addc_co_u32_e32 v3, vcc, v28, v3, vcc
	global_load_dword v3, v[2:3], off
	s_branch .LBB17_30
.LBB17_41:                              ;   in Loop: Header=BB17_26 Depth=1
                                        ; implicit-def: $sgpr38
                                        ; implicit-def: $vgpr18
	s_cbranch_execz .LBB17_26
	s_branch .LBB17_232
.LBB17_42:                              ;   in Loop: Header=BB17_26 Depth=1
	s_or_b64 exec, exec, s[48:49]
.LBB17_43:                              ;   in Loop: Header=BB17_26 Depth=1
	s_or_b64 exec, exec, s[46:47]
	s_and_b64 exec, exec, s[8:9]
	s_cbranch_execz .LBB17_86
; %bb.44:                               ;   in Loop: Header=BB17_26 Depth=1
	v_lshl_add_u32 v5, v4, 2, v19
	s_mov_b64 s[46:47], 0
	s_branch .LBB17_46
.LBB17_45:                              ;   in Loop: Header=BB17_46 Depth=2
	s_or_b64 exec, exec, s[50:51]
	v_add_u32_e32 v4, 16, v4
	v_cmp_le_i32_e32 vcc, s56, v4
	s_waitcnt vmcnt(0)
	ds_write_b32 v5, v3 offset:1136
	ds_write_b32 v5, v26 offset:48
	s_or_b64 s[46:47], vcc, s[46:47]
	v_add_u32_e32 v5, 64, v5
	s_andn2_b64 exec, exec, s[46:47]
	s_cbranch_execz .LBB17_86
.LBB17_46:                              ;   Parent Loop BB17_26 Depth=1
                                        ; =>  This Inner Loop Header: Depth=2
	s_and_b64 vcc, exec, s[30:31]
	s_cbranch_vccz .LBB17_69
; %bb.47:                               ;   in Loop: Header=BB17_46 Depth=2
	s_mov_b64 s[50:51], 0
	s_mov_b64 s[48:49], 0
                                        ; implicit-def: $vgpr2
	s_and_saveexec_b64 s[52:53], s[2:3]
	s_xor_b64 s[52:53], exec, s[52:53]
; %bb.48:                               ;   in Loop: Header=BB17_46 Depth=2
	v_add_u32_e32 v2, s39, v4
	s_mov_b64 s[48:49], exec
	v_mad_u64_u32 v[2:3], s[54:55], v2, s56, v[0:1]
; %bb.49:                               ;   in Loop: Header=BB17_46 Depth=2
	s_or_b64 exec, exec, s[52:53]
	s_mov_b32 s52, 0
	s_and_b64 vcc, exec, s[50:51]
	s_cbranch_vccnz .LBB17_70
.LBB17_50:                              ;   in Loop: Header=BB17_46 Depth=2
	v_mov_b32_e32 v3, s52
	s_and_saveexec_b64 s[50:51], s[48:49]
	s_cbranch_execz .LBB17_52
.LBB17_51:                              ;   in Loop: Header=BB17_46 Depth=2
	v_ashrrev_i32_e32 v3, 31, v2
	v_lshlrev_b64 v[2:3], 2, v[2:3]
	v_mov_b32_e32 v27, s29
	v_add_co_u32_e32 v2, vcc, s28, v2
	v_addc_co_u32_e32 v3, vcc, v27, v3, vcc
	global_load_dword v3, v[2:3], off
.LBB17_52:                              ;   in Loop: Header=BB17_46 Depth=2
	s_or_b64 exec, exec, s[50:51]
	s_and_b64 vcc, exec, s[12:13]
	s_waitcnt vmcnt(0)
	ds_write_b32 v5, v3 offset:1088
	ds_write_b32 v5, v26
	s_cbranch_vccnz .LBB17_73
; %bb.53:                               ;   in Loop: Header=BB17_46 Depth=2
	s_mov_b64 s[50:51], 0
	s_mov_b64 s[48:49], 0
                                        ; implicit-def: $vgpr2
	s_and_saveexec_b64 s[52:53], s[2:3]
; %bb.54:                               ;   in Loop: Header=BB17_46 Depth=2
	v_add3_u32 v2, v4, s39, 4
	s_mov_b64 s[48:49], exec
	v_mad_u64_u32 v[2:3], s[54:55], v2, s56, v[0:1]
; %bb.55:                               ;   in Loop: Header=BB17_46 Depth=2
	s_or_b64 exec, exec, s[52:53]
	s_mov_b32 s52, 0
	s_and_b64 vcc, exec, s[50:51]
	s_cbranch_vccnz .LBB17_74
.LBB17_56:                              ;   in Loop: Header=BB17_46 Depth=2
	v_mov_b32_e32 v3, s52
	s_and_saveexec_b64 s[50:51], s[48:49]
	s_cbranch_execz .LBB17_58
.LBB17_57:                              ;   in Loop: Header=BB17_46 Depth=2
	v_ashrrev_i32_e32 v3, 31, v2
	v_lshlrev_b64 v[2:3], 2, v[2:3]
	v_mov_b32_e32 v27, s29
	v_add_co_u32_e32 v2, vcc, s28, v2
	v_addc_co_u32_e32 v3, vcc, v27, v3, vcc
	global_load_dword v3, v[2:3], off
.LBB17_58:                              ;   in Loop: Header=BB17_46 Depth=2
	s_or_b64 exec, exec, s[50:51]
	s_and_b64 vcc, exec, s[12:13]
	s_waitcnt vmcnt(0)
	ds_write_b32 v5, v3 offset:1104
	ds_write_b32 v5, v26 offset:16
	s_cbranch_vccnz .LBB17_77
; %bb.59:                               ;   in Loop: Header=BB17_46 Depth=2
	s_mov_b64 s[50:51], 0
	s_mov_b64 s[48:49], 0
                                        ; implicit-def: $vgpr2
	s_and_saveexec_b64 s[52:53], s[2:3]
; %bb.60:                               ;   in Loop: Header=BB17_46 Depth=2
	v_add3_u32 v2, v4, s39, 8
	s_mov_b64 s[48:49], exec
	v_mad_u64_u32 v[2:3], s[54:55], v2, s56, v[0:1]
; %bb.61:                               ;   in Loop: Header=BB17_46 Depth=2
	s_or_b64 exec, exec, s[52:53]
	s_mov_b32 s52, 0
	s_and_b64 vcc, exec, s[50:51]
	s_cbranch_vccnz .LBB17_78
.LBB17_62:                              ;   in Loop: Header=BB17_46 Depth=2
	v_mov_b32_e32 v3, s52
	s_and_saveexec_b64 s[50:51], s[48:49]
	s_cbranch_execz .LBB17_64
.LBB17_63:                              ;   in Loop: Header=BB17_46 Depth=2
	v_ashrrev_i32_e32 v3, 31, v2
	v_lshlrev_b64 v[2:3], 2, v[2:3]
	v_mov_b32_e32 v27, s29
	v_add_co_u32_e32 v2, vcc, s28, v2
	v_addc_co_u32_e32 v3, vcc, v27, v3, vcc
	global_load_dword v3, v[2:3], off
.LBB17_64:                              ;   in Loop: Header=BB17_46 Depth=2
	s_or_b64 exec, exec, s[50:51]
	s_and_b64 vcc, exec, s[12:13]
	s_waitcnt vmcnt(0)
	ds_write_b32 v5, v3 offset:1120
	ds_write_b32 v5, v26 offset:32
	s_cbranch_vccnz .LBB17_81
; %bb.65:                               ;   in Loop: Header=BB17_46 Depth=2
	s_mov_b64 s[50:51], 0
	s_mov_b64 s[48:49], 0
                                        ; implicit-def: $vgpr2
	s_and_saveexec_b64 s[52:53], s[2:3]
; %bb.66:                               ;   in Loop: Header=BB17_46 Depth=2
	v_add3_u32 v2, v4, s39, 12
	s_mov_b64 s[48:49], exec
	v_mad_u64_u32 v[2:3], s[54:55], v2, s56, v[0:1]
; %bb.67:                               ;   in Loop: Header=BB17_46 Depth=2
	s_or_b64 exec, exec, s[52:53]
	s_mov_b32 s52, 0
	s_and_b64 vcc, exec, s[50:51]
	s_cbranch_vccnz .LBB17_82
.LBB17_68:                              ;   in Loop: Header=BB17_46 Depth=2
	v_mov_b32_e32 v3, s52
	s_and_saveexec_b64 s[50:51], s[48:49]
	s_cbranch_execz .LBB17_45
	s_branch .LBB17_85
.LBB17_69:                              ;   in Loop: Header=BB17_46 Depth=2
	s_mov_b64 s[48:49], 0
                                        ; implicit-def: $vgpr2
                                        ; implicit-def: $sgpr52
	s_cbranch_execz .LBB17_50
.LBB17_70:                              ;   in Loop: Header=BB17_46 Depth=2
                                        ; implicit-def: $vgpr2
	s_and_saveexec_b64 s[50:51], s[2:3]
; %bb.71:                               ;   in Loop: Header=BB17_46 Depth=2
	v_add_u32_e32 v2, v18, v4
	s_or_b64 s[48:49], s[48:49], exec
; %bb.72:                               ;   in Loop: Header=BB17_46 Depth=2
	s_or_b64 exec, exec, s[50:51]
	s_mov_b32 s52, 0
	v_mov_b32_e32 v3, s52
	s_and_saveexec_b64 s[50:51], s[48:49]
	s_cbranch_execnz .LBB17_51
	s_branch .LBB17_52
.LBB17_73:                              ;   in Loop: Header=BB17_46 Depth=2
	s_mov_b64 s[48:49], 0
                                        ; implicit-def: $vgpr2
                                        ; implicit-def: $sgpr52
	s_cbranch_execz .LBB17_56
.LBB17_74:                              ;   in Loop: Header=BB17_46 Depth=2
                                        ; implicit-def: $vgpr2
	s_and_saveexec_b64 s[50:51], s[2:3]
; %bb.75:                               ;   in Loop: Header=BB17_46 Depth=2
	v_add3_u32 v2, v18, v4, 4
	s_or_b64 s[48:49], s[48:49], exec
; %bb.76:                               ;   in Loop: Header=BB17_46 Depth=2
	s_or_b64 exec, exec, s[50:51]
	s_mov_b32 s52, 0
	v_mov_b32_e32 v3, s52
	s_and_saveexec_b64 s[50:51], s[48:49]
	s_cbranch_execnz .LBB17_57
	s_branch .LBB17_58
.LBB17_77:                              ;   in Loop: Header=BB17_46 Depth=2
	s_mov_b64 s[48:49], 0
                                        ; implicit-def: $vgpr2
                                        ; implicit-def: $sgpr52
	s_cbranch_execz .LBB17_62
.LBB17_78:                              ;   in Loop: Header=BB17_46 Depth=2
                                        ; implicit-def: $vgpr2
	s_and_saveexec_b64 s[50:51], s[2:3]
; %bb.79:                               ;   in Loop: Header=BB17_46 Depth=2
	v_add3_u32 v2, v18, v4, 8
	s_or_b64 s[48:49], s[48:49], exec
; %bb.80:                               ;   in Loop: Header=BB17_46 Depth=2
	s_or_b64 exec, exec, s[50:51]
	s_mov_b32 s52, 0
	v_mov_b32_e32 v3, s52
	s_and_saveexec_b64 s[50:51], s[48:49]
	s_cbranch_execnz .LBB17_63
	s_branch .LBB17_64
.LBB17_81:                              ;   in Loop: Header=BB17_46 Depth=2
	s_mov_b64 s[48:49], 0
                                        ; implicit-def: $vgpr2
                                        ; implicit-def: $sgpr52
	s_cbranch_execz .LBB17_68
.LBB17_82:                              ;   in Loop: Header=BB17_46 Depth=2
                                        ; implicit-def: $vgpr2
	s_and_saveexec_b64 s[50:51], s[2:3]
; %bb.83:                               ;   in Loop: Header=BB17_46 Depth=2
	v_add3_u32 v2, v18, v4, 12
	s_or_b64 s[48:49], s[48:49], exec
; %bb.84:                               ;   in Loop: Header=BB17_46 Depth=2
	s_or_b64 exec, exec, s[50:51]
	s_mov_b32 s52, 0
	v_mov_b32_e32 v3, s52
	s_and_saveexec_b64 s[50:51], s[48:49]
	s_cbranch_execz .LBB17_45
.LBB17_85:                              ;   in Loop: Header=BB17_46 Depth=2
	v_ashrrev_i32_e32 v3, 31, v2
	v_lshlrev_b64 v[2:3], 2, v[2:3]
	v_mov_b32_e32 v27, s29
	v_add_co_u32_e32 v2, vcc, s28, v2
	v_addc_co_u32_e32 v3, vcc, v27, v3, vcc
	global_load_dword v3, v[2:3], off
	s_branch .LBB17_45
.LBB17_86:                              ;   in Loop: Header=BB17_26 Depth=1
	s_or_b64 exec, exec, s[44:45]
	ds_read_b32 v2, v26 offset:5376
	s_waitcnt lgkmcnt(0)
	s_sub_i32 s44, s63, s21
	s_cmp_le_i32 s44, s43
	s_cselect_b64 s[46:47], -1, 0
	s_mov_b32 s52, 0
	v_cmp_ge_i32_e32 vcc, s42, v2
	s_and_b64 s[46:47], s[46:47], vcc
	s_andn2_b64 vcc, exec, s[46:47]
	s_cbranch_vccnz .LBB17_98
; %bb.87:                               ;   in Loop: Header=BB17_26 Depth=1
	s_mov_b32 s48, 0
	s_mov_b32 s49, 0
.LBB17_88:                              ;   Parent Loop BB17_26 Depth=1
                                        ; =>  This Inner Loop Header: Depth=2
	s_ashr_i32 s45, s44, 31
	s_lshl_b64 s[46:47], s[44:45], 2
	s_add_u32 s46, s26, s46
	s_addc_u32 s47, s27, s47
	s_load_dword s45, s[46:47], 0x0
	s_lshl_b32 s46, s49, 2
	v_mov_b32_e32 v2, s46
	ds_read_b32 v2, v2 offset:5376
	s_mov_b64 s[46:47], -1
	s_waitcnt lgkmcnt(0)
	s_sub_i32 s53, s45, s21
                                        ; implicit-def: $sgpr52
                                        ; implicit-def: $sgpr51
                                        ; implicit-def: $sgpr50
	v_cmp_ge_i32_e32 vcc, s53, v2
	v_readfirstlane_b32 s45, v2
	s_cbranch_vccz .LBB17_94
; %bb.89:                               ;   in Loop: Header=BB17_88 Depth=2
	s_cmp_le_i32 s53, s45
                                        ; implicit-def: $sgpr52
                                        ; implicit-def: $sgpr51
                                        ; implicit-def: $sgpr50
	s_cbranch_scc0 .LBB17_91
; %bb.90:                               ;   in Loop: Header=BB17_88 Depth=2
	s_add_i32 s46, s49, s57
	s_mul_i32 s46, s46, s59
	s_lshl_b32 s47, s48, 2
	v_mov_b32_e32 v3, s46
	s_mul_i32 s46, s44, s59
	v_mov_b32_e32 v2, s47
	v_mov_b32_e32 v4, s46
	ds_write2st64_b32 v2, v4, v3 offset0:17 offset1:19
	s_add_i32 s50, s49, 1
	s_add_i32 s51, s44, 1
	s_add_i32 s52, s48, 1
	s_mov_b64 s[46:47], 0
.LBB17_91:                              ;   in Loop: Header=BB17_88 Depth=2
	s_andn2_b64 vcc, exec, s[46:47]
	s_cbranch_vccnz .LBB17_93
; %bb.92:                               ;   in Loop: Header=BB17_88 Depth=2
	s_add_i32 s50, s49, 1
	s_mov_b32 s52, s48
	s_mov_b32 s51, s44
.LBB17_93:                              ;   in Loop: Header=BB17_88 Depth=2
	s_mov_b64 s[46:47], 0
.LBB17_94:                              ;   in Loop: Header=BB17_88 Depth=2
	s_andn2_b64 vcc, exec, s[46:47]
	s_cbranch_vccnz .LBB17_96
; %bb.95:                               ;   in Loop: Header=BB17_88 Depth=2
	s_add_i32 s51, s44, 1
	s_mov_b32 s50, s49
	s_mov_b32 s52, s48
.LBB17_96:                              ;   in Loop: Header=BB17_88 Depth=2
	s_cmp_le_i32 s51, s43
	s_cselect_b64 s[46:47], -1, 0
	s_cmp_le_i32 s45, s42
	s_cselect_b64 s[44:45], -1, 0
	s_and_b64 s[44:45], s[46:47], s[44:45]
	s_and_b64 vcc, exec, s[44:45]
	s_cbranch_vccz .LBB17_98
; %bb.97:                               ;   in Loop: Header=BB17_88 Depth=2
	s_mov_b32 s48, s52
	s_mov_b32 s44, s51
	;; [unrolled: 1-line block ×3, first 2 shown]
	s_branch .LBB17_88
.LBB17_98:                              ;   in Loop: Header=BB17_26 Depth=1
	s_add_u32 s40, s18, s40
	s_addc_u32 s41, s19, s41
	s_waitcnt lgkmcnt(0)
.LBB17_99:                              ;   Parent Loop BB17_26 Depth=1
                                        ; =>  This Inner Loop Header: Depth=2
	global_load_dword v2, v26, s[40:41] glc
	s_waitcnt vmcnt(0)
	v_cmp_eq_u32_e32 vcc, 0, v2
	s_cbranch_vccnz .LBB17_99
; %bb.100:                              ;   in Loop: Header=BB17_26 Depth=1
	buffer_wbinvl1_vol
	s_and_saveexec_b64 s[40:41], s[0:1]
	s_cbranch_execz .LBB17_158
; %bb.101:                              ;   in Loop: Header=BB17_26 Depth=1
	s_mul_i32 s53, s43, s56
	v_add_u32_e32 v2, s53, v0
	v_mul_lo_u32 v4, v2, s56
	v_mov_b32_e32 v5, v14
	s_and_saveexec_b64 s[42:43], s[6:7]
	s_cbranch_execz .LBB17_115
; %bb.102:                              ;   in Loop: Header=BB17_26 Depth=1
	s_mov_b64 s[44:45], 0
	v_mov_b32_e32 v27, v17
	v_mov_b32_e32 v28, v13
	;; [unrolled: 1-line block ×3, first 2 shown]
	s_branch .LBB17_104
.LBB17_103:                             ;   in Loop: Header=BB17_104 Depth=2
	s_or_b64 exec, exec, s[48:49]
	v_add_u32_e32 v27, -4, v27
	v_cmp_eq_u32_e32 vcc, 0, v27
	s_waitcnt vmcnt(0)
	ds_write_b32 v28, v3
	v_add_u32_e32 v5, 4, v5
	s_or_b64 s[44:45], vcc, s[44:45]
	v_add_u32_e32 v28, 16, v28
	s_andn2_b64 exec, exec, s[44:45]
	s_cbranch_execz .LBB17_114
.LBB17_104:                             ;   Parent Loop BB17_26 Depth=1
                                        ; =>  This Inner Loop Header: Depth=2
	s_and_b64 vcc, exec, s[12:13]
	s_cbranch_vccnz .LBB17_109
; %bb.105:                              ;   in Loop: Header=BB17_104 Depth=2
	s_mov_b64 s[48:49], 0
	s_mov_b64 s[46:47], 0
                                        ; implicit-def: $vgpr2
	s_and_saveexec_b64 s[50:51], s[2:3]
; %bb.106:                              ;   in Loop: Header=BB17_104 Depth=2
	v_add_u32_e32 v2, s53, v5
	s_mov_b64 s[46:47], exec
	v_mad_u64_u32 v[2:3], s[54:55], v2, s56, v[0:1]
; %bb.107:                              ;   in Loop: Header=BB17_104 Depth=2
	s_or_b64 exec, exec, s[50:51]
	s_mov_b32 s50, 0
	s_and_b64 vcc, exec, s[48:49]
	s_cbranch_vccnz .LBB17_110
.LBB17_108:                             ;   in Loop: Header=BB17_104 Depth=2
	v_mov_b32_e32 v3, s50
	s_and_saveexec_b64 s[48:49], s[46:47]
	s_cbranch_execz .LBB17_103
	s_branch .LBB17_113
.LBB17_109:                             ;   in Loop: Header=BB17_104 Depth=2
	s_mov_b64 s[46:47], 0
                                        ; implicit-def: $vgpr2
                                        ; implicit-def: $sgpr50
	s_cbranch_execz .LBB17_108
.LBB17_110:                             ;   in Loop: Header=BB17_104 Depth=2
                                        ; implicit-def: $vgpr2
	s_and_saveexec_b64 s[48:49], s[2:3]
; %bb.111:                              ;   in Loop: Header=BB17_104 Depth=2
	v_add_u32_e32 v2, v4, v5
	s_or_b64 s[46:47], s[46:47], exec
; %bb.112:                              ;   in Loop: Header=BB17_104 Depth=2
	s_or_b64 exec, exec, s[48:49]
	s_mov_b32 s50, 0
	v_mov_b32_e32 v3, s50
	s_and_saveexec_b64 s[48:49], s[46:47]
	s_cbranch_execz .LBB17_103
.LBB17_113:                             ;   in Loop: Header=BB17_104 Depth=2
	v_ashrrev_i32_e32 v3, 31, v2
	v_lshlrev_b64 v[2:3], 2, v[2:3]
	v_mov_b32_e32 v29, s29
	v_add_co_u32_e32 v2, vcc, s28, v2
	v_addc_co_u32_e32 v3, vcc, v29, v3, vcc
	global_load_dword v3, v[2:3], off
	s_branch .LBB17_103
.LBB17_114:                             ;   in Loop: Header=BB17_26 Depth=1
	s_or_b64 exec, exec, s[44:45]
.LBB17_115:                             ;   in Loop: Header=BB17_26 Depth=1
	s_or_b64 exec, exec, s[42:43]
	s_and_b64 exec, exec, s[8:9]
	s_cbranch_execz .LBB17_158
; %bb.116:                              ;   in Loop: Header=BB17_26 Depth=1
	v_lshl_add_u32 v27, v5, 2, v12
	s_mov_b64 s[42:43], 0
	s_branch .LBB17_118
.LBB17_117:                             ;   in Loop: Header=BB17_118 Depth=2
	s_or_b64 exec, exec, s[46:47]
	v_add_u32_e32 v5, 16, v5
	v_cmp_le_i32_e32 vcc, s56, v5
	s_waitcnt vmcnt(0)
	ds_write_b32 v27, v3 offset:48
	s_or_b64 s[42:43], vcc, s[42:43]
	v_add_u32_e32 v27, 64, v27
	s_andn2_b64 exec, exec, s[42:43]
	s_cbranch_execz .LBB17_158
.LBB17_118:                             ;   Parent Loop BB17_26 Depth=1
                                        ; =>  This Inner Loop Header: Depth=2
	s_and_b64 vcc, exec, s[30:31]
	s_cbranch_vccz .LBB17_138
; %bb.119:                              ;   in Loop: Header=BB17_118 Depth=2
	s_mov_b64 s[46:47], 0
	s_mov_b64 s[44:45], 0
                                        ; implicit-def: $vgpr2
	s_and_saveexec_b64 s[48:49], s[2:3]
	s_xor_b64 s[48:49], exec, s[48:49]
; %bb.120:                              ;   in Loop: Header=BB17_118 Depth=2
	v_add_u32_e32 v2, s53, v5
	s_mov_b64 s[44:45], exec
	v_mad_u64_u32 v[2:3], s[50:51], v2, s56, v[0:1]
; %bb.121:                              ;   in Loop: Header=BB17_118 Depth=2
	s_or_b64 exec, exec, s[48:49]
	s_mov_b32 s48, 0
	s_and_b64 vcc, exec, s[46:47]
	s_cbranch_vccnz .LBB17_139
.LBB17_122:                             ;   in Loop: Header=BB17_118 Depth=2
	v_mov_b32_e32 v3, s48
	s_and_saveexec_b64 s[46:47], s[44:45]
	s_cbranch_execnz .LBB17_142
.LBB17_123:                             ;   in Loop: Header=BB17_118 Depth=2
	s_or_b64 exec, exec, s[46:47]
	s_and_b64 vcc, exec, s[12:13]
	ds_write_b32 v27, v3
	s_cbranch_vccnz .LBB17_143
.LBB17_124:                             ;   in Loop: Header=BB17_118 Depth=2
	s_mov_b64 s[46:47], 0
	s_mov_b64 s[44:45], 0
                                        ; implicit-def: $vgpr2
	s_and_saveexec_b64 s[48:49], s[2:3]
; %bb.125:                              ;   in Loop: Header=BB17_118 Depth=2
	v_add3_u32 v2, v5, s53, 4
	s_mov_b64 s[44:45], exec
	v_mad_u64_u32 v[2:3], s[50:51], v2, s56, v[0:1]
; %bb.126:                              ;   in Loop: Header=BB17_118 Depth=2
	s_or_b64 exec, exec, s[48:49]
	s_mov_b32 s48, 0
	s_and_b64 vcc, exec, s[46:47]
	s_cbranch_vccnz .LBB17_144
.LBB17_127:                             ;   in Loop: Header=BB17_118 Depth=2
	v_mov_b32_e32 v3, s48
	s_and_saveexec_b64 s[46:47], s[44:45]
	s_cbranch_execnz .LBB17_147
.LBB17_128:                             ;   in Loop: Header=BB17_118 Depth=2
	s_or_b64 exec, exec, s[46:47]
	s_and_b64 vcc, exec, s[12:13]
	ds_write_b32 v27, v3 offset:16
	s_cbranch_vccnz .LBB17_148
.LBB17_129:                             ;   in Loop: Header=BB17_118 Depth=2
	s_mov_b64 s[46:47], 0
	s_mov_b64 s[44:45], 0
                                        ; implicit-def: $vgpr2
	s_and_saveexec_b64 s[48:49], s[2:3]
; %bb.130:                              ;   in Loop: Header=BB17_118 Depth=2
	v_add3_u32 v2, v5, s53, 8
	s_mov_b64 s[44:45], exec
	v_mad_u64_u32 v[2:3], s[50:51], v2, s56, v[0:1]
; %bb.131:                              ;   in Loop: Header=BB17_118 Depth=2
	s_or_b64 exec, exec, s[48:49]
	s_mov_b32 s48, 0
	s_and_b64 vcc, exec, s[46:47]
	s_cbranch_vccnz .LBB17_149
.LBB17_132:                             ;   in Loop: Header=BB17_118 Depth=2
	v_mov_b32_e32 v3, s48
	s_and_saveexec_b64 s[46:47], s[44:45]
	s_cbranch_execnz .LBB17_152
.LBB17_133:                             ;   in Loop: Header=BB17_118 Depth=2
	s_or_b64 exec, exec, s[46:47]
	s_and_b64 vcc, exec, s[12:13]
	ds_write_b32 v27, v3 offset:32
	s_cbranch_vccnz .LBB17_153
.LBB17_134:                             ;   in Loop: Header=BB17_118 Depth=2
	s_mov_b64 s[46:47], 0
	s_mov_b64 s[44:45], 0
                                        ; implicit-def: $vgpr2
	s_and_saveexec_b64 s[48:49], s[2:3]
; %bb.135:                              ;   in Loop: Header=BB17_118 Depth=2
	v_add3_u32 v2, v5, s53, 12
	s_mov_b64 s[44:45], exec
	v_mad_u64_u32 v[2:3], s[50:51], v2, s56, v[0:1]
; %bb.136:                              ;   in Loop: Header=BB17_118 Depth=2
	s_or_b64 exec, exec, s[48:49]
	s_mov_b32 s48, 0
	s_and_b64 vcc, exec, s[46:47]
	s_cbranch_vccnz .LBB17_154
.LBB17_137:                             ;   in Loop: Header=BB17_118 Depth=2
	v_mov_b32_e32 v3, s48
	s_and_saveexec_b64 s[46:47], s[44:45]
	s_cbranch_execz .LBB17_117
	s_branch .LBB17_157
.LBB17_138:                             ;   in Loop: Header=BB17_118 Depth=2
	s_mov_b64 s[44:45], 0
                                        ; implicit-def: $vgpr2
                                        ; implicit-def: $sgpr48
	s_cbranch_execz .LBB17_122
.LBB17_139:                             ;   in Loop: Header=BB17_118 Depth=2
                                        ; implicit-def: $vgpr2
	s_and_saveexec_b64 s[46:47], s[2:3]
; %bb.140:                              ;   in Loop: Header=BB17_118 Depth=2
	v_add_u32_e32 v2, v4, v5
	s_or_b64 s[44:45], s[44:45], exec
; %bb.141:                              ;   in Loop: Header=BB17_118 Depth=2
	s_or_b64 exec, exec, s[46:47]
	s_mov_b32 s48, 0
	v_mov_b32_e32 v3, s48
	s_and_saveexec_b64 s[46:47], s[44:45]
	s_cbranch_execz .LBB17_123
.LBB17_142:                             ;   in Loop: Header=BB17_118 Depth=2
	v_ashrrev_i32_e32 v3, 31, v2
	v_lshlrev_b64 v[2:3], 2, v[2:3]
	v_mov_b32_e32 v28, s29
	v_add_co_u32_e32 v2, vcc, s28, v2
	v_addc_co_u32_e32 v3, vcc, v28, v3, vcc
	global_load_dword v3, v[2:3], off
	s_or_b64 exec, exec, s[46:47]
	s_and_b64 vcc, exec, s[12:13]
	s_waitcnt vmcnt(0)
	ds_write_b32 v27, v3
	s_cbranch_vccz .LBB17_124
.LBB17_143:                             ;   in Loop: Header=BB17_118 Depth=2
	s_mov_b64 s[44:45], 0
                                        ; implicit-def: $vgpr2
                                        ; implicit-def: $sgpr48
	s_cbranch_execz .LBB17_127
.LBB17_144:                             ;   in Loop: Header=BB17_118 Depth=2
                                        ; implicit-def: $vgpr2
	s_and_saveexec_b64 s[46:47], s[2:3]
; %bb.145:                              ;   in Loop: Header=BB17_118 Depth=2
	v_add3_u32 v2, v4, v5, 4
	s_or_b64 s[44:45], s[44:45], exec
; %bb.146:                              ;   in Loop: Header=BB17_118 Depth=2
	s_or_b64 exec, exec, s[46:47]
	s_mov_b32 s48, 0
	v_mov_b32_e32 v3, s48
	s_and_saveexec_b64 s[46:47], s[44:45]
	s_cbranch_execz .LBB17_128
.LBB17_147:                             ;   in Loop: Header=BB17_118 Depth=2
	v_ashrrev_i32_e32 v3, 31, v2
	v_lshlrev_b64 v[2:3], 2, v[2:3]
	v_mov_b32_e32 v28, s29
	v_add_co_u32_e32 v2, vcc, s28, v2
	v_addc_co_u32_e32 v3, vcc, v28, v3, vcc
	global_load_dword v3, v[2:3], off
	s_or_b64 exec, exec, s[46:47]
	s_and_b64 vcc, exec, s[12:13]
	s_waitcnt vmcnt(0)
	ds_write_b32 v27, v3 offset:16
	s_cbranch_vccz .LBB17_129
.LBB17_148:                             ;   in Loop: Header=BB17_118 Depth=2
	s_mov_b64 s[44:45], 0
                                        ; implicit-def: $vgpr2
                                        ; implicit-def: $sgpr48
	s_cbranch_execz .LBB17_132
.LBB17_149:                             ;   in Loop: Header=BB17_118 Depth=2
                                        ; implicit-def: $vgpr2
	s_and_saveexec_b64 s[46:47], s[2:3]
; %bb.150:                              ;   in Loop: Header=BB17_118 Depth=2
	v_add3_u32 v2, v4, v5, 8
	s_or_b64 s[44:45], s[44:45], exec
; %bb.151:                              ;   in Loop: Header=BB17_118 Depth=2
	s_or_b64 exec, exec, s[46:47]
	s_mov_b32 s48, 0
	v_mov_b32_e32 v3, s48
	s_and_saveexec_b64 s[46:47], s[44:45]
	s_cbranch_execz .LBB17_133
.LBB17_152:                             ;   in Loop: Header=BB17_118 Depth=2
	v_ashrrev_i32_e32 v3, 31, v2
	v_lshlrev_b64 v[2:3], 2, v[2:3]
	v_mov_b32_e32 v28, s29
	v_add_co_u32_e32 v2, vcc, s28, v2
	v_addc_co_u32_e32 v3, vcc, v28, v3, vcc
	global_load_dword v3, v[2:3], off
	s_or_b64 exec, exec, s[46:47]
	s_and_b64 vcc, exec, s[12:13]
	s_waitcnt vmcnt(0)
	ds_write_b32 v27, v3 offset:32
	s_cbranch_vccz .LBB17_134
.LBB17_153:                             ;   in Loop: Header=BB17_118 Depth=2
	s_mov_b64 s[44:45], 0
                                        ; implicit-def: $vgpr2
                                        ; implicit-def: $sgpr48
	s_cbranch_execz .LBB17_137
.LBB17_154:                             ;   in Loop: Header=BB17_118 Depth=2
                                        ; implicit-def: $vgpr2
	s_and_saveexec_b64 s[46:47], s[2:3]
; %bb.155:                              ;   in Loop: Header=BB17_118 Depth=2
	v_add3_u32 v2, v4, v5, 12
	s_or_b64 s[44:45], s[44:45], exec
; %bb.156:                              ;   in Loop: Header=BB17_118 Depth=2
	s_or_b64 exec, exec, s[46:47]
	s_mov_b32 s48, 0
	v_mov_b32_e32 v3, s48
	s_and_saveexec_b64 s[46:47], s[44:45]
	s_cbranch_execz .LBB17_117
.LBB17_157:                             ;   in Loop: Header=BB17_118 Depth=2
	v_ashrrev_i32_e32 v3, 31, v2
	v_lshlrev_b64 v[2:3], 2, v[2:3]
	v_mov_b32_e32 v28, s29
	v_add_co_u32_e32 v2, vcc, s28, v2
	v_addc_co_u32_e32 v3, vcc, v28, v3, vcc
	global_load_dword v3, v[2:3], off
	s_branch .LBB17_117
.LBB17_158:                             ;   in Loop: Header=BB17_26 Depth=1
	s_or_b64 exec, exec, s[40:41]
	s_cmp_lt_i32 s52, 2
	s_cbranch_scc1 .LBB17_174
; %bb.159:                              ;   in Loop: Header=BB17_26 Depth=1
	s_add_i32 s46, s52, -2
	s_mov_b32 s47, 0
	s_branch .LBB17_161
.LBB17_160:                             ;   in Loop: Header=BB17_161 Depth=2
	s_or_b64 exec, exec, s[40:41]
	s_add_i32 s40, s47, 1
	s_cmp_eq_u32 s47, s46
	s_mov_b32 s47, s40
	s_cbranch_scc1 .LBB17_174
.LBB17_161:                             ;   Parent Loop BB17_26 Depth=1
                                        ; =>  This Loop Header: Depth=2
                                        ;       Child Loop BB17_164 Depth 3
	s_and_saveexec_b64 s[40:41], s[0:1]
	s_cbranch_execz .LBB17_160
; %bb.162:                              ;   in Loop: Header=BB17_161 Depth=2
	s_lshl_b32 s42, s47, 2
	v_mov_b32_e32 v2, s42
	ds_read2st64_b32 v[2:3], v2 offset0:17 offset1:19
	s_mov_b64 s[42:43], 0
	v_mov_b32_e32 v31, v14
	s_waitcnt lgkmcnt(0)
	v_add_u32_e32 v27, v3, v7
	v_add_u32_e32 v28, v0, v3
	;; [unrolled: 1-line block ×4, first 2 shown]
	s_branch .LBB17_164
.LBB17_163:                             ;   in Loop: Header=BB17_164 Depth=3
	v_lshlrev_b32_e32 v2, 2, v31
	v_mad_u32_u24 v2, v0, s60, v2
	ds_read_b32 v4, v2 offset:1088
	v_add_u32_e32 v31, 4, v31
	v_cmp_le_i32_e32 vcc, s56, v31
	v_add_u32_e32 v29, 4, v29
	s_or_b64 s[42:43], vcc, s[42:43]
	s_waitcnt lgkmcnt(0)
	v_add_f32_e32 v3, v3, v4
	v_add_u32_e32 v30, s61, v30
	ds_write_b32 v2, v3 offset:1088
	s_andn2_b64 exec, exec, s[42:43]
	s_cbranch_execz .LBB17_160
.LBB17_164:                             ;   Parent Loop BB17_26 Depth=1
                                        ;     Parent Loop BB17_161 Depth=2
                                        ; =>    This Inner Loop Header: Depth=3
	s_mov_b32 s48, 0
	v_mov_b32_e32 v32, 0
	v_mov_b32_e32 v2, v29
	;; [unrolled: 1-line block ×3, first 2 shown]
	s_and_b64 vcc, exec, s[30:31]
	s_cbranch_vccz .LBB17_168
.LBB17_165:                             ;   in Loop: Header=BB17_164 Depth=3
	v_ashrrev_i32_e32 v3, 31, v2
	v_lshlrev_b64 v[34:35], 2, v[2:3]
	v_mov_b32_e32 v3, s29
	v_add_co_u32_e32 v34, vcc, s28, v34
	v_addc_co_u32_e32 v35, vcc, v3, v35, vcc
	global_load_dword v3, v[34:35], off
	v_mov_b32_e32 v5, 0
	s_and_saveexec_b64 s[44:45], s[2:3]
	s_cbranch_execz .LBB17_167
; %bb.166:                              ;   in Loop: Header=BB17_164 Depth=3
	v_ashrrev_i32_e32 v5, 31, v4
	v_lshlrev_b64 v[34:35], 2, v[4:5]
	v_mov_b32_e32 v5, s29
	v_add_co_u32_e32 v34, vcc, s28, v34
	v_addc_co_u32_e32 v35, vcc, v5, v35, vcc
	global_load_dword v5, v[34:35], off
.LBB17_167:                             ;   in Loop: Header=BB17_164 Depth=3
	s_or_b64 exec, exec, s[44:45]
	s_waitcnt vmcnt(0)
	v_fma_f32 v3, v3, v5, v32
	s_branch .LBB17_172
.LBB17_168:                             ;   in Loop: Header=BB17_164 Depth=3
                                        ; implicit-def: $vgpr3
	s_cbranch_execz .LBB17_172
; %bb.169:                              ;   in Loop: Header=BB17_164 Depth=3
	v_add_u32_e32 v34, s48, v30
	v_ashrrev_i32_e32 v35, 31, v34
	v_lshlrev_b64 v[34:35], 2, v[34:35]
	v_mov_b32_e32 v3, s29
	v_add_co_u32_e32 v34, vcc, s28, v34
	v_addc_co_u32_e32 v35, vcc, v3, v35, vcc
	global_load_dword v3, v[34:35], off
	v_mov_b32_e32 v5, 0
	s_and_saveexec_b64 s[44:45], s[2:3]
	s_cbranch_execz .LBB17_171
; %bb.170:                              ;   in Loop: Header=BB17_164 Depth=3
	v_add_u32_e32 v34, s48, v27
	v_ashrrev_i32_e32 v35, 31, v34
	v_lshlrev_b64 v[34:35], 2, v[34:35]
	v_mov_b32_e32 v5, s29
	v_add_co_u32_e32 v34, vcc, s28, v34
	v_addc_co_u32_e32 v35, vcc, v5, v35, vcc
	global_load_dword v5, v[34:35], off
.LBB17_171:                             ;   in Loop: Header=BB17_164 Depth=3
	s_or_b64 exec, exec, s[44:45]
	s_waitcnt vmcnt(0)
	v_fmac_f32_e32 v32, v3, v5
	v_mov_b32_e32 v3, v32
.LBB17_172:                             ;   in Loop: Header=BB17_164 Depth=3
	s_add_i32 s48, s48, 1
	v_add_u32_e32 v4, s56, v4
	s_cmp_eq_u32 s56, s48
	v_add_u32_e32 v2, s56, v2
	s_cbranch_scc1 .LBB17_163
; %bb.173:                              ;   in Loop: Header=BB17_164 Depth=3
	v_mov_b32_e32 v32, v3
	s_and_b64 vcc, exec, s[30:31]
	s_cbranch_vccnz .LBB17_165
	s_branch .LBB17_168
.LBB17_174:                             ;   in Loop: Header=BB17_26 Depth=1
	s_andn2_b64 vcc, exec, s[34:35]
	s_waitcnt lgkmcnt(0)
	s_cbranch_vccnz .LBB17_194
; %bb.175:                              ;   in Loop: Header=BB17_26 Depth=1
	s_mov_b32 s48, 0
	s_mov_b32 s49, 0
	s_movk_i32 s50, 0x880
	v_mov_b32_e32 v4, v23
	s_branch .LBB17_177
.LBB17_176:                             ;   in Loop: Header=BB17_177 Depth=2
	s_or_b64 exec, exec, s[40:41]
	s_add_i32 s49, s49, 1
	s_addk_i32 s48, 0x44
	s_add_i32 s50, s50, 4
	s_cmp_eq_u32 s49, s56
	v_add_u32_e32 v4, 4, v4
	s_waitcnt lgkmcnt(0)
	s_cbranch_scc1 .LBB17_194
.LBB17_177:                             ;   Parent Loop BB17_26 Depth=1
                                        ; =>  This Loop Header: Depth=2
                                        ;       Child Loop BB17_183 Depth 3
                                        ;       Child Loop BB17_187 Depth 3
	;; [unrolled: 1-line block ×3, first 2 shown]
	s_lshl_b32 s40, s49, 2
	s_mul_i32 s41, s49, 0x44
	s_add_i32 s41, s40, s41
	v_mov_b32_e32 v2, s41
	ds_read_b32 v5, v2
	v_mov_b32_e32 v2, s40
	v_mad_u32_u24 v3, v0, s60, v2
	ds_read_b32 v2, v3 offset:2176
	s_waitcnt lgkmcnt(1)
	v_cmp_neq_f32_e32 vcc, 0, v5
	s_or_b64 s[40:41], vcc, s[4:5]
	v_cndmask_b32_e32 v5, 1.0, v5, vcc
	s_xor_b64 s[42:43], s[40:41], -1
	s_and_saveexec_b64 s[40:41], s[42:43]
	s_cbranch_execz .LBB17_181
; %bb.178:                              ;   in Loop: Header=BB17_177 Depth=2
	v_mbcnt_lo_u32_b32 v5, exec_lo, 0
	v_mbcnt_hi_u32_b32 v5, exec_hi, v5
	v_cmp_eq_u32_e32 vcc, 0, v5
	s_and_saveexec_b64 s[42:43], vcc
	s_cbranch_execz .LBB17_180
; %bb.179:                              ;   in Loop: Header=BB17_177 Depth=2
	v_mov_b32_e32 v5, s62
	global_atomic_smin v26, v5, s[22:23]
.LBB17_180:                             ;   in Loop: Header=BB17_177 Depth=2
	s_or_b64 exec, exec, s[42:43]
	v_mov_b32_e32 v5, 1.0
.LBB17_181:                             ;   in Loop: Header=BB17_177 Depth=2
	s_or_b64 exec, exec, s[40:41]
	v_lshl_add_u32 v27, s49, 2, v12
	ds_read_b32 v27, v27 offset:1088
	s_cmp_eq_u32 s49, 0
	s_cbranch_scc1 .LBB17_184
; %bb.182:                              ;   in Loop: Header=BB17_177 Depth=2
	s_mov_b32 s40, 0
	v_mov_b32_e32 v28, v21
	s_mov_b32 s41, s48
.LBB17_183:                             ;   Parent Loop BB17_26 Depth=1
                                        ;     Parent Loop BB17_177 Depth=2
                                        ; =>    This Inner Loop Header: Depth=3
	v_mov_b32_e32 v29, s41
	ds_read_b32 v30, v28
	ds_read_b32 v29, v29
	s_add_i32 s40, s40, 1
	s_add_i32 s41, s41, 4
	v_add_u32_e32 v28, 4, v28
	s_cmp_ge_u32 s40, s49
	s_waitcnt lgkmcnt(0)
	v_fmac_f32_e32 v27, v29, v30
	s_cbranch_scc0 .LBB17_183
.LBB17_184:                             ;   in Loop: Header=BB17_177 Depth=2
	s_waitcnt lgkmcnt(0)
	v_sub_f32_e32 v2, v2, v27
	v_div_scale_f32 v27, s[40:41], v5, v5, v2
	v_rcp_f32_e32 v28, v27
	v_div_scale_f32 v29, vcc, v2, v5, v2
	v_add_u32_e32 v3, 0x880, v3
	v_fma_f32 v30, -v27, v28, 1.0
	v_fmac_f32_e32 v28, v30, v28
	v_mul_f32_e32 v30, v29, v28
	v_fma_f32 v31, -v27, v30, v29
	v_fmac_f32_e32 v30, v31, v28
	v_fma_f32 v27, -v27, v30, v29
	v_div_fmas_f32 v27, v27, v28, v30
	v_div_fixup_f32 v2, v27, v5, v2
	ds_write_b32 v3, v2
	s_waitcnt lgkmcnt(0)
	s_and_saveexec_b64 s[40:41], s[0:1]
	s_cbranch_execz .LBB17_176
; %bb.185:                              ;   in Loop: Header=BB17_177 Depth=2
	s_mov_b64 s[44:45], -1
	v_mov_b32_e32 v3, v14
	v_mov_b32_e32 v5, v22
	;; [unrolled: 1-line block ×3, first 2 shown]
	s_and_saveexec_b64 s[42:43], s[36:37]
	s_cbranch_execz .LBB17_191
; %bb.186:                              ;   in Loop: Header=BB17_177 Depth=2
	v_mov_b32_e32 v3, v2
	s_mov_b64 s[44:45], 0
	v_mov_b32_e32 v5, v10
	v_mov_b32_e32 v27, v24
	;; [unrolled: 1-line block ×3, first 2 shown]
.LBB17_187:                             ;   Parent Loop BB17_26 Depth=1
                                        ;     Parent Loop BB17_177 Depth=2
                                        ; =>    This Inner Loop Header: Depth=3
	ds_read2_b32 v[30:31], v28 offset1:68
	ds_read2_b32 v[32:33], v27 offset1:4
	v_add_u32_e32 v5, -2, v5
	v_cmp_eq_u32_e32 vcc, 0, v5
	v_add_u32_e32 v28, 0x220, v28
	s_or_b64 s[44:45], vcc, s[44:45]
	s_waitcnt lgkmcnt(0)
	v_pk_fma_f32 v[30:31], v[2:3], v[30:31], v[32:33]
	ds_write2_b32 v27, v30, v31 offset1:4
	v_add_u32_e32 v27, 32, v27
	s_andn2_b64 exec, exec, s[44:45]
	s_cbranch_execnz .LBB17_187
; %bb.188:                              ;   in Loop: Header=BB17_177 Depth=2
	s_or_b64 exec, exec, s[44:45]
	s_mov_b64 s[44:45], 0
                                        ; implicit-def: $vgpr5
                                        ; implicit-def: $vgpr27
	s_and_saveexec_b64 s[46:47], s[10:11]
	s_xor_b64 s[46:47], exec, s[46:47]
; %bb.189:                              ;   in Loop: Header=BB17_177 Depth=2
	s_mov_b64 s[44:45], exec
	v_mul_lo_u32 v5, v11, s60
	v_lshlrev_b32_e32 v27, 2, v11
; %bb.190:                              ;   in Loop: Header=BB17_177 Depth=2
	s_or_b64 exec, exec, s[46:47]
	s_orn2_b64 s[44:45], s[44:45], exec
	v_mov_b32_e32 v3, v11
.LBB17_191:                             ;   in Loop: Header=BB17_177 Depth=2
	s_or_b64 exec, exec, s[42:43]
	s_and_b64 exec, exec, s[44:45]
	s_cbranch_execz .LBB17_176
; %bb.192:                              ;   in Loop: Header=BB17_177 Depth=2
	v_add_u32_e32 v5, s50, v5
	v_add_u32_e32 v27, v9, v27
	s_mov_b64 s[42:43], 0
.LBB17_193:                             ;   Parent Loop BB17_26 Depth=1
                                        ;     Parent Loop BB17_177 Depth=2
                                        ; =>    This Inner Loop Header: Depth=3
	ds_read_b32 v28, v5
	ds_read_b32 v29, v27
	v_add_u32_e32 v3, 4, v3
	v_cmp_le_i32_e32 vcc, s56, v3
	v_add_u32_e32 v5, 0x110, v5
	s_or_b64 s[42:43], vcc, s[42:43]
	s_waitcnt lgkmcnt(0)
	v_fmac_f32_e32 v29, v2, v28
	ds_write_b32 v27, v29
	v_add_u32_e32 v27, 16, v27
	s_andn2_b64 exec, exec, s[42:43]
	s_cbranch_execnz .LBB17_193
	s_branch .LBB17_176
.LBB17_194:                             ;   in Loop: Header=BB17_26 Depth=1
	s_and_saveexec_b64 s[40:41], s[0:1]
	s_cbranch_execz .LBB17_25
; %bb.195:                              ;   in Loop: Header=BB17_26 Depth=1
	v_mov_b32_e32 v4, v14
	s_and_saveexec_b64 s[42:43], s[6:7]
	s_cbranch_execz .LBB17_205
; %bb.196:                              ;   in Loop: Header=BB17_26 Depth=1
	s_mov_b64 s[44:45], 0
	v_mov_b32_e32 v5, v17
	v_mov_b32_e32 v27, v25
	;; [unrolled: 1-line block ×3, first 2 shown]
	s_branch .LBB17_199
.LBB17_197:                             ;   in Loop: Header=BB17_199 Depth=2
	v_ashrrev_i32_e32 v3, 31, v2
	v_lshlrev_b64 v[2:3], 2, v[2:3]
	v_mov_b32_e32 v29, s29
	v_add_co_u32_e32 v2, vcc, s28, v2
	v_addc_co_u32_e32 v3, vcc, v29, v3, vcc
	s_waitcnt lgkmcnt(0)
	global_store_dword v[2:3], v28, off
.LBB17_198:                             ;   in Loop: Header=BB17_199 Depth=2
	s_or_b64 exec, exec, s[46:47]
	v_add_u32_e32 v5, -4, v5
	v_cmp_eq_u32_e32 vcc, 0, v5
	v_add_u32_e32 v4, 4, v4
	s_or_b64 s[44:45], vcc, s[44:45]
	v_add_u32_e32 v27, 16, v27
	s_andn2_b64 exec, exec, s[44:45]
	s_cbranch_execz .LBB17_204
.LBB17_199:                             ;   Parent Loop BB17_26 Depth=1
                                        ; =>  This Inner Loop Header: Depth=2
	s_and_saveexec_b64 s[46:47], s[2:3]
	s_cbranch_execz .LBB17_198
; %bb.200:                              ;   in Loop: Header=BB17_199 Depth=2
	ds_read_b32 v28, v27
	s_and_b64 vcc, exec, s[12:13]
	s_cbranch_vccnz .LBB17_202
; %bb.201:                              ;   in Loop: Header=BB17_199 Depth=2
	v_add_u32_e32 v2, s39, v4
	v_mad_u64_u32 v[2:3], s[48:49], v2, s56, v[0:1]
	s_cbranch_execnz .LBB17_197
	s_branch .LBB17_203
.LBB17_202:                             ;   in Loop: Header=BB17_199 Depth=2
                                        ; implicit-def: $vgpr2
.LBB17_203:                             ;   in Loop: Header=BB17_199 Depth=2
	v_add_u32_e32 v2, v18, v4
	s_branch .LBB17_197
.LBB17_204:                             ;   in Loop: Header=BB17_26 Depth=1
	s_or_b64 exec, exec, s[44:45]
.LBB17_205:                             ;   in Loop: Header=BB17_26 Depth=1
	s_or_b64 exec, exec, s[42:43]
	s_and_b64 exec, exec, s[8:9]
	s_cbranch_execz .LBB17_25
; %bb.206:                              ;   in Loop: Header=BB17_26 Depth=1
	v_lshl_add_u32 v5, v4, 2, v21
	s_mov_b64 s[42:43], 0
	s_branch .LBB17_209
.LBB17_207:                             ;   in Loop: Header=BB17_209 Depth=2
	v_ashrrev_i32_e32 v3, 31, v2
	v_lshlrev_b64 v[2:3], 2, v[2:3]
	v_mov_b32_e32 v28, s29
	v_add_co_u32_e32 v2, vcc, s28, v2
	v_addc_co_u32_e32 v3, vcc, v28, v3, vcc
	s_waitcnt lgkmcnt(0)
	global_store_dword v[2:3], v27, off
.LBB17_208:                             ;   in Loop: Header=BB17_209 Depth=2
	s_or_b64 exec, exec, s[44:45]
	v_add_u32_e32 v4, 16, v4
	v_cmp_le_i32_e32 vcc, s56, v4
	s_or_b64 s[42:43], vcc, s[42:43]
	v_add_u32_e32 v5, 64, v5
	s_andn2_b64 exec, exec, s[42:43]
	s_cbranch_execz .LBB17_25
.LBB17_209:                             ;   Parent Loop BB17_26 Depth=1
                                        ; =>  This Inner Loop Header: Depth=2
	s_and_saveexec_b64 s[44:45], s[2:3]
	s_cbranch_execnz .LBB17_213
; %bb.210:                              ;   in Loop: Header=BB17_209 Depth=2
	s_or_b64 exec, exec, s[44:45]
	s_and_saveexec_b64 s[44:45], s[2:3]
	s_cbranch_execnz .LBB17_217
.LBB17_211:                             ;   in Loop: Header=BB17_209 Depth=2
	s_or_b64 exec, exec, s[44:45]
	s_and_saveexec_b64 s[44:45], s[2:3]
	s_cbranch_execnz .LBB17_221
.LBB17_212:                             ;   in Loop: Header=BB17_209 Depth=2
	s_or_b64 exec, exec, s[44:45]
	s_and_saveexec_b64 s[44:45], s[2:3]
	s_cbranch_execz .LBB17_208
	s_branch .LBB17_225
.LBB17_213:                             ;   in Loop: Header=BB17_209 Depth=2
	ds_read_b32 v27, v5
	s_and_b64 vcc, exec, s[30:31]
	s_cbranch_vccz .LBB17_227
; %bb.214:                              ;   in Loop: Header=BB17_209 Depth=2
	v_add_u32_e32 v2, s39, v4
	v_mad_u64_u32 v[2:3], s[46:47], v2, s56, v[0:1]
	s_cbranch_execnz .LBB17_216
.LBB17_215:                             ;   in Loop: Header=BB17_209 Depth=2
	v_add_u32_e32 v2, v18, v4
.LBB17_216:                             ;   in Loop: Header=BB17_209 Depth=2
	v_ashrrev_i32_e32 v3, 31, v2
	v_lshlrev_b64 v[2:3], 2, v[2:3]
	v_mov_b32_e32 v28, s29
	v_add_co_u32_e32 v2, vcc, s28, v2
	v_addc_co_u32_e32 v3, vcc, v28, v3, vcc
	s_waitcnt lgkmcnt(0)
	global_store_dword v[2:3], v27, off
	s_or_b64 exec, exec, s[44:45]
	s_and_saveexec_b64 s[44:45], s[2:3]
	s_cbranch_execz .LBB17_211
.LBB17_217:                             ;   in Loop: Header=BB17_209 Depth=2
	ds_read_b32 v27, v5 offset:16
	s_and_b64 vcc, exec, s[12:13]
	s_cbranch_vccnz .LBB17_228
; %bb.218:                              ;   in Loop: Header=BB17_209 Depth=2
	v_add3_u32 v2, v4, s39, 4
	v_mad_u64_u32 v[2:3], s[46:47], v2, s56, v[0:1]
	s_cbranch_execnz .LBB17_220
.LBB17_219:                             ;   in Loop: Header=BB17_209 Depth=2
	v_add3_u32 v2, v18, v4, 4
.LBB17_220:                             ;   in Loop: Header=BB17_209 Depth=2
	v_ashrrev_i32_e32 v3, 31, v2
	v_lshlrev_b64 v[2:3], 2, v[2:3]
	v_mov_b32_e32 v28, s29
	v_add_co_u32_e32 v2, vcc, s28, v2
	v_addc_co_u32_e32 v3, vcc, v28, v3, vcc
	s_waitcnt lgkmcnt(0)
	global_store_dword v[2:3], v27, off
	s_or_b64 exec, exec, s[44:45]
	s_and_saveexec_b64 s[44:45], s[2:3]
	s_cbranch_execz .LBB17_212
.LBB17_221:                             ;   in Loop: Header=BB17_209 Depth=2
	ds_read_b32 v27, v5 offset:32
	s_and_b64 vcc, exec, s[12:13]
	s_cbranch_vccnz .LBB17_229
; %bb.222:                              ;   in Loop: Header=BB17_209 Depth=2
	v_add3_u32 v2, v4, s39, 8
	v_mad_u64_u32 v[2:3], s[46:47], v2, s56, v[0:1]
	s_cbranch_execnz .LBB17_224
.LBB17_223:                             ;   in Loop: Header=BB17_209 Depth=2
	v_add3_u32 v2, v18, v4, 8
.LBB17_224:                             ;   in Loop: Header=BB17_209 Depth=2
	v_ashrrev_i32_e32 v3, 31, v2
	v_lshlrev_b64 v[2:3], 2, v[2:3]
	v_mov_b32_e32 v28, s29
	v_add_co_u32_e32 v2, vcc, s28, v2
	v_addc_co_u32_e32 v3, vcc, v28, v3, vcc
	s_waitcnt lgkmcnt(0)
	global_store_dword v[2:3], v27, off
	s_or_b64 exec, exec, s[44:45]
	s_and_saveexec_b64 s[44:45], s[2:3]
	s_cbranch_execz .LBB17_208
.LBB17_225:                             ;   in Loop: Header=BB17_209 Depth=2
	ds_read_b32 v27, v5 offset:48
	s_and_b64 vcc, exec, s[12:13]
	s_cbranch_vccnz .LBB17_230
; %bb.226:                              ;   in Loop: Header=BB17_209 Depth=2
	v_add3_u32 v2, v4, s39, 12
	v_mad_u64_u32 v[2:3], s[46:47], v2, s56, v[0:1]
	s_cbranch_execnz .LBB17_207
	s_branch .LBB17_231
.LBB17_227:                             ;   in Loop: Header=BB17_209 Depth=2
                                        ; implicit-def: $vgpr2
	s_branch .LBB17_215
.LBB17_228:                             ;   in Loop: Header=BB17_209 Depth=2
                                        ; implicit-def: $vgpr2
	s_branch .LBB17_219
.LBB17_229:                             ;   in Loop: Header=BB17_209 Depth=2
                                        ; implicit-def: $vgpr2
	s_branch .LBB17_223
.LBB17_230:                             ;   in Loop: Header=BB17_209 Depth=2
                                        ; implicit-def: $vgpr2
.LBB17_231:                             ;   in Loop: Header=BB17_209 Depth=2
	v_add3_u32 v2, v18, v4, 12
	s_branch .LBB17_207
.LBB17_232:
	v_cmp_gt_i32_e64 s[0:1], s56, v14
	s_and_saveexec_b64 s[4:5], s[0:1]
	s_cbranch_execz .LBB17_245
; %bb.233:
	s_mul_i32 s24, s33, s56
	v_add_u32_e32 v2, s24, v0
	s_cmp_lg_u32 s58, 0
	v_mul_lo_u32 v4, v2, s56
	v_mul_u32_u24_e32 v2, 0x44, v0
	v_lshlrev_b32_e32 v3, 2, v14
	s_movk_i32 s8, 0x880
	s_cselect_b64 s[6:7], -1, 0
	v_cmp_gt_i32_e64 s[2:3], s56, v0
	v_add3_u32 v5, v2, v3, s8
	s_mov_b64 s[8:9], 0
	v_mov_b32_e32 v7, v14
	s_branch .LBB17_235
.LBB17_234:                             ;   in Loop: Header=BB17_235 Depth=1
	s_or_b64 exec, exec, s[12:13]
	v_add_u32_e32 v7, 4, v7
	v_cmp_le_i32_e32 vcc, s56, v7
	s_waitcnt vmcnt(0)
	ds_write_b32 v5, v3
	s_or_b64 s[8:9], vcc, s[8:9]
	v_add_u32_e32 v5, 16, v5
	s_andn2_b64 exec, exec, s[8:9]
	s_cbranch_execz .LBB17_245
.LBB17_235:                             ; =>This Inner Loop Header: Depth=1
	s_and_b64 vcc, exec, s[6:7]
	s_cbranch_vccz .LBB17_240
; %bb.236:                              ;   in Loop: Header=BB17_235 Depth=1
	s_mov_b64 s[12:13], 0
	s_mov_b64 s[10:11], 0
                                        ; implicit-def: $vgpr2
	s_and_saveexec_b64 s[16:17], s[2:3]
	s_xor_b64 s[16:17], exec, s[16:17]
; %bb.237:                              ;   in Loop: Header=BB17_235 Depth=1
	v_add_u32_e32 v2, s24, v7
	s_mov_b64 s[10:11], exec
	v_mad_u64_u32 v[2:3], s[26:27], v2, s56, v[0:1]
; %bb.238:                              ;   in Loop: Header=BB17_235 Depth=1
	s_or_b64 exec, exec, s[16:17]
	s_mov_b32 s16, 0
	s_and_b64 vcc, exec, s[12:13]
	s_cbranch_vccnz .LBB17_241
.LBB17_239:                             ;   in Loop: Header=BB17_235 Depth=1
	v_mov_b32_e32 v3, s16
	s_and_saveexec_b64 s[12:13], s[10:11]
	s_cbranch_execz .LBB17_234
	s_branch .LBB17_244
.LBB17_240:                             ;   in Loop: Header=BB17_235 Depth=1
	s_mov_b64 s[10:11], 0
                                        ; implicit-def: $vgpr2
                                        ; implicit-def: $sgpr16
	s_cbranch_execz .LBB17_239
.LBB17_241:                             ;   in Loop: Header=BB17_235 Depth=1
                                        ; implicit-def: $vgpr2
	s_and_saveexec_b64 s[12:13], s[2:3]
; %bb.242:                              ;   in Loop: Header=BB17_235 Depth=1
	v_add_u32_e32 v2, v4, v7
	s_or_b64 s[10:11], s[10:11], exec
; %bb.243:                              ;   in Loop: Header=BB17_235 Depth=1
	s_or_b64 exec, exec, s[12:13]
	s_mov_b32 s16, 0
	v_mov_b32_e32 v3, s16
	s_and_saveexec_b64 s[12:13], s[10:11]
	s_cbranch_execz .LBB17_234
.LBB17_244:                             ;   in Loop: Header=BB17_235 Depth=1
	v_ashrrev_i32_e32 v3, 31, v2
	v_lshlrev_b64 v[2:3], 2, v[2:3]
	v_mov_b32_e32 v8, s29
	v_add_co_u32_e32 v2, vcc, s28, v2
	v_addc_co_u32_e32 v3, vcc, v8, v3, vcc
	global_load_dword v3, v[2:3], off
	s_branch .LBB17_234
.LBB17_245:
	s_or_b64 exec, exec, s[4:5]
; %bb.246:
	s_cmp_lt_i32 s56, 1
	s_waitcnt lgkmcnt(0)
	s_cbranch_scc1 .LBB17_271
; %bb.247:
	v_or_b32_e32 v2, v14, v0
	v_cmp_ne_u32_e64 s[2:3], 0, v2
	s_movk_i32 s34, 0x44
	v_mov_b32_e32 v2, 0xcc0
	v_mad_u32_u24 v7, v0, s34, v2
	v_lshrrev_b32_e32 v2, 2, v1
	v_add_u32_e32 v3, 1, v2
	v_add_u32_e32 v2, -1, v2
	v_lshrrev_b32_e32 v9, 1, v2
	s_movk_i32 s4, 0x43
	v_add_u32_e32 v11, 1, v9
	v_cmp_lt_u32_e32 vcc, s4, v1
	v_lshlrev_b32_e32 v9, 2, v1
	s_brev_b32 s4, -4
	v_and_b32_e32 v9, -16, v9
	v_cmp_lt_u32_e64 s[4:5], s4, v1
	v_add_u32_e32 v1, v7, v6
	v_add_u32_e32 v9, v1, v9
	v_cmp_lt_u32_e64 s[6:7], v9, v1
	s_or_b64 s[4:5], s[6:7], s[4:5]
	v_and_b32_e32 v12, 0x7ffffffe, v3
	v_mul_u32_u24_e32 v4, 0x44, v0
	s_movk_i32 s35, 0x880
	s_xor_b64 s[10:11], s[4:5], -1
	v_lshl_add_u32 v9, v12, 2, v14
	v_and_b32_e32 v10, 7, v11
	v_cmp_lt_u32_e64 s[4:5], 13, v2
	v_mov_b32_e32 v2, 0x880
	s_mov_b32 s30, 0
	s_add_i32 s31, s20, s21
	v_add3_u32 v5, v4, v15, s35
	v_add_u32_e32 v8, v7, v15
	v_and_b32_e32 v11, -8, v11
	v_cmp_ne_u32_e64 s[6:7], 0, v10
	v_cmp_ne_u32_e64 s[8:9], v3, v12
	s_and_b64 s[12:13], vcc, s[10:11]
	v_mul_u32_u24_e32 v12, 0x44, v14
	v_mad_u32_u24 v13, v14, s34, v2
	s_mov_b32 s36, 0xf800000
	v_mov_b32_e32 v15, 0x260
	v_mov_b32_e32 v16, 0
	s_movk_i32 s37, 0x110
	v_mul_lo_u32 v17, v9, s34
	v_lshlrev_b32_e32 v18, 2, v9
	s_branch .LBB17_249
.LBB17_248:                             ;   in Loop: Header=BB17_249 Depth=1
	s_or_b64 exec, exec, s[10:11]
	s_add_i32 s30, s30, 1
	s_add_i32 s35, s35, 4
	s_cmp_eq_u32 s30, s56
	v_add_u32_e32 v13, 4, v13
	s_waitcnt lgkmcnt(0)
	s_cbranch_scc1 .LBB17_271
.LBB17_249:                             ; =>This Loop Header: Depth=1
                                        ;     Child Loop BB17_260 Depth 2
                                        ;     Child Loop BB17_264 Depth 2
	;; [unrolled: 1-line block ×3, first 2 shown]
	v_cmp_eq_u32_e32 vcc, s30, v0
	s_and_saveexec_b64 s[16:17], vcc
	s_cbranch_execz .LBB17_251
; %bb.250:                              ;   in Loop: Header=BB17_249 Depth=1
	ds_read_b32 v2, v5
	ds_read_b32 v3, v8
	s_waitcnt lgkmcnt(0)
	v_sub_f32_e32 v2, v2, v3
	v_cmp_gt_f32_e32 vcc, 0, v2
	v_cndmask_b32_e64 v2, v2, -v2, vcc
	v_mul_f32_e32 v3, 0x4f800000, v2
	v_cmp_gt_f32_e32 vcc, s36, v2
	v_cndmask_b32_e32 v2, v2, v3, vcc
	v_sqrt_f32_e32 v3, v2
	v_add_u32_e32 v19, -1, v3
	v_add_u32_e32 v20, 1, v3
	v_fma_f32 v21, -v19, v3, v2
	v_fma_f32 v22, -v20, v3, v2
	v_cmp_ge_f32_e64 s[10:11], 0, v21
	v_cndmask_b32_e64 v3, v3, v19, s[10:11]
	v_cmp_lt_f32_e64 s[10:11], 0, v22
	v_cndmask_b32_e64 v3, v3, v20, s[10:11]
	v_mul_f32_e32 v19, 0x37800000, v3
	v_cndmask_b32_e32 v3, v3, v19, vcc
	v_cmp_class_f32_e32 vcc, v2, v15
	v_cndmask_b32_e32 v2, v3, v2, vcc
	ds_write_b32 v5, v2
.LBB17_251:                             ;   in Loop: Header=BB17_249 Depth=1
	s_or_b64 exec, exec, s[16:17]
	s_lshl_b32 s10, s30, 2
	s_mul_i32 s11, s30, 0x44
	s_add_i32 s11, s11, s10
	v_mov_b32_e32 v2, s11
	s_waitcnt lgkmcnt(0)
	ds_read_b32 v19, v2 offset:2176
	v_mov_b32_e32 v2, s10
	v_mad_u32_u24 v2, v0, s34, v2
	ds_read_b32 v3, v2 offset:2176
	s_waitcnt lgkmcnt(1)
	v_cmp_neq_f32_e32 vcc, 0, v19
	s_or_b64 s[10:11], vcc, s[2:3]
	v_cndmask_b32_e32 v19, 1.0, v19, vcc
	s_xor_b64 s[16:17], s[10:11], -1
	s_and_saveexec_b64 s[10:11], s[16:17]
	s_cbranch_execz .LBB17_255
; %bb.252:                              ;   in Loop: Header=BB17_249 Depth=1
	v_mbcnt_lo_u32_b32 v19, exec_lo, 0
	v_mbcnt_hi_u32_b32 v19, exec_hi, v19
	v_cmp_eq_u32_e32 vcc, 0, v19
	s_and_saveexec_b64 s[16:17], vcc
	s_cbranch_execz .LBB17_254
; %bb.253:                              ;   in Loop: Header=BB17_249 Depth=1
	v_mov_b32_e32 v19, s31
	global_atomic_smin v16, v19, s[22:23]
.LBB17_254:                             ;   in Loop: Header=BB17_249 Depth=1
	s_or_b64 exec, exec, s[16:17]
	v_mov_b32_e32 v19, 1.0
.LBB17_255:                             ;   in Loop: Header=BB17_249 Depth=1
	s_or_b64 exec, exec, s[10:11]
	v_cmp_lt_u32_e32 vcc, s30, v0
	s_and_saveexec_b64 s[10:11], vcc
	s_cbranch_execz .LBB17_248
; %bb.256:                              ;   in Loop: Header=BB17_249 Depth=1
	v_lshl_add_u32 v20, s30, 2, v4
	ds_read_b32 v20, v20 offset:3264
	v_add_u32_e32 v22, 0x880, v2
	s_waitcnt lgkmcnt(0)
	v_sub_f32_e32 v3, v3, v20
	v_div_scale_f32 v20, s[16:17], v19, v19, v3
	v_rcp_f32_e32 v21, v20
	v_div_scale_f32 v2, vcc, v3, v19, v3
	v_fma_f32 v23, -v20, v21, 1.0
	v_fmac_f32_e32 v21, v23, v21
	v_mul_f32_e32 v23, v2, v21
	v_fma_f32 v24, -v20, v23, v2
	v_fmac_f32_e32 v23, v24, v21
	v_fma_f32 v2, -v20, v23, v2
	v_div_fmas_f32 v2, v2, v21, v23
	v_div_fixup_f32 v2, v2, v19, v3
	ds_write_b32 v22, v2
	s_waitcnt lgkmcnt(0)
	s_and_b64 exec, exec, s[0:1]
	s_cbranch_execz .LBB17_248
; %bb.257:                              ;   in Loop: Header=BB17_249 Depth=1
	s_mov_b64 s[24:25], -1
	v_mov_b32_e32 v3, v14
	v_mov_b32_e32 v19, v12
	;; [unrolled: 1-line block ×3, first 2 shown]
	s_and_saveexec_b64 s[16:17], s[12:13]
	s_cbranch_execz .LBB17_268
; %bb.258:                              ;   in Loop: Header=BB17_249 Depth=1
	v_mov_b32_e32 v3, v2
	v_mov_b32_e32 v22, 0
	s_and_saveexec_b64 s[24:25], s[4:5]
	s_cbranch_execz .LBB17_262
; %bb.259:                              ;   in Loop: Header=BB17_249 Depth=1
	s_mov_b32 s38, 0
	s_mov_b64 s[26:27], 0
	v_mov_b32_e32 v19, v11
	v_mov_b32_e32 v20, v1
	;; [unrolled: 1-line block ×3, first 2 shown]
.LBB17_260:                             ;   Parent Loop BB17_249 Depth=1
                                        ; =>  This Inner Loop Header: Depth=2
	ds_read2_b32 v[22:23], v21 offset1:68
	ds_read2_b32 v[24:25], v20 offset1:4
	ds_read2_b32 v[26:27], v20 offset0:8 offset1:12
	ds_read2_b32 v[28:29], v21 offset0:136 offset1:204
	v_add_u32_e32 v34, 0x800, v21
	v_add_u32_e32 v19, -8, v19
	s_waitcnt lgkmcnt(2)
	v_pk_fma_f32 v[22:23], v[2:3], v[22:23], v[24:25]
	s_add_i32 s38, s38, 16
	s_waitcnt lgkmcnt(0)
	v_pk_fma_f32 v[24:25], v[2:3], v[28:29], v[26:27]
	ds_write2_b32 v20, v22, v23 offset1:4
	ds_write2_b32 v20, v24, v25 offset0:8 offset1:12
	v_add_u32_e32 v26, 0x400, v21
	ds_read2_b32 v[22:23], v26 offset0:16 offset1:84
	ds_read2_b32 v[24:25], v20 offset0:16 offset1:20
	;; [unrolled: 1-line block ×6, first 2 shown]
	v_cmp_eq_u32_e32 vcc, 0, v19
	s_waitcnt lgkmcnt(4)
	v_pk_fma_f32 v[22:23], v[2:3], v[22:23], v[24:25]
	ds_write2_b32 v20, v22, v23 offset0:16 offset1:20
	s_waitcnt lgkmcnt(3)
	v_pk_fma_f32 v[22:23], v[2:3], v[26:27], v[28:29]
	ds_write2_b32 v20, v22, v23 offset0:24 offset1:28
	;; [unrolled: 3-line block ×3, first 2 shown]
	ds_read2_b32 v[22:23], v34 offset0:168 offset1:236
	ds_read2_b32 v[24:25], v20 offset0:40 offset1:44
	v_add_u32_e32 v30, 0xc00, v21
	ds_read2_b32 v[26:27], v30 offset0:48 offset1:116
	ds_read2_b32 v[28:29], v20 offset0:48 offset1:52
	;; [unrolled: 1-line block ×4, first 2 shown]
	v_add_u32_e32 v21, 0x1100, v21
	s_or_b64 s[26:27], vcc, s[26:27]
	s_waitcnt lgkmcnt(4)
	v_pk_fma_f32 v[22:23], v[2:3], v[22:23], v[24:25]
	ds_write2_b32 v20, v22, v23 offset0:40 offset1:44
	s_waitcnt lgkmcnt(3)
	v_pk_fma_f32 v[22:23], v[2:3], v[26:27], v[28:29]
	ds_write2_b32 v20, v22, v23 offset0:48 offset1:52
	;; [unrolled: 3-line block ×3, first 2 shown]
	v_add_u32_e32 v20, 0x100, v20
	v_mov_b32_e32 v22, s38
	s_andn2_b64 exec, exec, s[26:27]
	s_cbranch_execnz .LBB17_260
; %bb.261:                              ;   in Loop: Header=BB17_249 Depth=1
	s_or_b64 exec, exec, s[26:27]
.LBB17_262:                             ;   in Loop: Header=BB17_249 Depth=1
	s_or_b64 exec, exec, s[24:25]
	s_and_saveexec_b64 s[24:25], s[6:7]
	s_cbranch_execz .LBB17_265
; %bb.263:                              ;   in Loop: Header=BB17_249 Depth=1
	v_lshl_add_u32 v19, v22, 4, v1
	v_mul_lo_u32 v20, v22, s37
	s_mov_b64 s[26:27], 0
	v_mov_b32_e32 v21, v10
.LBB17_264:                             ;   Parent Loop BB17_249 Depth=1
                                        ; =>  This Inner Loop Header: Depth=2
	v_add_u32_e32 v24, v13, v20
	ds_read2_b32 v[22:23], v19 offset1:4
	ds_read2_b32 v[24:25], v24 offset1:68
	v_add_u32_e32 v21, -1, v21
	v_cmp_eq_u32_e32 vcc, 0, v21
	s_or_b64 s[26:27], vcc, s[26:27]
	v_add_u32_e32 v20, 0x220, v20
	s_waitcnt lgkmcnt(0)
	v_pk_fma_f32 v[22:23], v[2:3], v[24:25], v[22:23]
	ds_write2_b32 v19, v22, v23 offset1:4
	v_add_u32_e32 v19, 32, v19
	s_andn2_b64 exec, exec, s[26:27]
	s_cbranch_execnz .LBB17_264
.LBB17_265:                             ;   in Loop: Header=BB17_249 Depth=1
	s_or_b64 exec, exec, s[24:25]
	s_mov_b64 s[24:25], 0
	s_and_saveexec_b64 s[26:27], s[8:9]
; %bb.266:                              ;   in Loop: Header=BB17_249 Depth=1
	s_mov_b64 s[24:25], exec
; %bb.267:                              ;   in Loop: Header=BB17_249 Depth=1
	s_or_b64 exec, exec, s[26:27]
	s_orn2_b64 s[24:25], s[24:25], exec
	v_mov_b32_e32 v3, v9
	v_mov_b32_e32 v19, v17
	;; [unrolled: 1-line block ×3, first 2 shown]
.LBB17_268:                             ;   in Loop: Header=BB17_249 Depth=1
	s_or_b64 exec, exec, s[16:17]
	s_and_b64 exec, exec, s[24:25]
	s_cbranch_execz .LBB17_248
; %bb.269:                              ;   in Loop: Header=BB17_249 Depth=1
	v_add_u32_e32 v19, s35, v19
	v_add_u32_e32 v20, v7, v20
	s_mov_b64 s[16:17], 0
.LBB17_270:                             ;   Parent Loop BB17_249 Depth=1
                                        ; =>  This Inner Loop Header: Depth=2
	ds_read_b32 v21, v19
	ds_read_b32 v22, v20
	v_add_u32_e32 v3, 4, v3
	v_cmp_le_i32_e32 vcc, s56, v3
	v_add_u32_e32 v19, 0x110, v19
	s_or_b64 s[16:17], vcc, s[16:17]
	s_waitcnt lgkmcnt(0)
	v_fmac_f32_e32 v22, v2, v21
	ds_write_b32 v20, v22
	v_add_u32_e32 v20, 16, v20
	s_andn2_b64 exec, exec, s[16:17]
	s_cbranch_execnz .LBB17_270
	s_branch .LBB17_248
.LBB17_271:
	s_and_saveexec_b64 s[2:3], s[0:1]
	s_cbranch_execz .LBB17_280
; %bb.272:
	s_mul_i32 s33, s33, s56
	s_cmp_lg_u32 s58, 0
	v_add_u32_e32 v1, s33, v0
	v_mul_u32_u24_e32 v2, 0x44, v0
	s_movk_i32 s6, 0x880
	v_cmp_gt_i32_e64 s[0:1], s56, v0
	s_cselect_b64 s[4:5], -1, 0
	v_mul_lo_u32 v1, v1, s56
	v_add3_u32 v4, v2, v6, s6
	s_mov_b64 s[6:7], 0
	v_mov_b32_e32 v5, v14
	s_branch .LBB17_275
.LBB17_273:                             ;   in Loop: Header=BB17_275 Depth=1
	v_ashrrev_i32_e32 v3, 31, v2
	v_lshlrev_b64 v[2:3], 2, v[2:3]
	v_mov_b32_e32 v7, s29
	v_add_co_u32_e32 v2, vcc, s28, v2
	v_addc_co_u32_e32 v3, vcc, v7, v3, vcc
	s_waitcnt lgkmcnt(0)
	global_store_dword v[2:3], v6, off
.LBB17_274:                             ;   in Loop: Header=BB17_275 Depth=1
	s_or_b64 exec, exec, s[8:9]
	v_add_u32_e32 v5, 4, v5
	v_cmp_le_i32_e32 vcc, s56, v5
	s_or_b64 s[6:7], vcc, s[6:7]
	v_add_u32_e32 v4, 16, v4
	s_andn2_b64 exec, exec, s[6:7]
	s_cbranch_execz .LBB17_280
.LBB17_275:                             ; =>This Inner Loop Header: Depth=1
	s_and_saveexec_b64 s[8:9], s[0:1]
	s_cbranch_execz .LBB17_274
; %bb.276:                              ;   in Loop: Header=BB17_275 Depth=1
	ds_read_b32 v6, v4
	s_and_b64 vcc, exec, s[4:5]
	s_cbranch_vccz .LBB17_278
; %bb.277:                              ;   in Loop: Header=BB17_275 Depth=1
	v_add_u32_e32 v2, s33, v5
	v_mad_u64_u32 v[2:3], s[10:11], v2, s56, v[0:1]
	s_cbranch_execnz .LBB17_273
	s_branch .LBB17_279
.LBB17_278:                             ;   in Loop: Header=BB17_275 Depth=1
                                        ; implicit-def: $vgpr2
.LBB17_279:                             ;   in Loop: Header=BB17_275 Depth=1
	v_add_u32_e32 v2, v1, v5
	s_branch .LBB17_273
.LBB17_280:
	s_or_b64 exec, exec, s[2:3]
	v_or_b32_e32 v1, v14, v0
	v_cmp_eq_u32_e64 s[0:1], 0, v1
.LBB17_281:
	s_and_saveexec_b64 s[2:3], s[0:1]
	s_cbranch_execnz .LBB17_289
.LBB17_282:
	s_endpgm
.LBB17_283:
	s_mov_b64 s[0:1], 0
	s_cbranch_execz .LBB17_281
; %bb.284:
	v_or_b32_e32 v0, v14, v0
	v_cmp_eq_u32_e32 vcc, 0, v0
	s_and_saveexec_b64 s[2:3], vcc
	s_cbranch_execz .LBB17_288
; %bb.285:
	v_mbcnt_lo_u32_b32 v0, exec_lo, 0
	v_mbcnt_hi_u32_b32 v0, exec_hi, v0
	v_cmp_eq_u32_e32 vcc, 0, v0
	s_and_saveexec_b64 s[4:5], vcc
	s_cbranch_execz .LBB17_287
; %bb.286:
	s_add_i32 s6, s20, s21
	v_mov_b32_e32 v0, 0
	v_mov_b32_e32 v1, s6
	global_atomic_smin v0, v1, s[22:23]
.LBB17_287:
	s_or_b64 exec, exec, s[4:5]
	s_or_b64 s[0:1], s[0:1], exec
.LBB17_288:
	s_or_b64 exec, exec, s[2:3]
	s_and_saveexec_b64 s[2:3], s[0:1]
	s_cbranch_execz .LBB17_282
.LBB17_289:
	s_add_u32 s0, s18, s14
	s_addc_u32 s1, s19, s15
	v_mov_b32_e32 v0, 0
	v_mov_b32_e32 v1, 1
	s_waitcnt vmcnt(0)
	global_store_dword v0, v1, s[0:1]
	s_endpgm
	.section	.rodata,"a",@progbits
	.p2align	6, 0x0
	.amdhsa_kernel _ZN9rocsparseL18bsric0_9_16_kernelILi64ELi128ELi16EfEEv20rocsparse_direction_iiPKiS3_PT2_S3_PiS3_S6_21rocsparse_index_base_
		.amdhsa_group_segment_fixed_size 5888
		.amdhsa_private_segment_fixed_size 0
		.amdhsa_kernarg_size 76
		.amdhsa_user_sgpr_count 6
		.amdhsa_user_sgpr_private_segment_buffer 1
		.amdhsa_user_sgpr_dispatch_ptr 0
		.amdhsa_user_sgpr_queue_ptr 0
		.amdhsa_user_sgpr_kernarg_segment_ptr 1
		.amdhsa_user_sgpr_dispatch_id 0
		.amdhsa_user_sgpr_flat_scratch_init 0
		.amdhsa_user_sgpr_kernarg_preload_length 0
		.amdhsa_user_sgpr_kernarg_preload_offset 0
		.amdhsa_user_sgpr_private_segment_size 0
		.amdhsa_uses_dynamic_stack 0
		.amdhsa_system_sgpr_private_segment_wavefront_offset 0
		.amdhsa_system_sgpr_workgroup_id_x 1
		.amdhsa_system_sgpr_workgroup_id_y 0
		.amdhsa_system_sgpr_workgroup_id_z 0
		.amdhsa_system_sgpr_workgroup_info 0
		.amdhsa_system_vgpr_workitem_id 1
		.amdhsa_next_free_vgpr 72
		.amdhsa_next_free_sgpr 66
		.amdhsa_accum_offset 72
		.amdhsa_reserve_vcc 1
		.amdhsa_reserve_flat_scratch 0
		.amdhsa_float_round_mode_32 0
		.amdhsa_float_round_mode_16_64 0
		.amdhsa_float_denorm_mode_32 3
		.amdhsa_float_denorm_mode_16_64 3
		.amdhsa_dx10_clamp 1
		.amdhsa_ieee_mode 1
		.amdhsa_fp16_overflow 0
		.amdhsa_tg_split 0
		.amdhsa_exception_fp_ieee_invalid_op 0
		.amdhsa_exception_fp_denorm_src 0
		.amdhsa_exception_fp_ieee_div_zero 0
		.amdhsa_exception_fp_ieee_overflow 0
		.amdhsa_exception_fp_ieee_underflow 0
		.amdhsa_exception_fp_ieee_inexact 0
		.amdhsa_exception_int_div_zero 0
	.end_amdhsa_kernel
	.section	.text._ZN9rocsparseL18bsric0_9_16_kernelILi64ELi128ELi16EfEEv20rocsparse_direction_iiPKiS3_PT2_S3_PiS3_S6_21rocsparse_index_base_,"axG",@progbits,_ZN9rocsparseL18bsric0_9_16_kernelILi64ELi128ELi16EfEEv20rocsparse_direction_iiPKiS3_PT2_S3_PiS3_S6_21rocsparse_index_base_,comdat
.Lfunc_end17:
	.size	_ZN9rocsparseL18bsric0_9_16_kernelILi64ELi128ELi16EfEEv20rocsparse_direction_iiPKiS3_PT2_S3_PiS3_S6_21rocsparse_index_base_, .Lfunc_end17-_ZN9rocsparseL18bsric0_9_16_kernelILi64ELi128ELi16EfEEv20rocsparse_direction_iiPKiS3_PT2_S3_PiS3_S6_21rocsparse_index_base_
                                        ; -- End function
	.section	.AMDGPU.csdata,"",@progbits
; Kernel info:
; codeLenInByte = 8476
; NumSgprs: 70
; NumVgprs: 72
; NumAgprs: 0
; TotalNumVgprs: 72
; ScratchSize: 0
; MemoryBound: 0
; FloatMode: 240
; IeeeMode: 1
; LDSByteSize: 5888 bytes/workgroup (compile time only)
; SGPRBlocks: 8
; VGPRBlocks: 8
; NumSGPRsForWavesPerEU: 70
; NumVGPRsForWavesPerEU: 72
; AccumOffset: 72
; Occupancy: 3
; WaveLimiterHint : 1
; COMPUTE_PGM_RSRC2:SCRATCH_EN: 0
; COMPUTE_PGM_RSRC2:USER_SGPR: 6
; COMPUTE_PGM_RSRC2:TRAP_HANDLER: 0
; COMPUTE_PGM_RSRC2:TGID_X_EN: 1
; COMPUTE_PGM_RSRC2:TGID_Y_EN: 0
; COMPUTE_PGM_RSRC2:TGID_Z_EN: 0
; COMPUTE_PGM_RSRC2:TIDIG_COMP_CNT: 1
; COMPUTE_PGM_RSRC3_GFX90A:ACCUM_OFFSET: 17
; COMPUTE_PGM_RSRC3_GFX90A:TG_SPLIT: 0
	.section	.text._ZN9rocsparseL19bsric0_17_32_kernelILi64ELi128ELi32EfEEv20rocsparse_direction_iiPKiS3_PT2_S3_PiS3_S6_21rocsparse_index_base_,"axG",@progbits,_ZN9rocsparseL19bsric0_17_32_kernelILi64ELi128ELi32EfEEv20rocsparse_direction_iiPKiS3_PT2_S3_PiS3_S6_21rocsparse_index_base_,comdat
	.globl	_ZN9rocsparseL19bsric0_17_32_kernelILi64ELi128ELi32EfEEv20rocsparse_direction_iiPKiS3_PT2_S3_PiS3_S6_21rocsparse_index_base_ ; -- Begin function _ZN9rocsparseL19bsric0_17_32_kernelILi64ELi128ELi32EfEEv20rocsparse_direction_iiPKiS3_PT2_S3_PiS3_S6_21rocsparse_index_base_
	.p2align	8
	.type	_ZN9rocsparseL19bsric0_17_32_kernelILi64ELi128ELi32EfEEv20rocsparse_direction_iiPKiS3_PT2_S3_PiS3_S6_21rocsparse_index_base_,@function
_ZN9rocsparseL19bsric0_17_32_kernelILi64ELi128ELi32EfEEv20rocsparse_direction_iiPKiS3_PT2_S3_PiS3_S6_21rocsparse_index_base_: ; @_ZN9rocsparseL19bsric0_17_32_kernelILi64ELi128ELi32EfEEv20rocsparse_direction_iiPKiS3_PT2_S3_PiS3_S6_21rocsparse_index_base_
; %bb.0:
	s_load_dwordx8 s[16:23], s[4:5], 0x28
	s_mov_b32 s7, 0
	s_lshl_b64 s[0:1], s[6:7], 2
	v_and_b32_e32 v1, 0x3ff, v0
	v_bfe_u32 v0, v0, 10, 10
	s_waitcnt lgkmcnt(0)
	s_add_u32 s0, s20, s0
	s_addc_u32 s1, s21, s1
	s_load_dword s20, s[0:1], 0x0
	s_waitcnt lgkmcnt(0)
	s_ashr_i32 s21, s20, 31
	s_lshl_b64 s[14:15], s[20:21], 2
	s_add_u32 s0, s16, s14
	s_addc_u32 s1, s17, s15
	s_load_dword s33, s[0:1], 0x0
	s_load_dword s21, s[4:5], 0x48
	s_waitcnt lgkmcnt(0)
	s_cmp_lg_u32 s33, -1
	s_cbranch_scc0 .LBB18_223
; %bb.1:
	s_load_dwordx4 s[24:27], s[4:5], 0x10
	v_lshlrev_b32_e32 v3, 1, v0
	v_add_u32_e32 v4, v3, v1
	s_waitcnt lgkmcnt(0)
	s_add_u32 s0, s24, s14
	s_addc_u32 s1, s25, s15
	s_load_dword s28, s[0:1], 0x0
	s_waitcnt lgkmcnt(0)
	s_sub_i32 s59, s28, s21
	v_add_u32_e32 v2, s59, v4
	v_cmp_ge_i32_e32 vcc, s33, v2
	s_and_saveexec_b64 s[2:3], vcc
	s_cbranch_execz .LBB18_16
; %bb.2:
	v_add_u32_e32 v4, s28, v4
	v_subrev_u32_e32 v4, s21, v4
	v_add_u32_e32 v4, 64, v4
	s_add_i32 s0, s33, 1
	v_max_i32_e32 v4, s0, v4
	v_not_b32_e32 v5, v1
	v_add3_u32 v4, v4, s21, v5
	v_add_u32_e32 v3, s28, v3
	v_sub_u32_e32 v3, v4, v3
	s_movk_i32 s0, 0x640
	v_cmp_gt_u32_e32 vcc, s0, v3
	s_movk_i32 s0, 0x63f
	v_cmp_lt_u32_e64 s[0:1], s0, v3
	s_and_saveexec_b64 s[6:7], s[0:1]
	s_cbranch_execz .LBB18_13
; %bb.3:
	v_and_b32_e32 v4, 0xffffffc0, v3
	v_add_u32_e32 v4, v2, v4
	v_cmp_ge_i32_e64 s[0:1], v4, v2
	s_mov_b64 s[10:11], -1
	s_and_saveexec_b64 s[8:9], s[0:1]
	s_cbranch_execz .LBB18_12
; %bb.4:
	v_lshrrev_b32_e32 v14, 6, v3
	v_add_u32_e32 v4, -1, v14
	v_add_u32_e32 v3, 64, v2
	v_lshrrev_b32_e32 v5, 1, v4
	v_add_u32_e32 v15, 1, v5
	v_cmp_lt_u32_e64 s[0:1], 13, v4
	v_pk_mov_b32 v[4:5], v[2:3], v[2:3] op_sel:[0,1]
	s_and_saveexec_b64 s[10:11], s[0:1]
	s_cbranch_execz .LBB18_8
; %bb.5:
	v_and_b32_e32 v16, -8, v15
	s_mov_b64 s[12:13], 0
	v_mov_b32_e32 v17, s27
	v_pk_mov_b32 v[4:5], v[2:3], v[2:3] op_sel:[0,1]
.LBB18_6:                               ; =>This Inner Loop Header: Depth=1
	v_ashrrev_i32_e32 v21, 31, v4
	v_mov_b32_e32 v20, v4
	v_lshlrev_b64 v[20:21], 2, v[20:21]
	v_ashrrev_i32_e32 v19, 31, v5
	v_mov_b32_e32 v18, v5
	v_add_co_u32_e64 v20, s[0:1], s26, v20
	v_add_u32_e32 v6, 0x80, v4
	v_lshlrev_b64 v[18:19], 2, v[18:19]
	v_addc_co_u32_e64 v21, s[0:1], v17, v21, s[0:1]
	v_ashrrev_i32_e32 v7, 31, v6
	v_add_co_u32_e64 v18, s[0:1], s26, v18
	v_add_u32_e32 v8, 0x80, v5
	v_addc_co_u32_e64 v19, s[0:1], v17, v19, s[0:1]
	v_lshlrev_b64 v[42:43], 2, v[6:7]
	v_ashrrev_i32_e32 v9, 31, v8
	global_load_dword v3, v[20:21], off
	global_load_dword v7, v[18:19], off
	v_add_co_u32_e64 v18, s[0:1], s26, v42
	v_add_u32_e32 v10, 0x100, v4
	v_lshlrev_b64 v[44:45], 2, v[8:9]
	v_addc_co_u32_e64 v19, s[0:1], v17, v43, s[0:1]
	v_ashrrev_i32_e32 v11, 31, v10
	v_add_co_u32_e64 v20, s[0:1], s26, v44
	v_add_u32_e32 v12, 0x100, v5
	v_lshlrev_b64 v[46:47], 2, v[10:11]
	v_addc_co_u32_e64 v21, s[0:1], v17, v45, s[0:1]
	v_ashrrev_i32_e32 v13, 31, v12
	;; [unrolled: 5-line block ×12, first 2 shown]
	v_add_co_u32_e64 v62, s[0:1], s26, v66
	v_lshlrev_b64 v[68:69], 2, v[40:41]
	v_addc_co_u32_e64 v63, s[0:1], v17, v67, s[0:1]
	v_add_co_u32_e64 v64, s[0:1], s26, v68
	v_addc_co_u32_e64 v65, s[0:1], v17, v69, s[0:1]
	global_load_dword v9, v[20:21], off
	global_load_dword v11, v[18:19], off
	;; [unrolled: 1-line block ×14, first 2 shown]
	v_subrev_u32_e32 v19, s59, v4
	v_add_u32_e32 v16, -8, v16
	v_subrev_u32_e32 v18, s59, v5
	v_lshlrev_b32_e32 v19, 2, v19
	v_subrev_u32_e32 v6, s59, v6
	v_cmp_eq_u32_e64 s[0:1], 0, v16
	s_waitcnt vmcnt(14)
	v_subrev_u32_e32 v7, s21, v7
	v_subrev_u32_e32 v3, s21, v3
	v_add_u32_e32 v5, 0x400, v5
	v_add_u32_e32 v4, 0x400, v4
	v_lshlrev_b32_e32 v18, 2, v18
	v_subrev_u32_e32 v8, s59, v8
	v_subrev_u32_e32 v12, s59, v12
	;; [unrolled: 1-line block ×13, first 2 shown]
	v_lshlrev_b32_e32 v6, 2, v6
	s_or_b64 s[12:13], s[0:1], s[12:13]
	ds_write_b32 v19, v3 offset:13696
	ds_write_b32 v18, v7 offset:13696
	v_lshlrev_b32_e32 v8, 2, v8
	v_lshlrev_b32_e32 v10, 2, v10
	;; [unrolled: 1-line block ×13, first 2 shown]
	s_waitcnt vmcnt(13)
	v_subrev_u32_e32 v3, s21, v9
	s_waitcnt vmcnt(12)
	v_subrev_u32_e32 v7, s21, v11
	;; [unrolled: 2-line block ×14, first 2 shown]
	ds_write_b32 v6, v7 offset:13696
	ds_write_b32 v8, v3 offset:13696
	;; [unrolled: 1-line block ×14, first 2 shown]
	s_andn2_b64 exec, exec, s[12:13]
	s_cbranch_execnz .LBB18_6
; %bb.7:
	s_or_b64 exec, exec, s[12:13]
.LBB18_8:
	s_or_b64 exec, exec, s[10:11]
	v_and_b32_e32 v3, 7, v15
	v_cmp_ne_u32_e64 s[0:1], 0, v3
	s_and_saveexec_b64 s[10:11], s[0:1]
	s_cbranch_execz .LBB18_11
; %bb.9:
	s_mov_b64 s[12:13], 0
	v_mov_b32_e32 v6, s27
.LBB18_10:                              ; =>This Inner Loop Header: Depth=1
	v_ashrrev_i32_e32 v11, 31, v4
	v_mov_b32_e32 v10, v4
	v_lshlrev_b64 v[10:11], 2, v[10:11]
	v_ashrrev_i32_e32 v9, 31, v5
	v_mov_b32_e32 v8, v5
	v_add_co_u32_e64 v10, s[0:1], s26, v10
	v_lshlrev_b64 v[8:9], 2, v[8:9]
	v_addc_co_u32_e64 v11, s[0:1], v6, v11, s[0:1]
	v_add_co_u32_e64 v8, s[0:1], s26, v8
	v_addc_co_u32_e64 v9, s[0:1], v6, v9, s[0:1]
	global_load_dword v7, v[8:9], off
	global_load_dword v12, v[10:11], off
	v_add_u32_e32 v3, -1, v3
	v_subrev_u32_e32 v9, s59, v4
	v_cmp_eq_u32_e64 s[0:1], 0, v3
	v_subrev_u32_e32 v8, s59, v5
	v_add_u32_e32 v5, 0x80, v5
	v_add_u32_e32 v4, 0x80, v4
	v_lshlrev_b32_e32 v9, 2, v9
	s_or_b64 s[12:13], s[0:1], s[12:13]
	v_lshlrev_b32_e32 v8, 2, v8
	s_waitcnt vmcnt(1)
	v_subrev_u32_e32 v7, s21, v7
	s_waitcnt vmcnt(0)
	v_subrev_u32_e32 v10, s21, v12
	ds_write_b32 v9, v10 offset:13696
	ds_write_b32 v8, v7 offset:13696
	s_andn2_b64 exec, exec, s[12:13]
	s_cbranch_execnz .LBB18_10
.LBB18_11:
	s_or_b64 exec, exec, s[10:11]
	v_add_u32_e32 v3, 1, v14
	v_and_b32_e32 v4, 0x7fffffe, v3
	v_cmp_ne_u32_e64 s[0:1], v3, v4
	v_lshl_add_u32 v2, v4, 6, v2
	s_orn2_b64 s[10:11], s[0:1], exec
.LBB18_12:
	s_or_b64 exec, exec, s[8:9]
	s_andn2_b64 s[0:1], vcc, exec
	s_and_b64 s[8:9], s[10:11], exec
	s_or_b64 vcc, s[0:1], s[8:9]
.LBB18_13:
	s_or_b64 exec, exec, s[6:7]
	s_and_b64 exec, exec, vcc
	s_cbranch_execz .LBB18_16
; %bb.14:
	v_add_u32_e32 v3, s21, v2
	v_subrev_u32_e32 v3, s28, v3
	v_mov_b32_e32 v4, 0x3580
	v_lshl_add_u32 v4, v3, 2, v4
	s_mov_b64 s[0:1], 0
	v_mov_b32_e32 v5, s27
.LBB18_15:                              ; =>This Inner Loop Header: Depth=1
	v_ashrrev_i32_e32 v3, 31, v2
	v_lshlrev_b64 v[6:7], 2, v[2:3]
	v_add_co_u32_e32 v6, vcc, s26, v6
	v_addc_co_u32_e32 v7, vcc, v5, v7, vcc
	global_load_dword v3, v[6:7], off
	v_add_u32_e32 v2, 64, v2
	v_cmp_lt_i32_e32 vcc, s33, v2
	s_or_b64 s[0:1], vcc, s[0:1]
	s_waitcnt vmcnt(0)
	v_subrev_u32_e32 v3, s21, v3
	ds_write_b32 v4, v3
	v_add_u32_e32 v4, 0x100, v4
	s_andn2_b64 exec, exec, s[0:1]
	s_cbranch_execnz .LBB18_15
.LBB18_16:
	s_or_b64 exec, exec, s[2:3]
	s_load_dwordx2 s[28:29], s[4:5], 0x20
	v_cmp_gt_u32_e32 vcc, 32, v1
	v_lshlrev_b32_e32 v6, 2, v1
	s_and_saveexec_b64 s[0:1], vcc
	s_cbranch_execz .LBB18_19
; %bb.17:
	v_mul_u32_u24_e32 v3, 0x84, v0
	v_lshlrev_b32_e32 v4, 2, v1
	s_movk_i32 s2, 0x2100
	v_add_u32_e32 v2, -2, v1
	v_add3_u32 v3, v3, v4, s2
	s_mov_b64 s[2:3], 0
	v_mov_b32_e32 v4, 0
.LBB18_18:                              ; =>This Inner Loop Header: Depth=1
	v_add_u32_e32 v2, 2, v2
	v_cmp_lt_u32_e32 vcc, 29, v2
	ds_write_b32 v3, v4
	s_or_b64 s[2:3], vcc, s[2:3]
	v_add_u32_e32 v3, 8, v3
	s_andn2_b64 exec, exec, s[2:3]
	s_cbranch_execnz .LBB18_18
.LBB18_19:
	s_or_b64 exec, exec, s[0:1]
	s_load_dword s58, s[4:5], 0x8
	s_load_dword s60, s[4:5], 0x0
	s_cmp_ge_i32 s59, s33
	s_waitcnt lgkmcnt(0)
	v_cmp_gt_i32_e64 s[0:1], s58, v1
	v_xad_u32 v7, v1, -1, s58
	s_cbranch_scc1 .LBB18_172
; %bb.20:
	v_or_b32_e32 v2, v1, v0
	v_cmp_ne_u32_e64 s[4:5], 0, v2
	s_movk_i32 s62, 0x84
	v_mov_b32_e32 v2, 0x2100
	v_lshlrev_b32_e32 v9, 2, v1
	v_mad_u32_u24 v10, v0, s62, v2
	v_lshlrev_b32_e32 v5, 2, v7
	s_cmp_eq_u32 s60, 0
	v_add_u32_e32 v2, v10, v9
	v_and_b32_e32 v5, -8, v5
	s_cselect_b64 s[30:31], -1, 0
	s_cmp_lg_u32 s60, 0
	s_brev_b32 s10, -4
	v_add_u32_e32 v5, v2, v5
	s_cselect_b64 s[34:35], -1, 0
	s_cmp_gt_i32 s58, 0
	v_cmp_lt_u32_e64 s[10:11], s10, v7
	v_cmp_lt_u32_e64 s[12:13], v5, v2
	s_cselect_b64 s[36:37], -1, 0
	s_or_b64 s[10:11], s[12:13], s[10:11]
	v_cmp_lt_u32_e32 vcc, 33, v7
	s_xor_b64 s[12:13], s[10:11], -1
	v_lshrrev_b32_e32 v3, 1, v7
	s_and_b64 s[38:39], vcc, s[12:13]
	s_mul_i32 s12, s58, s59
	v_add_u32_e32 v3, 1, v3
	v_add_u32_e32 v2, s12, v0
	v_and_b32_e32 v11, -2, v3
	v_mul_lo_u32 v17, s58, v2
	v_mov_b32_e32 v2, 0x1080
	v_and_b32_e32 v4, 3, v3
	v_lshl_add_u32 v12, v11, 1, v1
	v_mad_u32_u24 v14, v0, s62, v9
	v_mad_u32_u24 v18, v0, s62, v2
	v_mad_u32_u24 v20, v1, s62, v2
	v_cndmask_b32_e64 v2, 0, 1, s[34:35]
	s_mul_i32 s61, s58, s58
	v_cmp_gt_i32_e64 s[2:3], s58, v0
	v_mul_lo_u32 v8, v0, s58
	v_cmp_ne_u32_e64 s[6:7], 0, v4
	v_cmp_lt_u32_e64 s[8:9], 5, v7
	v_cmp_ne_u32_e64 s[10:11], v3, v11
	v_mul_u32_u24_e32 v13, 0x84, v0
	v_lshlrev_b32_e32 v15, 2, v4
	v_mul_lo_u32 v16, v1, s58
	s_lshl_b32 s63, s58, 1
	v_mul_u32_u24_e32 v19, 0x84, v1
	v_add_u32_e32 v21, 0x2100, v14
	v_add_u32_e32 v22, 0x1080, v14
	v_cmp_ne_u32_e64 s[12:13], 1, v2
	v_mov_b32_e32 v23, 0
	v_mul_lo_u32 v24, v12, s62
	v_lshlrev_b32_e32 v25, 2, v12
	s_mov_b32 s40, s59
	s_branch .LBB18_22
.LBB18_21:                              ;   in Loop: Header=BB18_22 Depth=1
	s_or_b64 exec, exec, s[42:43]
	s_add_i32 s40, s40, 1
	s_cmp_ge_i32 s40, s33
	s_waitcnt vmcnt(0)
	buffer_wbinvl1_vol
	v_add_u32_e32 v17, s61, v17
	s_cselect_b64 s[42:43], -1, 0
	s_and_b64 vcc, exec, s[42:43]
	s_cbranch_vccnz .LBB18_172
.LBB18_22:                              ; =>This Loop Header: Depth=1
                                        ;     Child Loop BB18_27 Depth 2
                                        ;     Child Loop BB18_42 Depth 2
	;; [unrolled: 1-line block ×5, first 2 shown]
                                        ;       Child Loop BB18_102 Depth 3
                                        ;     Child Loop BB18_115 Depth 2
                                        ;       Child Loop BB18_122 Depth 3
                                        ;       Child Loop BB18_127 Depth 3
	;; [unrolled: 1-line block ×3, first 2 shown]
                                        ;     Child Loop BB18_139 Depth 2
                                        ;     Child Loop BB18_149 Depth 2
	s_ashr_i32 s41, s40, 31
	s_lshl_b64 s[42:43], s[40:41], 2
	s_add_u32 s42, s26, s42
	s_addc_u32 s43, s27, s43
	s_load_dword s64, s[42:43], 0x0
	s_waitcnt lgkmcnt(0)
	s_sub_i32 s44, s64, s21
	s_ashr_i32 s45, s44, 31
	s_lshl_b64 s[42:43], s[44:45], 2
	s_add_u32 s46, s16, s42
	s_addc_u32 s47, s17, s43
	s_load_dword s65, s[46:47], 0x0
	s_waitcnt lgkmcnt(0)
	s_cmp_eq_u32 s65, -1
	s_cbranch_scc1 .LBB18_37
; %bb.23:                               ;   in Loop: Header=BB18_22 Depth=1
	s_add_u32 s46, s24, s42
	s_addc_u32 s47, s25, s43
	s_load_dword s45, s[46:47], 0x0
	s_mul_i32 s41, s40, s58
	s_and_saveexec_b64 s[46:47], s[0:1]
	s_cbranch_execz .LBB18_82
; %bb.24:                               ;   in Loop: Header=BB18_22 Depth=1
	v_mov_b32_e32 v4, v1
	s_and_saveexec_b64 s[48:49], s[6:7]
	s_cbranch_execz .LBB18_39
; %bb.25:                               ;   in Loop: Header=BB18_22 Depth=1
	s_mov_b64 s[50:51], 0
	v_mov_b32_e32 v5, v15
	v_mov_b32_e32 v26, v14
	;; [unrolled: 1-line block ×3, first 2 shown]
	s_branch .LBB18_27
.LBB18_26:                              ;   in Loop: Header=BB18_27 Depth=2
	s_or_b64 exec, exec, s[54:55]
	v_add_u32_e32 v5, -4, v5
	v_cmp_eq_u32_e32 vcc, 0, v5
	s_waitcnt vmcnt(0)
	ds_write_b32 v26, v3 offset:4224
	ds_write_b32 v26, v23
	v_add_u32_e32 v4, 2, v4
	s_or_b64 s[50:51], vcc, s[50:51]
	v_add_u32_e32 v26, 8, v26
	s_andn2_b64 exec, exec, s[50:51]
	s_cbranch_execz .LBB18_38
.LBB18_27:                              ;   Parent Loop BB18_22 Depth=1
                                        ; =>  This Inner Loop Header: Depth=2
	s_and_b64 vcc, exec, s[12:13]
	s_cbranch_vccnz .LBB18_31
; %bb.28:                               ;   in Loop: Header=BB18_27 Depth=2
	s_mov_b64 s[54:55], 0
	s_mov_b64 s[52:53], 0
                                        ; implicit-def: $vgpr2
	s_and_saveexec_b64 s[56:57], s[2:3]
; %bb.29:                               ;   in Loop: Header=BB18_27 Depth=2
	v_add_u32_e32 v2, s41, v4
	s_mov_b64 s[52:53], exec
	v_mad_u64_u32 v[2:3], s[66:67], v2, s58, v[0:1]
; %bb.30:                               ;   in Loop: Header=BB18_27 Depth=2
	s_or_b64 exec, exec, s[56:57]
	s_mov_b32 s56, 0
	s_and_b64 vcc, exec, s[54:55]
	s_cbranch_vccnz .LBB18_32
	s_branch .LBB18_35
.LBB18_31:                              ;   in Loop: Header=BB18_27 Depth=2
	s_mov_b64 s[52:53], 0
                                        ; implicit-def: $vgpr2
                                        ; implicit-def: $sgpr56
	s_cbranch_execz .LBB18_35
.LBB18_32:                              ;   in Loop: Header=BB18_27 Depth=2
                                        ; implicit-def: $vgpr2
	s_and_saveexec_b64 s[54:55], s[2:3]
; %bb.33:                               ;   in Loop: Header=BB18_27 Depth=2
	v_add_u32_e32 v2, v17, v4
	s_or_b64 s[52:53], s[52:53], exec
; %bb.34:                               ;   in Loop: Header=BB18_27 Depth=2
	s_or_b64 exec, exec, s[54:55]
	s_mov_b32 s56, 0
.LBB18_35:                              ;   in Loop: Header=BB18_27 Depth=2
	v_mov_b32_e32 v3, s56
	s_and_saveexec_b64 s[54:55], s[52:53]
	s_cbranch_execz .LBB18_26
; %bb.36:                               ;   in Loop: Header=BB18_27 Depth=2
	v_ashrrev_i32_e32 v3, 31, v2
	v_lshlrev_b64 v[2:3], 2, v[2:3]
	v_mov_b32_e32 v27, s29
	v_add_co_u32_e32 v2, vcc, s28, v2
	v_addc_co_u32_e32 v3, vcc, v27, v3, vcc
	global_load_dword v3, v[2:3], off
	s_branch .LBB18_26
.LBB18_37:                              ;   in Loop: Header=BB18_22 Depth=1
                                        ; implicit-def: $sgpr40
                                        ; implicit-def: $vgpr17
	s_cbranch_execz .LBB18_22
	s_branch .LBB18_172
.LBB18_38:                              ;   in Loop: Header=BB18_22 Depth=1
	s_or_b64 exec, exec, s[50:51]
.LBB18_39:                              ;   in Loop: Header=BB18_22 Depth=1
	s_or_b64 exec, exec, s[48:49]
	s_and_b64 exec, exec, s[8:9]
	s_cbranch_execz .LBB18_82
; %bb.40:                               ;   in Loop: Header=BB18_22 Depth=1
	v_lshl_add_u32 v5, v4, 2, v13
	s_mov_b64 s[48:49], 0
	s_branch .LBB18_42
.LBB18_41:                              ;   in Loop: Header=BB18_42 Depth=2
	s_or_b64 exec, exec, s[52:53]
	v_add_u32_e32 v4, 8, v4
	v_cmp_le_i32_e32 vcc, s58, v4
	s_waitcnt vmcnt(0)
	ds_write_b32 v5, v3 offset:4248
	ds_write_b32 v5, v23 offset:24
	s_or_b64 s[48:49], vcc, s[48:49]
	v_add_u32_e32 v5, 32, v5
	s_andn2_b64 exec, exec, s[48:49]
	s_cbranch_execz .LBB18_82
.LBB18_42:                              ;   Parent Loop BB18_22 Depth=1
                                        ; =>  This Inner Loop Header: Depth=2
	s_and_b64 vcc, exec, s[34:35]
	s_cbranch_vccz .LBB18_46
; %bb.43:                               ;   in Loop: Header=BB18_42 Depth=2
	s_mov_b64 s[52:53], 0
	s_mov_b64 s[50:51], 0
                                        ; implicit-def: $vgpr2
	s_and_saveexec_b64 s[54:55], s[2:3]
	s_xor_b64 s[54:55], exec, s[54:55]
; %bb.44:                               ;   in Loop: Header=BB18_42 Depth=2
	v_add_u32_e32 v2, s41, v4
	s_mov_b64 s[50:51], exec
	v_mad_u64_u32 v[2:3], s[56:57], v2, s58, v[0:1]
; %bb.45:                               ;   in Loop: Header=BB18_42 Depth=2
	s_or_b64 exec, exec, s[54:55]
	s_mov_b32 s54, 0
	s_and_b64 vcc, exec, s[52:53]
	s_cbranch_vccnz .LBB18_47
	s_branch .LBB18_50
.LBB18_46:                              ;   in Loop: Header=BB18_42 Depth=2
	s_mov_b64 s[50:51], 0
                                        ; implicit-def: $vgpr2
                                        ; implicit-def: $sgpr54
	s_cbranch_execz .LBB18_50
.LBB18_47:                              ;   in Loop: Header=BB18_42 Depth=2
                                        ; implicit-def: $vgpr2
	s_and_saveexec_b64 s[52:53], s[2:3]
; %bb.48:                               ;   in Loop: Header=BB18_42 Depth=2
	v_add_u32_e32 v2, v17, v4
	s_or_b64 s[50:51], s[50:51], exec
; %bb.49:                               ;   in Loop: Header=BB18_42 Depth=2
	s_or_b64 exec, exec, s[52:53]
	s_mov_b32 s54, 0
.LBB18_50:                              ;   in Loop: Header=BB18_42 Depth=2
	v_mov_b32_e32 v3, s54
	s_and_saveexec_b64 s[52:53], s[50:51]
	s_cbranch_execz .LBB18_52
; %bb.51:                               ;   in Loop: Header=BB18_42 Depth=2
	v_ashrrev_i32_e32 v3, 31, v2
	v_lshlrev_b64 v[2:3], 2, v[2:3]
	v_mov_b32_e32 v26, s29
	v_add_co_u32_e32 v2, vcc, s28, v2
	v_addc_co_u32_e32 v3, vcc, v26, v3, vcc
	global_load_dword v3, v[2:3], off
.LBB18_52:                              ;   in Loop: Header=BB18_42 Depth=2
	s_or_b64 exec, exec, s[52:53]
	s_and_b64 vcc, exec, s[12:13]
	s_waitcnt vmcnt(0)
	ds_write_b32 v5, v3 offset:4224
	ds_write_b32 v5, v23
	s_cbranch_vccnz .LBB18_56
; %bb.53:                               ;   in Loop: Header=BB18_42 Depth=2
	s_mov_b64 s[52:53], 0
	s_mov_b64 s[50:51], 0
                                        ; implicit-def: $vgpr2
	s_and_saveexec_b64 s[54:55], s[2:3]
; %bb.54:                               ;   in Loop: Header=BB18_42 Depth=2
	v_add3_u32 v2, v4, s41, 2
	s_mov_b64 s[50:51], exec
	v_mad_u64_u32 v[2:3], s[56:57], v2, s58, v[0:1]
; %bb.55:                               ;   in Loop: Header=BB18_42 Depth=2
	s_or_b64 exec, exec, s[54:55]
	s_mov_b32 s54, 0
	s_and_b64 vcc, exec, s[52:53]
	s_cbranch_vccnz .LBB18_57
	s_branch .LBB18_60
.LBB18_56:                              ;   in Loop: Header=BB18_42 Depth=2
	s_mov_b64 s[50:51], 0
                                        ; implicit-def: $vgpr2
                                        ; implicit-def: $sgpr54
	s_cbranch_execz .LBB18_60
.LBB18_57:                              ;   in Loop: Header=BB18_42 Depth=2
                                        ; implicit-def: $vgpr2
	s_and_saveexec_b64 s[52:53], s[2:3]
; %bb.58:                               ;   in Loop: Header=BB18_42 Depth=2
	v_add3_u32 v2, v17, v4, 2
	s_or_b64 s[50:51], s[50:51], exec
; %bb.59:                               ;   in Loop: Header=BB18_42 Depth=2
	s_or_b64 exec, exec, s[52:53]
	s_mov_b32 s54, 0
.LBB18_60:                              ;   in Loop: Header=BB18_42 Depth=2
	v_mov_b32_e32 v3, s54
	s_and_saveexec_b64 s[52:53], s[50:51]
	s_cbranch_execz .LBB18_62
; %bb.61:                               ;   in Loop: Header=BB18_42 Depth=2
	v_ashrrev_i32_e32 v3, 31, v2
	v_lshlrev_b64 v[2:3], 2, v[2:3]
	v_mov_b32_e32 v26, s29
	v_add_co_u32_e32 v2, vcc, s28, v2
	v_addc_co_u32_e32 v3, vcc, v26, v3, vcc
	global_load_dword v3, v[2:3], off
.LBB18_62:                              ;   in Loop: Header=BB18_42 Depth=2
	s_or_b64 exec, exec, s[52:53]
	s_and_b64 vcc, exec, s[12:13]
	s_waitcnt vmcnt(0)
	ds_write_b32 v5, v3 offset:4232
	ds_write_b32 v5, v23 offset:8
	s_cbranch_vccnz .LBB18_66
; %bb.63:                               ;   in Loop: Header=BB18_42 Depth=2
	s_mov_b64 s[52:53], 0
	s_mov_b64 s[50:51], 0
                                        ; implicit-def: $vgpr2
	s_and_saveexec_b64 s[54:55], s[2:3]
; %bb.64:                               ;   in Loop: Header=BB18_42 Depth=2
	v_add3_u32 v2, v4, s41, 4
	s_mov_b64 s[50:51], exec
	v_mad_u64_u32 v[2:3], s[56:57], v2, s58, v[0:1]
; %bb.65:                               ;   in Loop: Header=BB18_42 Depth=2
	s_or_b64 exec, exec, s[54:55]
	s_mov_b32 s54, 0
	s_and_b64 vcc, exec, s[52:53]
	s_cbranch_vccnz .LBB18_67
	s_branch .LBB18_70
.LBB18_66:                              ;   in Loop: Header=BB18_42 Depth=2
	s_mov_b64 s[50:51], 0
                                        ; implicit-def: $vgpr2
                                        ; implicit-def: $sgpr54
	s_cbranch_execz .LBB18_70
.LBB18_67:                              ;   in Loop: Header=BB18_42 Depth=2
                                        ; implicit-def: $vgpr2
	s_and_saveexec_b64 s[52:53], s[2:3]
; %bb.68:                               ;   in Loop: Header=BB18_42 Depth=2
	v_add3_u32 v2, v17, v4, 4
	s_or_b64 s[50:51], s[50:51], exec
; %bb.69:                               ;   in Loop: Header=BB18_42 Depth=2
	s_or_b64 exec, exec, s[52:53]
	s_mov_b32 s54, 0
.LBB18_70:                              ;   in Loop: Header=BB18_42 Depth=2
	v_mov_b32_e32 v3, s54
	s_and_saveexec_b64 s[52:53], s[50:51]
	s_cbranch_execz .LBB18_72
; %bb.71:                               ;   in Loop: Header=BB18_42 Depth=2
	v_ashrrev_i32_e32 v3, 31, v2
	v_lshlrev_b64 v[2:3], 2, v[2:3]
	v_mov_b32_e32 v26, s29
	v_add_co_u32_e32 v2, vcc, s28, v2
	v_addc_co_u32_e32 v3, vcc, v26, v3, vcc
	global_load_dword v3, v[2:3], off
.LBB18_72:                              ;   in Loop: Header=BB18_42 Depth=2
	s_or_b64 exec, exec, s[52:53]
	s_and_b64 vcc, exec, s[12:13]
	s_waitcnt vmcnt(0)
	ds_write_b32 v5, v3 offset:4240
	ds_write_b32 v5, v23 offset:16
	s_cbranch_vccnz .LBB18_76
; %bb.73:                               ;   in Loop: Header=BB18_42 Depth=2
	s_mov_b64 s[52:53], 0
	s_mov_b64 s[50:51], 0
                                        ; implicit-def: $vgpr2
	s_and_saveexec_b64 s[54:55], s[2:3]
; %bb.74:                               ;   in Loop: Header=BB18_42 Depth=2
	v_add3_u32 v2, v4, s41, 6
	s_mov_b64 s[50:51], exec
	v_mad_u64_u32 v[2:3], s[56:57], v2, s58, v[0:1]
; %bb.75:                               ;   in Loop: Header=BB18_42 Depth=2
	s_or_b64 exec, exec, s[54:55]
	s_mov_b32 s54, 0
	s_and_b64 vcc, exec, s[52:53]
	s_cbranch_vccnz .LBB18_77
	s_branch .LBB18_80
.LBB18_76:                              ;   in Loop: Header=BB18_42 Depth=2
	s_mov_b64 s[50:51], 0
                                        ; implicit-def: $vgpr2
                                        ; implicit-def: $sgpr54
	s_cbranch_execz .LBB18_80
.LBB18_77:                              ;   in Loop: Header=BB18_42 Depth=2
                                        ; implicit-def: $vgpr2
	s_and_saveexec_b64 s[52:53], s[2:3]
; %bb.78:                               ;   in Loop: Header=BB18_42 Depth=2
	v_add3_u32 v2, v17, v4, 6
	s_or_b64 s[50:51], s[50:51], exec
; %bb.79:                               ;   in Loop: Header=BB18_42 Depth=2
	s_or_b64 exec, exec, s[52:53]
	s_mov_b32 s54, 0
.LBB18_80:                              ;   in Loop: Header=BB18_42 Depth=2
	v_mov_b32_e32 v3, s54
	s_and_saveexec_b64 s[52:53], s[50:51]
	s_cbranch_execz .LBB18_41
; %bb.81:                               ;   in Loop: Header=BB18_42 Depth=2
	v_ashrrev_i32_e32 v3, 31, v2
	v_lshlrev_b64 v[2:3], 2, v[2:3]
	v_mov_b32_e32 v26, s29
	v_add_co_u32_e32 v2, vcc, s28, v2
	v_addc_co_u32_e32 v3, vcc, v26, v3, vcc
	global_load_dword v3, v[2:3], off
	s_branch .LBB18_41
.LBB18_82:                              ;   in Loop: Header=BB18_22 Depth=1
	s_or_b64 exec, exec, s[46:47]
	ds_read_b32 v2, v23 offset:13696
	s_waitcnt lgkmcnt(0)
	s_sub_i32 s46, s45, s21
	s_cmp_le_i32 s46, s65
	s_cselect_b64 s[48:49], -1, 0
	s_mov_b32 s47, 0
	v_cmp_ge_i32_e32 vcc, s44, v2
	s_and_b64 s[48:49], s[48:49], vcc
	s_andn2_b64 vcc, exec, s[48:49]
	s_cbranch_vccnz .LBB18_94
; %bb.83:                               ;   in Loop: Header=BB18_22 Depth=1
	s_mov_b32 s45, 0
	s_mov_b32 s50, 0
.LBB18_84:                              ;   Parent Loop BB18_22 Depth=1
                                        ; =>  This Inner Loop Header: Depth=2
	s_ashr_i32 s47, s46, 31
	s_lshl_b64 s[48:49], s[46:47], 2
	s_add_u32 s48, s26, s48
	s_addc_u32 s49, s27, s49
	s_load_dword s47, s[48:49], 0x0
	s_lshl_b32 s48, s50, 2
	v_mov_b32_e32 v2, s48
	ds_read_b32 v2, v2 offset:13696
	s_mov_b64 s[48:49], -1
	s_waitcnt lgkmcnt(0)
	s_sub_i32 s54, s47, s21
                                        ; implicit-def: $sgpr47
                                        ; implicit-def: $sgpr53
                                        ; implicit-def: $sgpr52
	v_cmp_ge_i32_e32 vcc, s54, v2
	v_readfirstlane_b32 s51, v2
	s_cbranch_vccz .LBB18_90
; %bb.85:                               ;   in Loop: Header=BB18_84 Depth=2
	s_cmp_le_i32 s54, s51
                                        ; implicit-def: $sgpr47
                                        ; implicit-def: $sgpr53
                                        ; implicit-def: $sgpr52
	s_cbranch_scc0 .LBB18_87
; %bb.86:                               ;   in Loop: Header=BB18_84 Depth=2
	s_add_i32 s47, s50, s59
	s_mul_i32 s47, s47, s61
	s_lshl_b32 s48, s45, 2
	v_mov_b32_e32 v2, s48
	v_mov_b32_e32 v3, s47
	s_mul_i32 s47, s46, s61
	v_mov_b32_e32 v4, s47
	v_add_u32_e32 v2, 0x80, v2
	ds_write2st64_b32 v2, v4, v3 offset0:49 offset1:51
	s_add_i32 s52, s50, 1
	s_add_i32 s53, s46, 1
	;; [unrolled: 1-line block ×3, first 2 shown]
	s_mov_b64 s[48:49], 0
.LBB18_87:                              ;   in Loop: Header=BB18_84 Depth=2
	s_andn2_b64 vcc, exec, s[48:49]
	s_cbranch_vccnz .LBB18_89
; %bb.88:                               ;   in Loop: Header=BB18_84 Depth=2
	s_add_i32 s52, s50, 1
	s_mov_b32 s47, s45
	s_mov_b32 s53, s46
.LBB18_89:                              ;   in Loop: Header=BB18_84 Depth=2
	s_mov_b64 s[48:49], 0
.LBB18_90:                              ;   in Loop: Header=BB18_84 Depth=2
	s_andn2_b64 vcc, exec, s[48:49]
	s_cbranch_vccnz .LBB18_92
; %bb.91:                               ;   in Loop: Header=BB18_84 Depth=2
	s_add_i32 s53, s46, 1
	s_mov_b32 s52, s50
	s_mov_b32 s47, s45
.LBB18_92:                              ;   in Loop: Header=BB18_84 Depth=2
	s_cmp_le_i32 s53, s65
	s_cselect_b64 s[48:49], -1, 0
	s_cmp_le_i32 s51, s44
	s_cselect_b64 s[50:51], -1, 0
	s_and_b64 s[48:49], s[48:49], s[50:51]
	s_and_b64 vcc, exec, s[48:49]
	s_cbranch_vccz .LBB18_94
; %bb.93:                               ;   in Loop: Header=BB18_84 Depth=2
	s_mov_b32 s45, s47
	s_mov_b32 s46, s53
	;; [unrolled: 1-line block ×3, first 2 shown]
	s_branch .LBB18_84
.LBB18_94:                              ;   in Loop: Header=BB18_22 Depth=1
	s_add_u32 s42, s18, s42
	s_addc_u32 s43, s19, s43
	s_waitcnt lgkmcnt(0)
.LBB18_95:                              ;   Parent Loop BB18_22 Depth=1
                                        ; =>  This Inner Loop Header: Depth=2
	global_load_dword v2, v23, s[42:43] glc
	s_waitcnt vmcnt(0)
	v_cmp_eq_u32_e32 vcc, 0, v2
	s_cbranch_vccnz .LBB18_95
; %bb.96:                               ;   in Loop: Header=BB18_22 Depth=1
	s_cmp_lt_i32 s47, 2
	buffer_wbinvl1_vol
	s_cbranch_scc1 .LBB18_112
; %bb.97:                               ;   in Loop: Header=BB18_22 Depth=1
	s_add_i32 s48, s47, -2
	s_mov_b32 s49, 0
	s_branch .LBB18_99
.LBB18_98:                              ;   in Loop: Header=BB18_99 Depth=2
	s_or_b64 exec, exec, s[42:43]
	s_add_i32 s42, s49, 1
	s_cmp_eq_u32 s49, s48
	s_mov_b32 s49, s42
	s_cbranch_scc1 .LBB18_112
.LBB18_99:                              ;   Parent Loop BB18_22 Depth=1
                                        ; =>  This Loop Header: Depth=2
                                        ;       Child Loop BB18_102 Depth 3
	s_and_saveexec_b64 s[42:43], s[0:1]
	s_cbranch_execz .LBB18_98
; %bb.100:                              ;   in Loop: Header=BB18_99 Depth=2
	s_lshl_b32 s44, s49, 2
	v_mov_b32_e32 v2, s44
	v_add_u32_e32 v2, 0x80, v2
	ds_read2st64_b32 v[2:3], v2 offset0:49 offset1:51
	s_mov_b64 s[44:45], 0
	v_mov_b32_e32 v30, v1
	s_waitcnt lgkmcnt(0)
	v_add_u32_e32 v26, v3, v8
	v_add_u32_e32 v27, v0, v3
	;; [unrolled: 1-line block ×4, first 2 shown]
	s_branch .LBB18_102
.LBB18_101:                             ;   in Loop: Header=BB18_102 Depth=3
	v_lshlrev_b32_e32 v2, 2, v30
	v_mad_u32_u24 v2, v0, s62, v2
	ds_read_b32 v4, v2
	v_add_u32_e32 v30, 2, v30
	v_cmp_le_i32_e32 vcc, s58, v30
	v_add_u32_e32 v28, 2, v28
	s_or_b64 s[44:45], vcc, s[44:45]
	s_waitcnt lgkmcnt(0)
	v_add_f32_e32 v3, v3, v4
	v_add_u32_e32 v29, s63, v29
	ds_write_b32 v2, v3
	s_andn2_b64 exec, exec, s[44:45]
	s_cbranch_execz .LBB18_98
.LBB18_102:                             ;   Parent Loop BB18_22 Depth=1
                                        ;     Parent Loop BB18_99 Depth=2
                                        ; =>    This Inner Loop Header: Depth=3
	s_mov_b32 s50, 0
	v_mov_b32_e32 v31, 0
	v_mov_b32_e32 v2, v28
	;; [unrolled: 1-line block ×3, first 2 shown]
	s_and_b64 vcc, exec, s[34:35]
	s_cbranch_vccz .LBB18_106
.LBB18_103:                             ;   in Loop: Header=BB18_102 Depth=3
	v_ashrrev_i32_e32 v3, 31, v2
	v_lshlrev_b64 v[32:33], 2, v[2:3]
	v_mov_b32_e32 v3, s29
	v_add_co_u32_e32 v32, vcc, s28, v32
	v_addc_co_u32_e32 v33, vcc, v3, v33, vcc
	global_load_dword v3, v[32:33], off
	v_mov_b32_e32 v5, 0
	s_and_saveexec_b64 s[46:47], s[2:3]
	s_cbranch_execz .LBB18_105
; %bb.104:                              ;   in Loop: Header=BB18_102 Depth=3
	v_ashrrev_i32_e32 v5, 31, v4
	v_lshlrev_b64 v[32:33], 2, v[4:5]
	v_mov_b32_e32 v5, s29
	v_add_co_u32_e32 v32, vcc, s28, v32
	v_addc_co_u32_e32 v33, vcc, v5, v33, vcc
	global_load_dword v5, v[32:33], off
.LBB18_105:                             ;   in Loop: Header=BB18_102 Depth=3
	s_or_b64 exec, exec, s[46:47]
	s_waitcnt vmcnt(0)
	v_fma_f32 v3, v3, v5, v31
	s_branch .LBB18_110
.LBB18_106:                             ;   in Loop: Header=BB18_102 Depth=3
                                        ; implicit-def: $vgpr3
	s_cbranch_execz .LBB18_110
; %bb.107:                              ;   in Loop: Header=BB18_102 Depth=3
	v_add_u32_e32 v32, s50, v29
	v_ashrrev_i32_e32 v33, 31, v32
	v_lshlrev_b64 v[32:33], 2, v[32:33]
	v_mov_b32_e32 v3, s29
	v_add_co_u32_e32 v32, vcc, s28, v32
	v_addc_co_u32_e32 v33, vcc, v3, v33, vcc
	global_load_dword v3, v[32:33], off
	v_mov_b32_e32 v5, 0
	s_and_saveexec_b64 s[46:47], s[2:3]
	s_cbranch_execz .LBB18_109
; %bb.108:                              ;   in Loop: Header=BB18_102 Depth=3
	v_add_u32_e32 v32, s50, v26
	v_ashrrev_i32_e32 v33, 31, v32
	v_lshlrev_b64 v[32:33], 2, v[32:33]
	v_mov_b32_e32 v5, s29
	v_add_co_u32_e32 v32, vcc, s28, v32
	v_addc_co_u32_e32 v33, vcc, v5, v33, vcc
	global_load_dword v5, v[32:33], off
.LBB18_109:                             ;   in Loop: Header=BB18_102 Depth=3
	s_or_b64 exec, exec, s[46:47]
	s_waitcnt vmcnt(0)
	v_fmac_f32_e32 v31, v3, v5
	v_mov_b32_e32 v3, v31
.LBB18_110:                             ;   in Loop: Header=BB18_102 Depth=3
	s_add_i32 s50, s50, 1
	v_add_u32_e32 v4, s58, v4
	s_cmp_eq_u32 s58, s50
	v_add_u32_e32 v2, s58, v2
	s_cbranch_scc1 .LBB18_101
; %bb.111:                              ;   in Loop: Header=BB18_102 Depth=3
	v_mov_b32_e32 v31, v3
	s_and_b64 vcc, exec, s[34:35]
	s_cbranch_vccz .LBB18_106
	s_branch .LBB18_103
.LBB18_112:                             ;   in Loop: Header=BB18_22 Depth=1
	s_andn2_b64 vcc, exec, s[36:37]
	s_waitcnt lgkmcnt(0)
	s_cbranch_vccnz .LBB18_134
; %bb.113:                              ;   in Loop: Header=BB18_22 Depth=1
	s_mul_i32 s50, s61, s65
	s_mov_b32 s51, 0
	s_movk_i32 s52, 0x1080
	v_mov_b32_e32 v4, v20
	s_mov_b32 s53, s50
	s_branch .LBB18_115
.LBB18_114:                             ;   in Loop: Header=BB18_115 Depth=2
	s_or_b64 exec, exec, s[42:43]
	s_add_i32 s51, s51, 1
	s_add_i32 s53, s53, 1
	;; [unrolled: 1-line block ×3, first 2 shown]
	s_cmp_eq_u32 s51, s58
	v_add_u32_e32 v4, 4, v4
	s_waitcnt lgkmcnt(0)
	s_cbranch_scc1 .LBB18_134
.LBB18_115:                             ;   Parent Loop BB18_22 Depth=1
                                        ; =>  This Loop Header: Depth=2
                                        ;       Child Loop BB18_122 Depth 3
                                        ;       Child Loop BB18_127 Depth 3
	;; [unrolled: 1-line block ×3, first 2 shown]
	s_mul_i32 s46, s51, s58
	s_add_i32 s46, s46, s50
	s_add_i32 s42, s46, s51
	s_ashr_i32 s43, s42, 31
	s_lshl_b64 s[42:43], s[42:43], 2
	s_add_u32 s42, s28, s42
	s_addc_u32 s43, s29, s43
	global_load_dword v5, v23, s[42:43]
	v_lshl_add_u32 v3, s51, 2, v13
	ds_read_b32 v2, v3 offset:4224
	s_waitcnt vmcnt(0)
	v_cmp_neq_f32_e32 vcc, 0, v5
	s_or_b64 s[42:43], vcc, s[4:5]
	v_cndmask_b32_e32 v5, 1.0, v5, vcc
	s_xor_b64 s[44:45], s[42:43], -1
	s_and_saveexec_b64 s[42:43], s[44:45]
	s_cbranch_execz .LBB18_119
; %bb.116:                              ;   in Loop: Header=BB18_115 Depth=2
	v_mbcnt_lo_u32_b32 v5, exec_lo, 0
	v_mbcnt_hi_u32_b32 v5, exec_hi, v5
	v_cmp_eq_u32_e32 vcc, 0, v5
	s_and_saveexec_b64 s[44:45], vcc
	s_cbranch_execz .LBB18_118
; %bb.117:                              ;   in Loop: Header=BB18_115 Depth=2
	v_mov_b32_e32 v5, s64
	global_atomic_smin v23, v5, s[22:23]
.LBB18_118:                             ;   in Loop: Header=BB18_115 Depth=2
	s_or_b64 exec, exec, s[44:45]
	v_mov_b32_e32 v5, 1.0
.LBB18_119:                             ;   in Loop: Header=BB18_115 Depth=2
	s_or_b64 exec, exec, s[42:43]
	ds_read_b32 v26, v3
	s_cmp_eq_u32 s51, 0
	s_cbranch_scc1 .LBB18_124
; %bb.120:                              ;   in Loop: Header=BB18_115 Depth=2
	s_mov_b32 s44, 0
	s_mov_b32 s45, s53
	v_mov_b32_e32 v27, v18
	s_branch .LBB18_122
.LBB18_121:                             ;   in Loop: Header=BB18_122 Depth=3
	s_ashr_i32 s43, s42, 31
	s_lshl_b64 s[42:43], s[42:43], 2
	s_add_u32 s42, s28, s42
	s_addc_u32 s43, s29, s43
	global_load_dword v28, v23, s[42:43]
	ds_read_b32 v29, v27
	s_add_i32 s44, s44, 1
	s_add_i32 s45, s45, s58
	s_cmp_ge_u32 s44, s51
	v_add_u32_e32 v27, 4, v27
	s_waitcnt vmcnt(0) lgkmcnt(0)
	v_fmac_f32_e32 v26, v28, v29
	s_cbranch_scc1 .LBB18_124
.LBB18_122:                             ;   Parent Loop BB18_22 Depth=1
                                        ;     Parent Loop BB18_115 Depth=2
                                        ; =>    This Inner Loop Header: Depth=3
	s_andn2_b64 vcc, exec, s[30:31]
	s_mov_b32 s42, s45
	s_cbranch_vccnz .LBB18_121
; %bb.123:                              ;   in Loop: Header=BB18_122 Depth=3
	s_add_i32 s42, s44, s46
	s_branch .LBB18_121
.LBB18_124:                             ;   in Loop: Header=BB18_115 Depth=2
	s_waitcnt lgkmcnt(0)
	v_sub_f32_e32 v2, v2, v26
	v_div_scale_f32 v26, s[42:43], v5, v5, v2
	v_rcp_f32_e32 v27, v26
	v_div_scale_f32 v28, vcc, v2, v5, v2
	v_add_u32_e32 v3, 0x1080, v3
	v_fma_f32 v29, -v26, v27, 1.0
	v_fmac_f32_e32 v27, v29, v27
	v_mul_f32_e32 v29, v28, v27
	v_fma_f32 v30, -v26, v29, v28
	v_fmac_f32_e32 v29, v30, v27
	v_fma_f32 v26, -v26, v29, v28
	v_div_fmas_f32 v26, v26, v27, v29
	v_div_fixup_f32 v2, v26, v5, v2
	ds_write_b32 v3, v2
	s_waitcnt lgkmcnt(0)
	s_and_saveexec_b64 s[42:43], s[0:1]
	s_cbranch_execz .LBB18_114
; %bb.125:                              ;   in Loop: Header=BB18_115 Depth=2
	s_mov_b64 s[46:47], -1
	v_mov_b32_e32 v3, v1
	v_mov_b32_e32 v5, v19
	;; [unrolled: 1-line block ×3, first 2 shown]
	s_and_saveexec_b64 s[44:45], s[38:39]
	s_cbranch_execz .LBB18_131
; %bb.126:                              ;   in Loop: Header=BB18_115 Depth=2
	v_mov_b32_e32 v3, v2
	s_mov_b64 s[46:47], 0
	v_mov_b32_e32 v5, v11
	v_mov_b32_e32 v26, v21
	;; [unrolled: 1-line block ×3, first 2 shown]
.LBB18_127:                             ;   Parent Loop BB18_22 Depth=1
                                        ;     Parent Loop BB18_115 Depth=2
                                        ; =>    This Inner Loop Header: Depth=3
	ds_read2_b32 v[28:29], v27 offset1:66
	ds_read2_b32 v[30:31], v26 offset1:2
	v_add_u32_e32 v5, -2, v5
	v_cmp_eq_u32_e32 vcc, 0, v5
	v_add_u32_e32 v27, 0x210, v27
	s_or_b64 s[46:47], vcc, s[46:47]
	s_waitcnt lgkmcnt(0)
	v_pk_fma_f32 v[28:29], v[2:3], v[28:29], v[30:31]
	ds_write2_b32 v26, v28, v29 offset1:2
	v_add_u32_e32 v26, 16, v26
	s_andn2_b64 exec, exec, s[46:47]
	s_cbranch_execnz .LBB18_127
; %bb.128:                              ;   in Loop: Header=BB18_115 Depth=2
	s_or_b64 exec, exec, s[46:47]
	s_mov_b64 s[46:47], 0
	s_and_saveexec_b64 s[48:49], s[10:11]
	s_xor_b64 s[48:49], exec, s[48:49]
; %bb.129:                              ;   in Loop: Header=BB18_115 Depth=2
	s_mov_b64 s[46:47], exec
; %bb.130:                              ;   in Loop: Header=BB18_115 Depth=2
	s_or_b64 exec, exec, s[48:49]
	s_orn2_b64 s[46:47], s[46:47], exec
	v_mov_b32_e32 v3, v12
	v_mov_b32_e32 v5, v24
	;; [unrolled: 1-line block ×3, first 2 shown]
.LBB18_131:                             ;   in Loop: Header=BB18_115 Depth=2
	s_or_b64 exec, exec, s[44:45]
	s_and_b64 exec, exec, s[46:47]
	s_cbranch_execz .LBB18_114
; %bb.132:                              ;   in Loop: Header=BB18_115 Depth=2
	v_add_u32_e32 v5, s52, v5
	v_add_u32_e32 v26, v10, v26
	s_mov_b64 s[44:45], 0
.LBB18_133:                             ;   Parent Loop BB18_22 Depth=1
                                        ;     Parent Loop BB18_115 Depth=2
                                        ; =>    This Inner Loop Header: Depth=3
	ds_read_b32 v27, v5
	ds_read_b32 v28, v26
	v_add_u32_e32 v3, 2, v3
	v_cmp_le_i32_e32 vcc, s58, v3
	v_add_u32_e32 v5, 0x108, v5
	s_or_b64 s[44:45], vcc, s[44:45]
	s_waitcnt lgkmcnt(0)
	v_fmac_f32_e32 v28, v2, v27
	ds_write_b32 v26, v28
	v_add_u32_e32 v26, 8, v26
	s_andn2_b64 exec, exec, s[44:45]
	s_cbranch_execnz .LBB18_133
	s_branch .LBB18_114
.LBB18_134:                             ;   in Loop: Header=BB18_22 Depth=1
	s_and_saveexec_b64 s[42:43], s[0:1]
	s_cbranch_execz .LBB18_21
; %bb.135:                              ;   in Loop: Header=BB18_22 Depth=1
	v_mov_b32_e32 v4, v1
	s_and_saveexec_b64 s[44:45], s[6:7]
	s_cbranch_execz .LBB18_145
; %bb.136:                              ;   in Loop: Header=BB18_22 Depth=1
	s_mov_b64 s[46:47], 0
	v_mov_b32_e32 v5, v15
	v_mov_b32_e32 v26, v22
	;; [unrolled: 1-line block ×3, first 2 shown]
	s_branch .LBB18_139
.LBB18_137:                             ;   in Loop: Header=BB18_139 Depth=2
	v_ashrrev_i32_e32 v3, 31, v2
	v_lshlrev_b64 v[2:3], 2, v[2:3]
	v_mov_b32_e32 v28, s29
	v_add_co_u32_e32 v2, vcc, s28, v2
	v_addc_co_u32_e32 v3, vcc, v28, v3, vcc
	s_waitcnt lgkmcnt(0)
	global_store_dword v[2:3], v27, off
.LBB18_138:                             ;   in Loop: Header=BB18_139 Depth=2
	s_or_b64 exec, exec, s[48:49]
	v_add_u32_e32 v5, -4, v5
	v_cmp_eq_u32_e32 vcc, 0, v5
	v_add_u32_e32 v4, 2, v4
	s_or_b64 s[46:47], vcc, s[46:47]
	v_add_u32_e32 v26, 8, v26
	s_andn2_b64 exec, exec, s[46:47]
	s_cbranch_execz .LBB18_144
.LBB18_139:                             ;   Parent Loop BB18_22 Depth=1
                                        ; =>  This Inner Loop Header: Depth=2
	s_and_saveexec_b64 s[48:49], s[2:3]
	s_cbranch_execz .LBB18_138
; %bb.140:                              ;   in Loop: Header=BB18_139 Depth=2
	ds_read_b32 v27, v26
	s_and_b64 vcc, exec, s[12:13]
	s_cbranch_vccnz .LBB18_142
; %bb.141:                              ;   in Loop: Header=BB18_139 Depth=2
	v_add_u32_e32 v2, s41, v4
	v_mad_u64_u32 v[2:3], s[50:51], v2, s58, v[0:1]
	s_cbranch_execnz .LBB18_137
	s_branch .LBB18_143
.LBB18_142:                             ;   in Loop: Header=BB18_139 Depth=2
                                        ; implicit-def: $vgpr2
.LBB18_143:                             ;   in Loop: Header=BB18_139 Depth=2
	v_add_u32_e32 v2, v17, v4
	s_branch .LBB18_137
.LBB18_144:                             ;   in Loop: Header=BB18_22 Depth=1
	s_or_b64 exec, exec, s[46:47]
.LBB18_145:                             ;   in Loop: Header=BB18_22 Depth=1
	s_or_b64 exec, exec, s[44:45]
	s_and_b64 exec, exec, s[8:9]
	s_cbranch_execz .LBB18_21
; %bb.146:                              ;   in Loop: Header=BB18_22 Depth=1
	v_lshl_add_u32 v5, v4, 2, v18
	s_mov_b64 s[44:45], 0
	s_branch .LBB18_149
.LBB18_147:                             ;   in Loop: Header=BB18_149 Depth=2
	v_ashrrev_i32_e32 v3, 31, v2
	v_lshlrev_b64 v[2:3], 2, v[2:3]
	v_mov_b32_e32 v27, s29
	v_add_co_u32_e32 v2, vcc, s28, v2
	v_addc_co_u32_e32 v3, vcc, v27, v3, vcc
	s_waitcnt lgkmcnt(0)
	global_store_dword v[2:3], v26, off
.LBB18_148:                             ;   in Loop: Header=BB18_149 Depth=2
	s_or_b64 exec, exec, s[46:47]
	v_add_u32_e32 v4, 8, v4
	v_cmp_le_i32_e32 vcc, s58, v4
	s_or_b64 s[44:45], vcc, s[44:45]
	v_add_u32_e32 v5, 32, v5
	s_andn2_b64 exec, exec, s[44:45]
	s_cbranch_execz .LBB18_21
.LBB18_149:                             ;   Parent Loop BB18_22 Depth=1
                                        ; =>  This Inner Loop Header: Depth=2
	s_and_saveexec_b64 s[46:47], s[2:3]
	s_cbranch_execnz .LBB18_153
; %bb.150:                              ;   in Loop: Header=BB18_149 Depth=2
	s_or_b64 exec, exec, s[46:47]
	s_and_saveexec_b64 s[46:47], s[2:3]
	s_cbranch_execnz .LBB18_158
.LBB18_151:                             ;   in Loop: Header=BB18_149 Depth=2
	s_or_b64 exec, exec, s[46:47]
	s_and_saveexec_b64 s[46:47], s[2:3]
	s_cbranch_execnz .LBB18_163
.LBB18_152:                             ;   in Loop: Header=BB18_149 Depth=2
	s_or_b64 exec, exec, s[46:47]
	s_and_saveexec_b64 s[46:47], s[2:3]
	s_cbranch_execz .LBB18_148
	s_branch .LBB18_168
.LBB18_153:                             ;   in Loop: Header=BB18_149 Depth=2
	ds_read_b32 v26, v5
	s_and_b64 vcc, exec, s[34:35]
	s_cbranch_vccz .LBB18_155
; %bb.154:                              ;   in Loop: Header=BB18_149 Depth=2
	v_add_u32_e32 v2, s41, v4
	v_mad_u64_u32 v[2:3], s[48:49], v2, s58, v[0:1]
	s_cbranch_execz .LBB18_156
	s_branch .LBB18_157
.LBB18_155:                             ;   in Loop: Header=BB18_149 Depth=2
                                        ; implicit-def: $vgpr2
.LBB18_156:                             ;   in Loop: Header=BB18_149 Depth=2
	v_add_u32_e32 v2, v17, v4
.LBB18_157:                             ;   in Loop: Header=BB18_149 Depth=2
	v_ashrrev_i32_e32 v3, 31, v2
	v_lshlrev_b64 v[2:3], 2, v[2:3]
	v_mov_b32_e32 v27, s29
	v_add_co_u32_e32 v2, vcc, s28, v2
	v_addc_co_u32_e32 v3, vcc, v27, v3, vcc
	s_waitcnt lgkmcnt(0)
	global_store_dword v[2:3], v26, off
	s_or_b64 exec, exec, s[46:47]
	s_and_saveexec_b64 s[46:47], s[2:3]
	s_cbranch_execz .LBB18_151
.LBB18_158:                             ;   in Loop: Header=BB18_149 Depth=2
	ds_read_b32 v26, v5 offset:8
	s_and_b64 vcc, exec, s[12:13]
	s_cbranch_vccnz .LBB18_160
; %bb.159:                              ;   in Loop: Header=BB18_149 Depth=2
	v_add3_u32 v2, v4, s41, 2
	v_mad_u64_u32 v[2:3], s[48:49], v2, s58, v[0:1]
	s_cbranch_execz .LBB18_161
	s_branch .LBB18_162
.LBB18_160:                             ;   in Loop: Header=BB18_149 Depth=2
                                        ; implicit-def: $vgpr2
.LBB18_161:                             ;   in Loop: Header=BB18_149 Depth=2
	v_add3_u32 v2, v17, v4, 2
.LBB18_162:                             ;   in Loop: Header=BB18_149 Depth=2
	v_ashrrev_i32_e32 v3, 31, v2
	v_lshlrev_b64 v[2:3], 2, v[2:3]
	v_mov_b32_e32 v27, s29
	v_add_co_u32_e32 v2, vcc, s28, v2
	v_addc_co_u32_e32 v3, vcc, v27, v3, vcc
	s_waitcnt lgkmcnt(0)
	global_store_dword v[2:3], v26, off
	s_or_b64 exec, exec, s[46:47]
	s_and_saveexec_b64 s[46:47], s[2:3]
	s_cbranch_execz .LBB18_152
.LBB18_163:                             ;   in Loop: Header=BB18_149 Depth=2
	ds_read_b32 v26, v5 offset:16
	s_and_b64 vcc, exec, s[12:13]
	s_cbranch_vccnz .LBB18_165
; %bb.164:                              ;   in Loop: Header=BB18_149 Depth=2
	v_add3_u32 v2, v4, s41, 4
	v_mad_u64_u32 v[2:3], s[48:49], v2, s58, v[0:1]
	s_cbranch_execz .LBB18_166
	s_branch .LBB18_167
.LBB18_165:                             ;   in Loop: Header=BB18_149 Depth=2
                                        ; implicit-def: $vgpr2
.LBB18_166:                             ;   in Loop: Header=BB18_149 Depth=2
	v_add3_u32 v2, v17, v4, 4
.LBB18_167:                             ;   in Loop: Header=BB18_149 Depth=2
	v_ashrrev_i32_e32 v3, 31, v2
	v_lshlrev_b64 v[2:3], 2, v[2:3]
	v_mov_b32_e32 v27, s29
	v_add_co_u32_e32 v2, vcc, s28, v2
	v_addc_co_u32_e32 v3, vcc, v27, v3, vcc
	s_waitcnt lgkmcnt(0)
	global_store_dword v[2:3], v26, off
	s_or_b64 exec, exec, s[46:47]
	s_and_saveexec_b64 s[46:47], s[2:3]
	s_cbranch_execz .LBB18_148
.LBB18_168:                             ;   in Loop: Header=BB18_149 Depth=2
	ds_read_b32 v26, v5 offset:24
	s_and_b64 vcc, exec, s[12:13]
	s_cbranch_vccnz .LBB18_170
; %bb.169:                              ;   in Loop: Header=BB18_149 Depth=2
	v_add3_u32 v2, v4, s41, 6
	v_mad_u64_u32 v[2:3], s[48:49], v2, s58, v[0:1]
	s_cbranch_execnz .LBB18_147
	s_branch .LBB18_171
.LBB18_170:                             ;   in Loop: Header=BB18_149 Depth=2
                                        ; implicit-def: $vgpr2
.LBB18_171:                             ;   in Loop: Header=BB18_149 Depth=2
	v_add3_u32 v2, v17, v4, 6
	s_branch .LBB18_147
.LBB18_172:
	v_cmp_gt_i32_e64 s[0:1], s58, v1
	s_and_saveexec_b64 s[4:5], s[0:1]
	s_cbranch_execz .LBB18_185
; %bb.173:
	s_mul_i32 s24, s33, s58
	v_add_u32_e32 v2, s24, v0
	s_cmp_lg_u32 s60, 0
	v_mul_lo_u32 v4, v2, s58
	v_mul_u32_u24_e32 v2, 0x84, v0
	v_lshlrev_b32_e32 v3, 2, v1
	s_movk_i32 s8, 0x1080
	s_cselect_b64 s[6:7], -1, 0
	v_cmp_gt_i32_e64 s[2:3], s58, v0
	v_add3_u32 v5, v2, v3, s8
	s_mov_b64 s[8:9], 0
	v_mov_b32_e32 v8, v1
	s_branch .LBB18_175
.LBB18_174:                             ;   in Loop: Header=BB18_175 Depth=1
	s_or_b64 exec, exec, s[12:13]
	v_add_u32_e32 v8, 2, v8
	v_cmp_le_i32_e32 vcc, s58, v8
	s_waitcnt vmcnt(0)
	ds_write_b32 v5, v3
	s_or_b64 s[8:9], vcc, s[8:9]
	v_add_u32_e32 v5, 8, v5
	s_andn2_b64 exec, exec, s[8:9]
	s_cbranch_execz .LBB18_185
.LBB18_175:                             ; =>This Inner Loop Header: Depth=1
	s_and_b64 vcc, exec, s[6:7]
	s_cbranch_vccz .LBB18_180
; %bb.176:                              ;   in Loop: Header=BB18_175 Depth=1
	s_mov_b64 s[12:13], 0
	s_mov_b64 s[10:11], 0
                                        ; implicit-def: $vgpr2
	s_and_saveexec_b64 s[16:17], s[2:3]
	s_xor_b64 s[16:17], exec, s[16:17]
; %bb.177:                              ;   in Loop: Header=BB18_175 Depth=1
	v_add_u32_e32 v2, s24, v8
	s_mov_b64 s[10:11], exec
	v_mad_u64_u32 v[2:3], s[26:27], v2, s58, v[0:1]
; %bb.178:                              ;   in Loop: Header=BB18_175 Depth=1
	s_or_b64 exec, exec, s[16:17]
	s_mov_b32 s16, 0
	s_and_b64 vcc, exec, s[12:13]
	s_cbranch_vccnz .LBB18_181
.LBB18_179:                             ;   in Loop: Header=BB18_175 Depth=1
	v_mov_b32_e32 v3, s16
	s_and_saveexec_b64 s[12:13], s[10:11]
	s_cbranch_execz .LBB18_174
	s_branch .LBB18_184
.LBB18_180:                             ;   in Loop: Header=BB18_175 Depth=1
	s_mov_b64 s[10:11], 0
                                        ; implicit-def: $vgpr2
                                        ; implicit-def: $sgpr16
	s_cbranch_execz .LBB18_179
.LBB18_181:                             ;   in Loop: Header=BB18_175 Depth=1
                                        ; implicit-def: $vgpr2
	s_and_saveexec_b64 s[12:13], s[2:3]
; %bb.182:                              ;   in Loop: Header=BB18_175 Depth=1
	v_add_u32_e32 v2, v4, v8
	s_or_b64 s[10:11], s[10:11], exec
; %bb.183:                              ;   in Loop: Header=BB18_175 Depth=1
	s_or_b64 exec, exec, s[12:13]
	s_mov_b32 s16, 0
	v_mov_b32_e32 v3, s16
	s_and_saveexec_b64 s[12:13], s[10:11]
	s_cbranch_execz .LBB18_174
.LBB18_184:                             ;   in Loop: Header=BB18_175 Depth=1
	v_ashrrev_i32_e32 v3, 31, v2
	v_lshlrev_b64 v[2:3], 2, v[2:3]
	v_mov_b32_e32 v9, s29
	v_add_co_u32_e32 v2, vcc, s28, v2
	v_addc_co_u32_e32 v3, vcc, v9, v3, vcc
	global_load_dword v3, v[2:3], off
	s_branch .LBB18_174
.LBB18_185:
	s_or_b64 exec, exec, s[4:5]
; %bb.186:
	s_cmp_lt_i32 s58, 1
	s_waitcnt lgkmcnt(0)
	s_cbranch_scc1 .LBB18_211
; %bb.187:
	v_or_b32_e32 v2, v1, v0
	s_movk_i32 s34, 0x84
	v_mov_b32_e32 v3, 0x2100
	v_cmp_ne_u32_e64 s[2:3], 0, v2
	v_lshlrev_b32_e32 v2, 2, v0
	v_mul_u32_u24_e32 v4, 0x84, v0
	s_movk_i32 s35, 0x1080
	v_mad_u32_u24 v8, v0, s34, v3
	v_add3_u32 v5, v4, v2, s35
	v_add_u32_e32 v9, v8, v2
	v_lshrrev_b32_e32 v2, 1, v7
	v_add_u32_e32 v3, 1, v2
	v_add_u32_e32 v2, -1, v2
	v_lshrrev_b32_e32 v10, 1, v2
	v_add_u32_e32 v12, 1, v10
	v_lshlrev_b32_e32 v10, 2, v7
	s_brev_b32 s4, -4
	v_cmp_lt_u32_e32 vcc, 33, v7
	v_and_b32_e32 v10, -8, v10
	v_cmp_lt_u32_e64 s[4:5], s4, v7
	v_add_u32_e32 v7, v8, v6
	v_add_u32_e32 v10, v7, v10
	v_cmp_lt_u32_e64 s[6:7], v10, v7
	s_or_b64 s[4:5], s[6:7], s[4:5]
	v_and_b32_e32 v13, -2, v3
	s_xor_b64 s[10:11], s[4:5], -1
	v_lshl_add_u32 v10, v13, 1, v1
	v_and_b32_e32 v11, 7, v12
	v_cmp_lt_u32_e64 s[4:5], 13, v2
	v_mov_b32_e32 v2, 0x1080
	s_mov_b32 s30, 0
	s_add_i32 s31, s20, s21
	v_and_b32_e32 v12, -8, v12
	v_cmp_ne_u32_e64 s[6:7], 0, v11
	v_cmp_ne_u32_e64 s[8:9], v3, v13
	s_and_b64 s[12:13], vcc, s[10:11]
	v_mul_u32_u24_e32 v13, 0x84, v1
	v_mad_u32_u24 v14, v1, s34, v2
	s_mov_b32 s36, 0xf800000
	v_mov_b32_e32 v15, 0x260
	v_mov_b32_e32 v16, 0
	s_movk_i32 s37, 0x108
	v_mul_lo_u32 v17, v10, s34
	v_lshlrev_b32_e32 v18, 2, v10
	s_branch .LBB18_189
.LBB18_188:                             ;   in Loop: Header=BB18_189 Depth=1
	s_or_b64 exec, exec, s[10:11]
	s_add_i32 s30, s30, 1
	s_add_i32 s35, s35, 4
	s_cmp_eq_u32 s30, s58
	v_add_u32_e32 v14, 4, v14
	s_waitcnt lgkmcnt(0)
	s_cbranch_scc1 .LBB18_211
.LBB18_189:                             ; =>This Loop Header: Depth=1
                                        ;     Child Loop BB18_200 Depth 2
                                        ;     Child Loop BB18_204 Depth 2
	;; [unrolled: 1-line block ×3, first 2 shown]
	v_cmp_eq_u32_e32 vcc, s30, v0
	s_and_saveexec_b64 s[16:17], vcc
	s_cbranch_execz .LBB18_191
; %bb.190:                              ;   in Loop: Header=BB18_189 Depth=1
	ds_read_b32 v2, v5
	ds_read_b32 v3, v9
	s_waitcnt lgkmcnt(0)
	v_sub_f32_e32 v2, v2, v3
	v_cmp_gt_f32_e32 vcc, 0, v2
	v_cndmask_b32_e64 v2, v2, -v2, vcc
	v_mul_f32_e32 v3, 0x4f800000, v2
	v_cmp_gt_f32_e32 vcc, s36, v2
	v_cndmask_b32_e32 v2, v2, v3, vcc
	v_sqrt_f32_e32 v3, v2
	v_add_u32_e32 v19, -1, v3
	v_add_u32_e32 v20, 1, v3
	v_fma_f32 v21, -v19, v3, v2
	v_fma_f32 v22, -v20, v3, v2
	v_cmp_ge_f32_e64 s[10:11], 0, v21
	v_cndmask_b32_e64 v3, v3, v19, s[10:11]
	v_cmp_lt_f32_e64 s[10:11], 0, v22
	v_cndmask_b32_e64 v3, v3, v20, s[10:11]
	v_mul_f32_e32 v19, 0x37800000, v3
	v_cndmask_b32_e32 v3, v3, v19, vcc
	v_cmp_class_f32_e32 vcc, v2, v15
	v_cndmask_b32_e32 v2, v3, v2, vcc
	ds_write_b32 v5, v2
.LBB18_191:                             ;   in Loop: Header=BB18_189 Depth=1
	s_or_b64 exec, exec, s[16:17]
	s_lshl_b32 s10, s30, 2
	s_mul_i32 s11, s30, 0x84
	s_add_i32 s11, s11, s10
	v_mov_b32_e32 v2, s11
	s_waitcnt lgkmcnt(0)
	ds_read_b32 v19, v2 offset:4224
	v_mov_b32_e32 v2, s10
	v_mad_u32_u24 v2, v0, s34, v2
	ds_read_b32 v3, v2 offset:4224
	s_waitcnt lgkmcnt(1)
	v_cmp_neq_f32_e32 vcc, 0, v19
	s_or_b64 s[10:11], vcc, s[2:3]
	v_cndmask_b32_e32 v19, 1.0, v19, vcc
	s_xor_b64 s[16:17], s[10:11], -1
	s_and_saveexec_b64 s[10:11], s[16:17]
	s_cbranch_execz .LBB18_195
; %bb.192:                              ;   in Loop: Header=BB18_189 Depth=1
	v_mbcnt_lo_u32_b32 v19, exec_lo, 0
	v_mbcnt_hi_u32_b32 v19, exec_hi, v19
	v_cmp_eq_u32_e32 vcc, 0, v19
	s_and_saveexec_b64 s[16:17], vcc
	s_cbranch_execz .LBB18_194
; %bb.193:                              ;   in Loop: Header=BB18_189 Depth=1
	v_mov_b32_e32 v19, s31
	global_atomic_smin v16, v19, s[22:23]
.LBB18_194:                             ;   in Loop: Header=BB18_189 Depth=1
	s_or_b64 exec, exec, s[16:17]
	v_mov_b32_e32 v19, 1.0
.LBB18_195:                             ;   in Loop: Header=BB18_189 Depth=1
	s_or_b64 exec, exec, s[10:11]
	v_cmp_lt_u32_e32 vcc, s30, v0
	s_and_saveexec_b64 s[10:11], vcc
	s_cbranch_execz .LBB18_188
; %bb.196:                              ;   in Loop: Header=BB18_189 Depth=1
	v_lshl_add_u32 v20, s30, 2, v4
	ds_read_b32 v20, v20 offset:8448
	v_add_u32_e32 v22, 0x1080, v2
	s_waitcnt lgkmcnt(0)
	v_sub_f32_e32 v3, v3, v20
	v_div_scale_f32 v20, s[16:17], v19, v19, v3
	v_rcp_f32_e32 v21, v20
	v_div_scale_f32 v2, vcc, v3, v19, v3
	v_fma_f32 v23, -v20, v21, 1.0
	v_fmac_f32_e32 v21, v23, v21
	v_mul_f32_e32 v23, v2, v21
	v_fma_f32 v24, -v20, v23, v2
	v_fmac_f32_e32 v23, v24, v21
	v_fma_f32 v2, -v20, v23, v2
	v_div_fmas_f32 v2, v2, v21, v23
	v_div_fixup_f32 v2, v2, v19, v3
	ds_write_b32 v22, v2
	s_waitcnt lgkmcnt(0)
	s_and_b64 exec, exec, s[0:1]
	s_cbranch_execz .LBB18_188
; %bb.197:                              ;   in Loop: Header=BB18_189 Depth=1
	s_mov_b64 s[24:25], -1
	v_mov_b32_e32 v3, v1
	v_mov_b32_e32 v19, v13
	;; [unrolled: 1-line block ×3, first 2 shown]
	s_and_saveexec_b64 s[16:17], s[12:13]
	s_cbranch_execz .LBB18_208
; %bb.198:                              ;   in Loop: Header=BB18_189 Depth=1
	v_mov_b32_e32 v3, v2
	v_mov_b32_e32 v22, 0
	s_and_saveexec_b64 s[24:25], s[4:5]
	s_cbranch_execz .LBB18_202
; %bb.199:                              ;   in Loop: Header=BB18_189 Depth=1
	s_mov_b32 s38, 0
	s_mov_b64 s[26:27], 0
	v_mov_b32_e32 v19, v12
	v_mov_b32_e32 v20, v7
	;; [unrolled: 1-line block ×3, first 2 shown]
.LBB18_200:                             ;   Parent Loop BB18_189 Depth=1
                                        ; =>  This Inner Loop Header: Depth=2
	ds_read2_b32 v[22:23], v21 offset1:66
	ds_read2_b32 v[24:25], v20 offset1:2
	ds_read2_b32 v[26:27], v20 offset0:4 offset1:6
	ds_read2_b32 v[28:29], v21 offset0:132 offset1:198
	ds_read2_b32 v[30:31], v20 offset0:8 offset1:10
	v_add_u32_e32 v34, 0x800, v21
	s_waitcnt lgkmcnt(3)
	v_pk_fma_f32 v[22:23], v[2:3], v[22:23], v[24:25]
	ds_write2_b32 v20, v22, v23 offset1:2
	s_waitcnt lgkmcnt(2)
	v_pk_fma_f32 v[22:23], v[2:3], v[28:29], v[26:27]
	ds_write2_b32 v20, v22, v23 offset0:4 offset1:6
	v_add_u32_e32 v24, 0x400, v21
	ds_read2_b32 v[22:23], v24 offset0:8 offset1:74
	ds_read2_b32 v[24:25], v24 offset0:140 offset1:206
	;; [unrolled: 1-line block ×5, first 2 shown]
	v_add_u32_e32 v19, -8, v19
	s_waitcnt lgkmcnt(4)
	v_pk_fma_f32 v[22:23], v[2:3], v[22:23], v[30:31]
	ds_write2_b32 v20, v22, v23 offset0:8 offset1:10
	s_waitcnt lgkmcnt(3)
	v_pk_fma_f32 v[22:23], v[2:3], v[24:25], v[26:27]
	ds_write2_b32 v20, v22, v23 offset0:12 offset1:14
	;; [unrolled: 3-line block ×3, first 2 shown]
	ds_read2_b32 v[22:23], v34 offset0:148 offset1:214
	ds_read2_b32 v[24:25], v20 offset0:20 offset1:22
	v_add_u32_e32 v30, 0xc00, v21
	ds_read2_b32 v[26:27], v30 offset0:24 offset1:90
	ds_read2_b32 v[28:29], v20 offset0:24 offset1:26
	;; [unrolled: 1-line block ×4, first 2 shown]
	s_add_i32 s38, s38, 16
	v_cmp_eq_u32_e32 vcc, 0, v19
	s_waitcnt lgkmcnt(4)
	v_pk_fma_f32 v[22:23], v[2:3], v[22:23], v[24:25]
	ds_write2_b32 v20, v22, v23 offset0:20 offset1:22
	s_waitcnt lgkmcnt(3)
	v_pk_fma_f32 v[22:23], v[2:3], v[26:27], v[28:29]
	ds_write2_b32 v20, v22, v23 offset0:24 offset1:26
	;; [unrolled: 3-line block ×3, first 2 shown]
	v_add_u32_e32 v21, 0x1080, v21
	v_add_u32_e32 v20, 0x80, v20
	s_or_b64 s[26:27], vcc, s[26:27]
	v_mov_b32_e32 v22, s38
	s_andn2_b64 exec, exec, s[26:27]
	s_cbranch_execnz .LBB18_200
; %bb.201:                              ;   in Loop: Header=BB18_189 Depth=1
	s_or_b64 exec, exec, s[26:27]
.LBB18_202:                             ;   in Loop: Header=BB18_189 Depth=1
	s_or_b64 exec, exec, s[24:25]
	s_and_saveexec_b64 s[24:25], s[6:7]
	s_cbranch_execz .LBB18_205
; %bb.203:                              ;   in Loop: Header=BB18_189 Depth=1
	v_lshl_add_u32 v19, v22, 3, v7
	v_mul_lo_u32 v20, v22, s37
	s_mov_b64 s[26:27], 0
	v_mov_b32_e32 v21, v11
.LBB18_204:                             ;   Parent Loop BB18_189 Depth=1
                                        ; =>  This Inner Loop Header: Depth=2
	v_add_u32_e32 v24, v14, v20
	ds_read2_b32 v[22:23], v19 offset1:2
	ds_read2_b32 v[24:25], v24 offset1:66
	v_add_u32_e32 v21, -1, v21
	v_cmp_eq_u32_e32 vcc, 0, v21
	s_or_b64 s[26:27], vcc, s[26:27]
	v_add_u32_e32 v20, 0x210, v20
	s_waitcnt lgkmcnt(0)
	v_pk_fma_f32 v[22:23], v[2:3], v[24:25], v[22:23]
	ds_write2_b32 v19, v22, v23 offset1:2
	v_add_u32_e32 v19, 16, v19
	s_andn2_b64 exec, exec, s[26:27]
	s_cbranch_execnz .LBB18_204
.LBB18_205:                             ;   in Loop: Header=BB18_189 Depth=1
	s_or_b64 exec, exec, s[24:25]
	s_mov_b64 s[24:25], 0
	s_and_saveexec_b64 s[26:27], s[8:9]
; %bb.206:                              ;   in Loop: Header=BB18_189 Depth=1
	s_mov_b64 s[24:25], exec
; %bb.207:                              ;   in Loop: Header=BB18_189 Depth=1
	s_or_b64 exec, exec, s[26:27]
	s_orn2_b64 s[24:25], s[24:25], exec
	v_mov_b32_e32 v3, v10
	v_mov_b32_e32 v19, v17
	;; [unrolled: 1-line block ×3, first 2 shown]
.LBB18_208:                             ;   in Loop: Header=BB18_189 Depth=1
	s_or_b64 exec, exec, s[16:17]
	s_and_b64 exec, exec, s[24:25]
	s_cbranch_execz .LBB18_188
; %bb.209:                              ;   in Loop: Header=BB18_189 Depth=1
	v_add_u32_e32 v19, s35, v19
	v_add_u32_e32 v20, v8, v20
	s_mov_b64 s[16:17], 0
.LBB18_210:                             ;   Parent Loop BB18_189 Depth=1
                                        ; =>  This Inner Loop Header: Depth=2
	ds_read_b32 v21, v19
	ds_read_b32 v22, v20
	v_add_u32_e32 v3, 2, v3
	v_cmp_le_i32_e32 vcc, s58, v3
	v_add_u32_e32 v19, 0x108, v19
	s_or_b64 s[16:17], vcc, s[16:17]
	s_waitcnt lgkmcnt(0)
	v_fmac_f32_e32 v22, v2, v21
	ds_write_b32 v20, v22
	v_add_u32_e32 v20, 8, v20
	s_andn2_b64 exec, exec, s[16:17]
	s_cbranch_execnz .LBB18_210
	s_branch .LBB18_188
.LBB18_211:
	s_and_saveexec_b64 s[2:3], s[0:1]
	s_cbranch_execz .LBB18_220
; %bb.212:
	s_mul_i32 s33, s33, s58
	v_add_u32_e32 v2, s33, v0
	s_cmp_lg_u32 s60, 0
	v_mul_lo_u32 v4, v2, s58
	v_mul_u32_u24_e32 v2, 0x84, v0
	s_movk_i32 s6, 0x1080
	v_cmp_gt_i32_e64 s[0:1], s58, v0
	s_cselect_b64 s[4:5], -1, 0
	v_add3_u32 v5, v2, v6, s6
	s_mov_b64 s[6:7], 0
	v_mov_b32_e32 v6, v1
	s_branch .LBB18_215
.LBB18_213:                             ;   in Loop: Header=BB18_215 Depth=1
	v_ashrrev_i32_e32 v3, 31, v2
	v_lshlrev_b64 v[2:3], 2, v[2:3]
	v_mov_b32_e32 v8, s29
	v_add_co_u32_e32 v2, vcc, s28, v2
	v_addc_co_u32_e32 v3, vcc, v8, v3, vcc
	s_waitcnt lgkmcnt(0)
	global_store_dword v[2:3], v7, off
.LBB18_214:                             ;   in Loop: Header=BB18_215 Depth=1
	s_or_b64 exec, exec, s[8:9]
	v_add_u32_e32 v6, 2, v6
	v_cmp_le_i32_e32 vcc, s58, v6
	s_or_b64 s[6:7], vcc, s[6:7]
	v_add_u32_e32 v5, 8, v5
	s_andn2_b64 exec, exec, s[6:7]
	s_cbranch_execz .LBB18_220
.LBB18_215:                             ; =>This Inner Loop Header: Depth=1
	s_and_saveexec_b64 s[8:9], s[0:1]
	s_cbranch_execz .LBB18_214
; %bb.216:                              ;   in Loop: Header=BB18_215 Depth=1
	ds_read_b32 v7, v5
	s_and_b64 vcc, exec, s[4:5]
	s_cbranch_vccz .LBB18_218
; %bb.217:                              ;   in Loop: Header=BB18_215 Depth=1
	v_add_u32_e32 v2, s33, v6
	v_mad_u64_u32 v[2:3], s[10:11], v2, s58, v[0:1]
	s_cbranch_execnz .LBB18_213
	s_branch .LBB18_219
.LBB18_218:                             ;   in Loop: Header=BB18_215 Depth=1
                                        ; implicit-def: $vgpr2
.LBB18_219:                             ;   in Loop: Header=BB18_215 Depth=1
	v_add_u32_e32 v2, v4, v6
	s_branch .LBB18_213
.LBB18_220:
	s_or_b64 exec, exec, s[2:3]
	v_or_b32_e32 v2, v1, v0
	v_cmp_eq_u32_e64 s[0:1], 0, v2
.LBB18_221:
	s_and_saveexec_b64 s[2:3], s[0:1]
	s_cbranch_execnz .LBB18_229
.LBB18_222:
	s_endpgm
.LBB18_223:
	s_mov_b64 s[0:1], 0
	s_cbranch_execz .LBB18_221
; %bb.224:
	v_or_b32_e32 v0, v1, v0
	v_cmp_eq_u32_e32 vcc, 0, v0
	s_and_saveexec_b64 s[2:3], vcc
	s_cbranch_execz .LBB18_228
; %bb.225:
	v_mbcnt_lo_u32_b32 v0, exec_lo, 0
	v_mbcnt_hi_u32_b32 v0, exec_hi, v0
	v_cmp_eq_u32_e32 vcc, 0, v0
	s_and_saveexec_b64 s[4:5], vcc
	s_cbranch_execz .LBB18_227
; %bb.226:
	s_add_i32 s6, s20, s21
	v_mov_b32_e32 v0, 0
	v_mov_b32_e32 v1, s6
	global_atomic_smin v0, v1, s[22:23]
.LBB18_227:
	s_or_b64 exec, exec, s[4:5]
	s_or_b64 s[0:1], s[0:1], exec
.LBB18_228:
	s_or_b64 exec, exec, s[2:3]
	s_and_saveexec_b64 s[2:3], s[0:1]
	s_cbranch_execz .LBB18_222
.LBB18_229:
	s_add_u32 s0, s18, s14
	s_addc_u32 s1, s19, s15
	v_mov_b32_e32 v0, 0
	v_mov_b32_e32 v1, 1
	s_waitcnt vmcnt(0)
	global_store_dword v0, v1, s[0:1]
	s_endpgm
	.section	.rodata,"a",@progbits
	.p2align	6, 0x0
	.amdhsa_kernel _ZN9rocsparseL19bsric0_17_32_kernelILi64ELi128ELi32EfEEv20rocsparse_direction_iiPKiS3_PT2_S3_PiS3_S6_21rocsparse_index_base_
		.amdhsa_group_segment_fixed_size 14208
		.amdhsa_private_segment_fixed_size 0
		.amdhsa_kernarg_size 76
		.amdhsa_user_sgpr_count 6
		.amdhsa_user_sgpr_private_segment_buffer 1
		.amdhsa_user_sgpr_dispatch_ptr 0
		.amdhsa_user_sgpr_queue_ptr 0
		.amdhsa_user_sgpr_kernarg_segment_ptr 1
		.amdhsa_user_sgpr_dispatch_id 0
		.amdhsa_user_sgpr_flat_scratch_init 0
		.amdhsa_user_sgpr_kernarg_preload_length 0
		.amdhsa_user_sgpr_kernarg_preload_offset 0
		.amdhsa_user_sgpr_private_segment_size 0
		.amdhsa_uses_dynamic_stack 0
		.amdhsa_system_sgpr_private_segment_wavefront_offset 0
		.amdhsa_system_sgpr_workgroup_id_x 1
		.amdhsa_system_sgpr_workgroup_id_y 0
		.amdhsa_system_sgpr_workgroup_id_z 0
		.amdhsa_system_sgpr_workgroup_info 0
		.amdhsa_system_vgpr_workitem_id 1
		.amdhsa_next_free_vgpr 70
		.amdhsa_next_free_sgpr 68
		.amdhsa_accum_offset 72
		.amdhsa_reserve_vcc 1
		.amdhsa_reserve_flat_scratch 0
		.amdhsa_float_round_mode_32 0
		.amdhsa_float_round_mode_16_64 0
		.amdhsa_float_denorm_mode_32 3
		.amdhsa_float_denorm_mode_16_64 3
		.amdhsa_dx10_clamp 1
		.amdhsa_ieee_mode 1
		.amdhsa_fp16_overflow 0
		.amdhsa_tg_split 0
		.amdhsa_exception_fp_ieee_invalid_op 0
		.amdhsa_exception_fp_denorm_src 0
		.amdhsa_exception_fp_ieee_div_zero 0
		.amdhsa_exception_fp_ieee_overflow 0
		.amdhsa_exception_fp_ieee_underflow 0
		.amdhsa_exception_fp_ieee_inexact 0
		.amdhsa_exception_int_div_zero 0
	.end_amdhsa_kernel
	.section	.text._ZN9rocsparseL19bsric0_17_32_kernelILi64ELi128ELi32EfEEv20rocsparse_direction_iiPKiS3_PT2_S3_PiS3_S6_21rocsparse_index_base_,"axG",@progbits,_ZN9rocsparseL19bsric0_17_32_kernelILi64ELi128ELi32EfEEv20rocsparse_direction_iiPKiS3_PT2_S3_PiS3_S6_21rocsparse_index_base_,comdat
.Lfunc_end18:
	.size	_ZN9rocsparseL19bsric0_17_32_kernelILi64ELi128ELi32EfEEv20rocsparse_direction_iiPKiS3_PT2_S3_PiS3_S6_21rocsparse_index_base_, .Lfunc_end18-_ZN9rocsparseL19bsric0_17_32_kernelILi64ELi128ELi32EfEEv20rocsparse_direction_iiPKiS3_PT2_S3_PiS3_S6_21rocsparse_index_base_
                                        ; -- End function
	.section	.AMDGPU.csdata,"",@progbits
; Kernel info:
; codeLenInByte = 7356
; NumSgprs: 72
; NumVgprs: 70
; NumAgprs: 0
; TotalNumVgprs: 70
; ScratchSize: 0
; MemoryBound: 0
; FloatMode: 240
; IeeeMode: 1
; LDSByteSize: 14208 bytes/workgroup (compile time only)
; SGPRBlocks: 8
; VGPRBlocks: 8
; NumSGPRsForWavesPerEU: 72
; NumVGPRsForWavesPerEU: 70
; AccumOffset: 72
; Occupancy: 1
; WaveLimiterHint : 1
; COMPUTE_PGM_RSRC2:SCRATCH_EN: 0
; COMPUTE_PGM_RSRC2:USER_SGPR: 6
; COMPUTE_PGM_RSRC2:TRAP_HANDLER: 0
; COMPUTE_PGM_RSRC2:TGID_X_EN: 1
; COMPUTE_PGM_RSRC2:TGID_Y_EN: 0
; COMPUTE_PGM_RSRC2:TGID_Z_EN: 0
; COMPUTE_PGM_RSRC2:TIDIG_COMP_CNT: 1
; COMPUTE_PGM_RSRC3_GFX90A:ACCUM_OFFSET: 17
; COMPUTE_PGM_RSRC3_GFX90A:TG_SPLIT: 0
	.section	.text._ZN9rocsparseL23bsric0_binsearch_kernelILj32ELj32ELb0EdEEv20rocsparse_direction_iiPKiS3_PT2_S3_PiS3_S6_21rocsparse_index_base_,"axG",@progbits,_ZN9rocsparseL23bsric0_binsearch_kernelILj32ELj32ELb0EdEEv20rocsparse_direction_iiPKiS3_PT2_S3_PiS3_S6_21rocsparse_index_base_,comdat
	.globl	_ZN9rocsparseL23bsric0_binsearch_kernelILj32ELj32ELb0EdEEv20rocsparse_direction_iiPKiS3_PT2_S3_PiS3_S6_21rocsparse_index_base_ ; -- Begin function _ZN9rocsparseL23bsric0_binsearch_kernelILj32ELj32ELb0EdEEv20rocsparse_direction_iiPKiS3_PT2_S3_PiS3_S6_21rocsparse_index_base_
	.p2align	8
	.type	_ZN9rocsparseL23bsric0_binsearch_kernelILj32ELj32ELb0EdEEv20rocsparse_direction_iiPKiS3_PT2_S3_PiS3_S6_21rocsparse_index_base_,@function
_ZN9rocsparseL23bsric0_binsearch_kernelILj32ELj32ELb0EdEEv20rocsparse_direction_iiPKiS3_PT2_S3_PiS3_S6_21rocsparse_index_base_: ; @_ZN9rocsparseL23bsric0_binsearch_kernelILj32ELj32ELb0EdEEv20rocsparse_direction_iiPKiS3_PT2_S3_PiS3_S6_21rocsparse_index_base_
; %bb.0:
	s_load_dwordx8 s[16:23], s[4:5], 0x28
	s_ashr_i32 s7, s6, 31
	s_lshl_b64 s[0:1], s[6:7], 2
	s_waitcnt lgkmcnt(0)
	s_add_u32 s0, s20, s0
	s_addc_u32 s1, s21, s1
	s_load_dword s14, s[0:1], 0x0
	s_waitcnt lgkmcnt(0)
	s_ashr_i32 s15, s14, 31
	s_lshl_b64 s[0:1], s[14:15], 2
	s_add_u32 s0, s16, s0
	s_addc_u32 s1, s17, s1
	s_load_dword s54, s[0:1], 0x0
	s_load_dword s33, s[4:5], 0x48
	v_pk_mov_b32 v[2:3], s[14:15], s[14:15] op_sel:[0,1]
	s_mov_b64 s[0:1], 0
	s_waitcnt lgkmcnt(0)
	s_cmp_lg_u32 s54, -1
	s_cselect_b64 s[2:3], -1, 0
	s_and_saveexec_b64 s[6:7], s[2:3]
	s_xor_b64 s[20:21], exec, s[6:7]
	s_cbranch_execnz .LBB19_4
; %bb.1:
	s_andn2_saveexec_b64 s[2:3], s[20:21]
	s_cbranch_execnz .LBB19_70
.LBB19_2:
	s_or_b64 exec, exec, s[2:3]
	s_and_saveexec_b64 s[2:3], s[0:1]
	s_cbranch_execnz .LBB19_77
.LBB19_3:
	s_endpgm
.LBB19_4:
	s_load_dword s55, s[4:5], 0x8
	s_waitcnt lgkmcnt(0)
	v_cmp_gt_i32_e32 vcc, s55, v0
	s_and_saveexec_b64 s[28:29], vcc
	s_cbranch_execz .LBB19_69
; %bb.5:
	s_load_dwordx4 s[24:27], s[4:5], 0x10
	s_load_dword s6, s[4:5], 0x0
	v_lshlrev_b64 v[4:5], 2, s[14:15]
	v_add_u32_e32 v24, s33, v2
	s_load_dwordx2 s[30:31], s[4:5], 0x20
	s_waitcnt lgkmcnt(0)
	v_mov_b32_e32 v1, s25
	v_add_co_u32_e32 v4, vcc, s24, v4
	v_addc_co_u32_e32 v5, vcc, v1, v5, vcc
	global_load_dwordx2 v[4:5], v[4:5], off
	v_mov_b32_e32 v3, s54
	s_mul_i32 s25, s55, s55
	v_mul_lo_u32 v29, v3, s25
	s_cmp_eq_u32 s6, 0
	s_mov_b32 s36, 0
	v_mov_b32_e32 v30, s27
	s_cselect_b64 s[2:3], -1, 0
	s_cmp_lg_u32 s6, 0
	v_cmp_ne_u32_e64 s[0:1], 0, v0
	s_mov_b64 s[34:35], 0
	v_mov_b32_e32 v25, 0
	s_brev_b32 s37, 8
	v_mov_b32_e32 v26, 0x260
	v_mov_b32_e32 v27, 0x3ff00000
	;; [unrolled: 1-line block ×3, first 2 shown]
	s_cselect_b64 s[38:39], -1, 0
	s_waitcnt vmcnt(0)
	v_subrev_u32_e32 v31, s33, v4
	v_xad_u32 v32, s33, -1, v5
	v_add_u32_e32 v2, v32, v31
	v_ashrrev_i32_e32 v2, 1, v2
	v_ashrrev_i32_e32 v3, 31, v2
	v_lshlrev_b64 v[4:5], 2, v[2:3]
	v_mul_lo_u32 v33, s25, v31
	v_add_co_u32_e32 v4, vcc, s26, v4
	v_cmp_gt_i32_e64 s[4:5], s54, v31
	v_cmp_le_i32_e64 s[6:7], s54, v31
	v_cmp_lt_i32_e64 s[8:9], v31, v32
	v_add_u32_e32 v34, v33, v0
	v_addc_co_u32_e32 v5, vcc, v30, v5, vcc
	v_mov_b32_e32 v3, v0
	s_branch .LBB19_7
.LBB19_6:                               ;   in Loop: Header=BB19_7 Depth=1
	v_add_u32_e32 v3, 32, v3
	v_cmp_le_i32_e32 vcc, s55, v3
	s_or_b64 s[34:35], vcc, s[34:35]
	v_add_u32_e32 v34, 32, v34
	s_andn2_b64 exec, exec, s[34:35]
	s_cbranch_execz .LBB19_69
.LBB19_7:                               ; =>This Loop Header: Depth=1
                                        ;     Child Loop BB19_12 Depth 2
                                        ;       Child Loop BB19_15 Depth 3
                                        ;       Child Loop BB19_19 Depth 3
                                        ;         Child Loop BB19_21 Depth 4
                                        ;         Child Loop BB19_28 Depth 4
                                        ;           Child Loop BB19_30 Depth 5
                                        ;           Child Loop BB19_36 Depth 5
                                        ;     Child Loop BB19_43 Depth 2
                                        ;       Child Loop BB19_47 Depth 3
                                        ;       Child Loop BB19_55 Depth 3
                                        ;         Child Loop BB19_57 Depth 4
                                        ;       Child Loop BB19_65 Depth 3
	v_mul_lo_u32 v35, v3, s55
                                        ; implicit-def: $sgpr10_sgpr11
	s_and_saveexec_b64 s[12:13], s[6:7]
	s_xor_b64 s[12:13], exec, s[12:13]
; %bb.8:                                ;   in Loop: Header=BB19_7 Depth=1
	v_mul_lo_u32 v35, v3, s55
	s_mov_b64 s[10:11], 0
; %bb.9:                                ;   in Loop: Header=BB19_7 Depth=1
	s_or_saveexec_b64 s[40:41], s[12:13]
	v_pk_mov_b32 v[6:7], s[10:11], s[10:11] op_sel:[0,1]
	s_xor_b64 exec, exec, s[40:41]
	s_cbranch_execz .LBB19_40
; %bb.10:                               ;   in Loop: Header=BB19_7 Depth=1
	s_mov_b64 s[42:43], 0
	v_pk_mov_b32 v[6:7], 0, 0
	v_mov_b32_e32 v8, v31
	s_branch .LBB19_12
.LBB19_11:                              ;   in Loop: Header=BB19_12 Depth=2
	s_or_b64 exec, exec, s[44:45]
	v_add_u32_e32 v8, 1, v8
	v_cmp_le_i32_e32 vcc, s54, v8
	s_xor_b64 s[10:11], s[10:11], -1
	s_or_b64 s[10:11], s[10:11], vcc
	s_and_b64 s[10:11], exec, s[10:11]
	s_or_b64 s[42:43], s[10:11], s[42:43]
	s_andn2_b64 exec, exec, s[42:43]
	s_cbranch_execz .LBB19_39
.LBB19_12:                              ;   Parent Loop BB19_7 Depth=1
                                        ; =>  This Loop Header: Depth=2
                                        ;       Child Loop BB19_15 Depth 3
                                        ;       Child Loop BB19_19 Depth 3
                                        ;         Child Loop BB19_21 Depth 4
                                        ;         Child Loop BB19_28 Depth 4
                                        ;           Child Loop BB19_30 Depth 5
                                        ;           Child Loop BB19_36 Depth 5
	v_ashrrev_i32_e32 v9, 31, v8
	v_lshlrev_b64 v[10:11], 2, v[8:9]
	v_add_co_u32_e32 v10, vcc, s26, v10
	v_addc_co_u32_e32 v11, vcc, v30, v11, vcc
	global_load_dword v9, v[10:11], off
	v_mov_b32_e32 v15, s17
	s_waitcnt vmcnt(0)
	v_subrev_u32_e32 v10, s33, v9
	v_ashrrev_i32_e32 v11, 31, v10
	v_lshlrev_b64 v[12:13], 2, v[10:11]
	v_add_co_u32_e32 v14, vcc, s16, v12
	v_addc_co_u32_e32 v15, vcc, v15, v13, vcc
	global_load_dword v36, v[14:15], off
	s_waitcnt vmcnt(0)
	v_cmp_ne_u32_e64 s[10:11], -1, v36
	s_and_saveexec_b64 s[44:45], s[10:11]
	s_cbranch_execz .LBB19_11
; %bb.13:                               ;   in Loop: Header=BB19_12 Depth=2
	v_add_co_u32_e32 v14, vcc, s24, v12
	v_addc_co_u32_e32 v15, vcc, v1, v13, vcc
	global_load_dword v11, v[14:15], off
	v_mov_b32_e32 v14, s19
	v_add_co_u32_e32 v12, vcc, s18, v12
	v_addc_co_u32_e32 v13, vcc, v14, v13, vcc
	global_load_dword v14, v[12:13], off glc
	s_waitcnt vmcnt(0)
	v_cmp_eq_u32_e32 vcc, 0, v14
	s_and_saveexec_b64 s[12:13], vcc
	s_cbranch_execz .LBB19_16
; %bb.14:                               ;   in Loop: Header=BB19_12 Depth=2
	s_mov_b64 s[46:47], 0
.LBB19_15:                              ;   Parent Loop BB19_7 Depth=1
                                        ;     Parent Loop BB19_12 Depth=2
                                        ; =>    This Inner Loop Header: Depth=3
	global_load_dword v14, v[12:13], off glc
	s_waitcnt vmcnt(0)
	v_cmp_ne_u32_e32 vcc, 0, v14
	s_or_b64 s[46:47], vcc, s[46:47]
	s_andn2_b64 exec, exec, s[46:47]
	s_cbranch_execnz .LBB19_15
.LBB19_16:                              ;   in Loop: Header=BB19_12 Depth=2
	s_or_b64 exec, exec, s[12:13]
	v_subrev_u32_e32 v37, s33, v11
	v_mul_lo_u32 v38, v10, s55
	v_mul_lo_u32 v10, v8, s25
	;; [unrolled: 1-line block ×3, first 2 shown]
	v_add_u32_e32 v40, v10, v3
	v_add_u32_e32 v41, v10, v35
	v_cmp_le_i32_e64 s[12:13], v37, v36
	v_mul_lo_u32 v42, s25, v37
	s_mov_b32 s56, 0
	buffer_wbinvl1_vol
	s_branch .LBB19_19
.LBB19_17:                              ;   in Loop: Header=BB19_19 Depth=3
	s_or_b64 exec, exec, s[48:49]
.LBB19_18:                              ;   in Loop: Header=BB19_19 Depth=3
	s_or_b64 exec, exec, s[46:47]
	s_waitcnt vmcnt(0)
	v_add_f64 v[14:15], v[14:15], -v[16:17]
	v_div_scale_f64 v[16:17], s[46:47], v[10:11], v[10:11], v[14:15]
	v_rcp_f64_e32 v[18:19], v[16:17]
	v_div_scale_f64 v[20:21], vcc, v[14:15], v[10:11], v[14:15]
	s_add_i32 s56, s56, 1
	v_fma_f64 v[22:23], -v[16:17], v[18:19], 1.0
	v_fmac_f64_e32 v[18:19], v[18:19], v[22:23]
	v_fma_f64 v[22:23], -v[16:17], v[18:19], 1.0
	v_fmac_f64_e32 v[18:19], v[18:19], v[22:23]
	v_mul_f64 v[22:23], v[20:21], v[18:19]
	v_fma_f64 v[16:17], -v[16:17], v[22:23], v[20:21]
	v_div_fmas_f64 v[16:17], v[16:17], v[18:19], v[22:23]
	v_div_fixup_f64 v[10:11], v[16:17], v[10:11], v[14:15]
	v_fmac_f64_e32 v[6:7], v[10:11], v[10:11]
	s_cmp_eq_u32 s56, s55
	v_add_u32_e32 v42, 1, v42
	global_store_dwordx2 v[12:13], v[10:11], off
	s_cbranch_scc1 .LBB19_11
.LBB19_19:                              ;   Parent Loop BB19_7 Depth=1
                                        ;     Parent Loop BB19_12 Depth=2
                                        ; =>    This Loop Header: Depth=3
                                        ;         Child Loop BB19_21 Depth 4
                                        ;         Child Loop BB19_28 Depth 4
                                        ;           Child Loop BB19_30 Depth 5
                                        ;           Child Loop BB19_36 Depth 5
	s_mul_i32 s57, s56, s55
	s_add_i32 s46, s57, s56
	v_add_u32_e32 v10, s46, v39
	v_ashrrev_i32_e32 v11, 31, v10
	v_lshlrev_b64 v[10:11], 3, v[10:11]
	v_mov_b32_e32 v12, s31
	v_add_co_u32_e32 v10, vcc, s30, v10
	v_addc_co_u32_e32 v11, vcc, v12, v11, vcc
	global_load_dwordx2 v[10:11], v[10:11], off
	s_waitcnt vmcnt(0)
	v_cmp_neq_f64_e32 vcc, 0, v[10:11]
	s_or_b64 s[46:47], vcc, s[0:1]
	v_cndmask_b32_e32 v11, v27, v11, vcc
	s_xor_b64 s[48:49], s[46:47], -1
	v_cndmask_b32_e32 v10, 0, v10, vcc
	s_and_saveexec_b64 s[46:47], s[48:49]
	s_cbranch_execz .LBB19_25
; %bb.20:                               ;   in Loop: Header=BB19_19 Depth=3
	s_mov_b64 s[48:49], exec
	s_brev_b32 s50, -2
.LBB19_21:                              ;   Parent Loop BB19_7 Depth=1
                                        ;     Parent Loop BB19_12 Depth=2
                                        ;       Parent Loop BB19_19 Depth=3
                                        ; =>      This Inner Loop Header: Depth=4
	s_ff1_i32_b64 s51, s[48:49]
	v_readlane_b32 s58, v9, s51
	s_lshl_b64 s[52:53], 1, s51
	s_min_i32 s50, s50, s58
	s_andn2_b64 s[48:49], s[48:49], s[52:53]
	s_cmp_lg_u64 s[48:49], 0
	s_cbranch_scc1 .LBB19_21
; %bb.22:                               ;   in Loop: Header=BB19_19 Depth=3
	v_mbcnt_lo_u32_b32 v10, exec_lo, 0
	v_mbcnt_hi_u32_b32 v10, exec_hi, v10
	v_cmp_eq_u32_e32 vcc, 0, v10
	s_and_saveexec_b64 s[48:49], vcc
	s_xor_b64 s[48:49], exec, s[48:49]
	s_cbranch_execz .LBB19_24
; %bb.23:                               ;   in Loop: Header=BB19_19 Depth=3
	v_mov_b32_e32 v10, s50
	global_atomic_smin v25, v10, s[22:23]
.LBB19_24:                              ;   in Loop: Header=BB19_19 Depth=3
	s_or_b64 exec, exec, s[48:49]
	v_mov_b32_e32 v10, 0
	v_mov_b32_e32 v11, 0x3ff00000
.LBB19_25:                              ;   in Loop: Header=BB19_19 Depth=3
	s_or_b64 exec, exec, s[46:47]
	v_add_u32_e32 v12, s57, v40
	v_add_u32_e32 v13, s56, v41
	v_cndmask_b32_e64 v12, v12, v13, s[2:3]
	v_ashrrev_i32_e32 v13, 31, v12
	v_lshlrev_b64 v[12:13], 3, v[12:13]
	v_mov_b32_e32 v14, s31
	v_add_co_u32_e32 v12, vcc, s30, v12
	v_addc_co_u32_e32 v13, vcc, v14, v13, vcc
	global_load_dwordx2 v[14:15], v[12:13], off
	v_pk_mov_b32 v[16:17], 0, 0
	s_and_saveexec_b64 s[46:47], s[12:13]
	s_cbranch_execz .LBB19_18
; %bb.26:                               ;   in Loop: Header=BB19_19 Depth=3
	global_load_dword v43, v[4:5], off
	v_add_u32_e32 v44, s56, v38
	s_mov_b64 s[48:49], 0
	v_pk_mov_b32 v[16:17], 0, 0
	v_mov_b32_e32 v45, v42
	v_mov_b32_e32 v18, v37
	s_branch .LBB19_28
.LBB19_27:                              ;   in Loop: Header=BB19_28 Depth=4
	s_or_b64 exec, exec, s[50:51]
	v_add_u32_e32 v19, 1, v18
	v_cmp_ge_i32_e32 vcc, v18, v36
	v_add_u32_e32 v45, s25, v45
	s_or_b64 s[48:49], vcc, s[48:49]
	v_mov_b32_e32 v18, v19
	s_andn2_b64 exec, exec, s[48:49]
	s_cbranch_execz .LBB19_17
.LBB19_28:                              ;   Parent Loop BB19_7 Depth=1
                                        ;     Parent Loop BB19_12 Depth=2
                                        ;       Parent Loop BB19_19 Depth=3
                                        ; =>      This Loop Header: Depth=4
                                        ;           Child Loop BB19_30 Depth 5
                                        ;           Child Loop BB19_36 Depth 5
	v_ashrrev_i32_e32 v19, 31, v18
	v_lshlrev_b64 v[20:21], 2, v[18:19]
	v_mov_b32_e32 v19, s27
	v_add_co_u32_e32 v20, vcc, s26, v20
	v_addc_co_u32_e32 v21, vcc, v19, v21, vcc
	global_load_dword v19, v[20:21], off
	s_waitcnt vmcnt(1)
	v_mov_b32_e32 v21, v43
	v_mov_b32_e32 v20, v2
	s_and_saveexec_b64 s[50:51], s[8:9]
	s_cbranch_execz .LBB19_32
; %bb.29:                               ;   in Loop: Header=BB19_28 Depth=4
	s_mov_b64 s[52:53], 0
	v_mov_b32_e32 v21, v43
	v_mov_b32_e32 v20, v2
	;; [unrolled: 1-line block ×4, first 2 shown]
.LBB19_30:                              ;   Parent Loop BB19_7 Depth=1
                                        ;     Parent Loop BB19_12 Depth=2
                                        ;       Parent Loop BB19_19 Depth=3
                                        ;         Parent Loop BB19_28 Depth=4
                                        ; =>        This Inner Loop Header: Depth=5
	v_add_u32_e32 v46, 1, v20
	s_waitcnt vmcnt(0)
	v_cmp_lt_i32_e32 vcc, v21, v19
	v_cndmask_b32_e32 v23, v23, v46, vcc
	v_cndmask_b32_e32 v22, v20, v22, vcc
	v_add_u32_e32 v20, v22, v23
	v_ashrrev_i32_e32 v20, 1, v20
	v_ashrrev_i32_e32 v21, 31, v20
	v_lshlrev_b64 v[46:47], 2, v[20:21]
	v_mov_b32_e32 v21, s27
	v_add_co_u32_e32 v46, vcc, s26, v46
	v_addc_co_u32_e32 v47, vcc, v21, v47, vcc
	global_load_dword v21, v[46:47], off
	v_cmp_ge_i32_e32 vcc, v23, v22
	s_or_b64 s[52:53], vcc, s[52:53]
	s_andn2_b64 exec, exec, s[52:53]
	s_cbranch_execnz .LBB19_30
; %bb.31:                               ;   in Loop: Header=BB19_28 Depth=4
	s_or_b64 exec, exec, s[52:53]
.LBB19_32:                              ;   in Loop: Header=BB19_28 Depth=4
	s_or_b64 exec, exec, s[50:51]
	s_waitcnt vmcnt(0)
	v_cmp_eq_u32_e32 vcc, v21, v19
	s_and_saveexec_b64 s[50:51], vcc
	s_cbranch_execz .LBB19_27
; %bb.33:                               ;   in Loop: Header=BB19_28 Depth=4
	v_subrev_u32_e32 v19, s33, v19
	v_mul_lo_u32 v21, v18, s25
	v_mul_lo_u32 v20, v20, s25
	;; [unrolled: 1-line block ×3, first 2 shown]
	v_add_u32_e32 v46, s57, v21
	v_add_u32_e32 v47, v20, v35
	;; [unrolled: 1-line block ×3, first 2 shown]
	s_mov_b32 s58, 0
	v_mov_b32_e32 v49, v45
	s_branch .LBB19_36
.LBB19_34:                              ;   in Loop: Header=BB19_36 Depth=5
	v_ashrrev_i32_e32 v23, 31, v22
	v_lshlrev_b64 v[22:23], 3, v[22:23]
	v_mov_b32_e32 v50, s31
	v_add_co_u32_e32 v22, vcc, s30, v22
	v_ashrrev_i32_e32 v21, 31, v20
	v_addc_co_u32_e32 v23, vcc, v50, v23, vcc
	v_lshlrev_b64 v[20:21], 3, v[20:21]
	v_add_co_u32_e32 v20, vcc, s30, v20
	v_addc_co_u32_e32 v21, vcc, v50, v21, vcc
	global_load_dwordx2 v[22:23], v[22:23], off
	s_nop 0
	global_load_dwordx2 v[20:21], v[20:21], off
	s_waitcnt vmcnt(0)
	v_fmac_f64_e32 v[16:17], v[22:23], v[20:21]
.LBB19_35:                              ;   in Loop: Header=BB19_36 Depth=5
	s_or_b64 exec, exec, s[52:53]
	s_add_i32 s58, s58, 1
	v_add_u32_e32 v48, s55, v48
	s_cmp_lg_u32 s55, s58
	v_add_u32_e32 v49, s55, v49
	s_cbranch_scc0 .LBB19_27
.LBB19_36:                              ;   Parent Loop BB19_7 Depth=1
                                        ;     Parent Loop BB19_12 Depth=2
                                        ;       Parent Loop BB19_19 Depth=3
                                        ;         Parent Loop BB19_28 Depth=4
                                        ; =>        This Inner Loop Header: Depth=5
	v_add_u32_e32 v20, s58, v19
	v_cmp_lt_i32_e32 vcc, v20, v44
	s_and_saveexec_b64 s[52:53], vcc
	s_cbranch_execz .LBB19_35
; %bb.37:                               ;   in Loop: Header=BB19_36 Depth=5
	s_andn2_b64 vcc, exec, s[2:3]
	v_mov_b32_e32 v20, v48
	v_mov_b32_e32 v22, v49
	s_cbranch_vccnz .LBB19_34
; %bb.38:                               ;   in Loop: Header=BB19_36 Depth=5
	v_add_u32_e32 v22, s58, v46
	v_add_u32_e32 v20, s58, v47
	s_branch .LBB19_34
.LBB19_39:                              ;   in Loop: Header=BB19_7 Depth=1
	s_or_b64 exec, exec, s[42:43]
.LBB19_40:                              ;   in Loop: Header=BB19_7 Depth=1
	s_or_b64 exec, exec, s[40:41]
	v_add_u32_e32 v20, v35, v29
	s_mov_b32 s44, 0
	v_mov_b32_e32 v21, v33
	s_branch .LBB19_43
.LBB19_41:                              ;   in Loop: Header=BB19_43 Depth=2
	s_waitcnt vmcnt(0)
	v_add_f64 v[12:13], v[12:13], -v[14:15]
	v_div_scale_f64 v[14:15], s[12:13], v[8:9], v[8:9], v[12:13]
	v_rcp_f64_e32 v[16:17], v[14:15]
	v_div_scale_f64 v[18:19], vcc, v[12:13], v[8:9], v[12:13]
	v_fma_f64 v[22:23], -v[14:15], v[16:17], 1.0
	v_fmac_f64_e32 v[16:17], v[16:17], v[22:23]
	v_fma_f64 v[22:23], -v[14:15], v[16:17], 1.0
	v_fmac_f64_e32 v[16:17], v[16:17], v[22:23]
	v_mul_f64 v[22:23], v[18:19], v[16:17]
	v_fma_f64 v[14:15], -v[14:15], v[22:23], v[18:19]
	v_div_fmas_f64 v[14:15], v[14:15], v[16:17], v[22:23]
	v_div_fixup_f64 v[8:9], v[14:15], v[8:9], v[12:13]
	v_fmac_f64_e32 v[6:7], v[8:9], v[8:9]
	global_store_dwordx2 v[10:11], v[8:9], off
.LBB19_42:                              ;   in Loop: Header=BB19_43 Depth=2
	s_or_b64 exec, exec, s[10:11]
	s_add_i32 s44, s44, 1
	s_cmp_eq_u32 s44, s55
	v_add_u32_e32 v21, 1, v21
	s_waitcnt vmcnt(0)
	buffer_wbinvl1_vol
	s_cbranch_scc1 .LBB19_6
.LBB19_43:                              ;   Parent Loop BB19_7 Depth=1
                                        ; =>  This Loop Header: Depth=2
                                        ;       Child Loop BB19_47 Depth 3
                                        ;       Child Loop BB19_55 Depth 3
                                        ;         Child Loop BB19_57 Depth 4
                                        ;       Child Loop BB19_65 Depth 3
	s_mul_i32 s45, s44, s55
	v_add_u32_e32 v22, s45, v29
	v_add_u32_e32 v8, s44, v22
	v_ashrrev_i32_e32 v9, 31, v8
	v_cmp_eq_u32_e32 vcc, s44, v3
	v_lshlrev_b64 v[8:9], 3, v[8:9]
	s_and_saveexec_b64 s[10:11], vcc
	s_cbranch_execz .LBB19_45
; %bb.44:                               ;   in Loop: Header=BB19_43 Depth=2
	v_mov_b32_e32 v11, s31
	v_add_co_u32_e32 v10, vcc, s30, v8
	v_addc_co_u32_e32 v11, vcc, v11, v9, vcc
	global_load_dwordx2 v[12:13], v[10:11], off
	s_waitcnt vmcnt(0)
	v_add_f64 v[12:13], v[12:13], -v[6:7]
	v_xor_b32_e32 v14, 0x80000000, v13
	v_cmp_gt_f64_e32 vcc, 0, v[12:13]
	v_cndmask_b32_e32 v13, v13, v14, vcc
	v_cndmask_b32_e32 v12, v12, v12, vcc
	v_cmp_gt_f64_e32 vcc, s[36:37], v[12:13]
	v_cndmask_b32_e64 v14, 0, 1, vcc
	v_lshlrev_b32_e32 v14, 8, v14
	v_ldexp_f64 v[12:13], v[12:13], v14
	v_rsq_f64_e32 v[14:15], v[12:13]
	v_cndmask_b32_e32 v23, 0, v28, vcc
	v_cmp_class_f64_e32 vcc, v[12:13], v26
	v_mul_f64 v[16:17], v[12:13], v[14:15]
	v_mul_f64 v[14:15], v[14:15], 0.5
	v_fma_f64 v[18:19], -v[14:15], v[16:17], 0.5
	v_fmac_f64_e32 v[16:17], v[16:17], v[18:19]
	v_fmac_f64_e32 v[14:15], v[14:15], v[18:19]
	v_fma_f64 v[18:19], -v[16:17], v[16:17], v[12:13]
	v_fmac_f64_e32 v[16:17], v[18:19], v[14:15]
	v_fma_f64 v[18:19], -v[16:17], v[16:17], v[12:13]
	v_fmac_f64_e32 v[16:17], v[18:19], v[14:15]
	v_ldexp_f64 v[14:15], v[16:17], v23
	v_cndmask_b32_e32 v13, v15, v13, vcc
	v_cndmask_b32_e32 v12, v14, v12, vcc
	global_store_dwordx2 v[10:11], v[12:13], off
.LBB19_45:                              ;   in Loop: Header=BB19_43 Depth=2
	s_or_b64 exec, exec, s[10:11]
	v_mov_b32_e32 v10, s31
	v_add_co_u32_e32 v8, vcc, s30, v8
	v_addc_co_u32_e32 v9, vcc, v10, v9, vcc
	s_waitcnt vmcnt(0)
	buffer_wbinvl1_vol
	global_load_dwordx2 v[8:9], v[8:9], off
	s_waitcnt vmcnt(0)
	v_cmp_neq_f64_e32 vcc, 0, v[8:9]
	s_or_b64 s[10:11], vcc, s[0:1]
	v_cndmask_b32_e32 v9, v27, v9, vcc
	s_xor_b64 s[12:13], s[10:11], -1
	v_cndmask_b32_e32 v8, 0, v8, vcc
	s_and_saveexec_b64 s[10:11], s[12:13]
	s_cbranch_execz .LBB19_51
; %bb.46:                               ;   in Loop: Header=BB19_43 Depth=2
	s_mov_b64 s[12:13], exec
	s_brev_b32 s40, -2
.LBB19_47:                              ;   Parent Loop BB19_7 Depth=1
                                        ;     Parent Loop BB19_43 Depth=2
                                        ; =>    This Inner Loop Header: Depth=3
	s_ff1_i32_b64 s41, s[12:13]
	v_readlane_b32 s46, v24, s41
	s_lshl_b64 s[42:43], 1, s41
	s_min_i32 s40, s40, s46
	s_andn2_b64 s[12:13], s[12:13], s[42:43]
	s_cmp_lg_u64 s[12:13], 0
	s_cbranch_scc1 .LBB19_47
; %bb.48:                               ;   in Loop: Header=BB19_43 Depth=2
	v_mbcnt_lo_u32_b32 v8, exec_lo, 0
	v_mbcnt_hi_u32_b32 v8, exec_hi, v8
	v_cmp_eq_u32_e32 vcc, 0, v8
	s_and_saveexec_b64 s[12:13], vcc
	s_xor_b64 s[12:13], exec, s[12:13]
	s_cbranch_execz .LBB19_50
; %bb.49:                               ;   in Loop: Header=BB19_43 Depth=2
	v_mov_b32_e32 v8, s40
	global_atomic_smin v25, v8, s[22:23]
.LBB19_50:                              ;   in Loop: Header=BB19_43 Depth=2
	s_or_b64 exec, exec, s[12:13]
	v_mov_b32_e32 v8, 0
	v_mov_b32_e32 v9, 0x3ff00000
.LBB19_51:                              ;   in Loop: Header=BB19_43 Depth=2
	s_or_b64 exec, exec, s[10:11]
	v_cmp_lt_i32_e32 vcc, s44, v3
	s_and_saveexec_b64 s[10:11], vcc
	s_cbranch_execz .LBB19_42
; %bb.52:                               ;   in Loop: Header=BB19_43 Depth=2
	v_add_u32_e32 v10, v22, v3
	v_add_u32_e32 v11, s44, v20
	v_cndmask_b32_e64 v10, v10, v11, s[2:3]
	v_ashrrev_i32_e32 v11, 31, v10
	v_lshlrev_b64 v[10:11], 3, v[10:11]
	v_mov_b32_e32 v12, s31
	v_add_co_u32_e32 v10, vcc, s30, v10
	v_addc_co_u32_e32 v11, vcc, v12, v11, vcc
	global_load_dwordx2 v[12:13], v[10:11], off
	v_pk_mov_b32 v[14:15], 0, 0
	s_and_saveexec_b64 s[12:13], s[4:5]
	s_cbranch_execz .LBB19_62
; %bb.53:                               ;   in Loop: Header=BB19_43 Depth=2
	s_mov_b64 s[40:41], 0
	v_pk_mov_b32 v[14:15], 0, 0
	v_mov_b32_e32 v23, v21
	v_mov_b32_e32 v36, v34
	;; [unrolled: 1-line block ×3, first 2 shown]
	s_branch .LBB19_55
.LBB19_54:                              ;   in Loop: Header=BB19_55 Depth=3
	v_add_u32_e32 v37, 1, v37
	v_cmp_le_i32_e32 vcc, s54, v37
	v_add_u32_e32 v36, s25, v36
	s_or_b64 s[40:41], vcc, s[40:41]
	v_add_u32_e32 v23, s25, v23
	s_andn2_b64 exec, exec, s[40:41]
	s_cbranch_execz .LBB19_61
.LBB19_55:                              ;   Parent Loop BB19_7 Depth=1
                                        ;     Parent Loop BB19_43 Depth=2
                                        ; =>    This Loop Header: Depth=3
                                        ;         Child Loop BB19_57 Depth 4
	v_mul_lo_u32 v16, v37, s25
	v_add_u32_e32 v38, s45, v16
	v_add_u32_e32 v39, v16, v35
	s_mov_b32 s46, 0
	s_mov_b32 s47, s55
	;; [unrolled: 1-line block ×3, first 2 shown]
	s_branch .LBB19_57
.LBB19_56:                              ;   in Loop: Header=BB19_57 Depth=4
	v_ashrrev_i32_e32 v19, 31, v18
	v_lshlrev_b64 v[18:19], 3, v[18:19]
	v_mov_b32_e32 v40, s31
	v_add_co_u32_e32 v18, vcc, s30, v18
	v_ashrrev_i32_e32 v17, 31, v16
	v_addc_co_u32_e32 v19, vcc, v40, v19, vcc
	v_lshlrev_b64 v[16:17], 3, v[16:17]
	v_add_co_u32_e32 v16, vcc, s30, v16
	v_addc_co_u32_e32 v17, vcc, v40, v17, vcc
	global_load_dwordx2 v[18:19], v[18:19], off
	s_nop 0
	global_load_dwordx2 v[16:17], v[16:17], off
	s_add_i32 s48, s48, 1
	s_add_i32 s46, s46, s55
	s_add_i32 s47, s47, -1
	s_cmp_eq_u32 s47, 0
	s_waitcnt vmcnt(0)
	v_fmac_f64_e32 v[14:15], v[18:19], v[16:17]
	s_cbranch_scc1 .LBB19_54
.LBB19_57:                              ;   Parent Loop BB19_7 Depth=1
                                        ;     Parent Loop BB19_43 Depth=2
                                        ;       Parent Loop BB19_55 Depth=3
                                        ; =>      This Inner Loop Header: Depth=4
	s_and_b64 vcc, exec, s[38:39]
	s_cbranch_vccz .LBB19_59
; %bb.58:                               ;   in Loop: Header=BB19_57 Depth=4
	v_add_u32_e32 v18, s46, v23
	v_add_u32_e32 v16, s46, v36
	s_cbranch_execnz .LBB19_56
	s_branch .LBB19_60
.LBB19_59:                              ;   in Loop: Header=BB19_57 Depth=4
                                        ; implicit-def: $vgpr18
                                        ; implicit-def: $vgpr16
.LBB19_60:                              ;   in Loop: Header=BB19_57 Depth=4
	v_add_u32_e32 v18, s48, v38
	v_add_u32_e32 v16, s48, v39
	s_branch .LBB19_56
.LBB19_61:                              ;   in Loop: Header=BB19_43 Depth=2
	s_or_b64 exec, exec, s[40:41]
.LBB19_62:                              ;   in Loop: Header=BB19_43 Depth=2
	s_or_b64 exec, exec, s[12:13]
	s_cmp_eq_u32 s44, 0
	s_cbranch_scc1 .LBB19_41
; %bb.63:                               ;   in Loop: Header=BB19_43 Depth=2
	s_mov_b32 s40, 0
	v_mov_b32_e32 v23, v29
	s_branch .LBB19_65
.LBB19_64:                              ;   in Loop: Header=BB19_65 Depth=3
	v_ashrrev_i32_e32 v19, 31, v18
	v_lshlrev_b64 v[18:19], 3, v[18:19]
	v_mov_b32_e32 v36, s31
	v_add_co_u32_e32 v18, vcc, s30, v18
	v_ashrrev_i32_e32 v17, 31, v16
	v_addc_co_u32_e32 v19, vcc, v36, v19, vcc
	v_lshlrev_b64 v[16:17], 3, v[16:17]
	v_add_co_u32_e32 v16, vcc, s30, v16
	v_addc_co_u32_e32 v17, vcc, v36, v17, vcc
	global_load_dwordx2 v[36:37], v[18:19], off
	global_load_dwordx2 v[38:39], v[16:17], off
	s_add_i32 s40, s40, 1
	s_cmp_ge_u32 s40, s44
	v_add_u32_e32 v23, s55, v23
	s_waitcnt vmcnt(0)
	v_fmac_f64_e32 v[14:15], v[36:37], v[38:39]
	s_cbranch_scc1 .LBB19_41
.LBB19_65:                              ;   Parent Loop BB19_7 Depth=1
                                        ;     Parent Loop BB19_43 Depth=2
                                        ; =>    This Inner Loop Header: Depth=3
	s_and_b64 vcc, exec, s[38:39]
	s_cbranch_vccz .LBB19_67
; %bb.66:                               ;   in Loop: Header=BB19_65 Depth=3
	v_add_u32_e32 v18, s44, v23
	v_add_u32_e32 v16, v3, v23
	s_cbranch_execnz .LBB19_64
	s_branch .LBB19_68
.LBB19_67:                              ;   in Loop: Header=BB19_65 Depth=3
                                        ; implicit-def: $vgpr18
                                        ; implicit-def: $vgpr16
.LBB19_68:                              ;   in Loop: Header=BB19_65 Depth=3
	v_add_u32_e32 v18, s40, v22
	v_add_u32_e32 v16, s40, v20
	s_branch .LBB19_64
.LBB19_69:
	s_or_b64 exec, exec, s[28:29]
	v_cmp_eq_u32_e32 vcc, 31, v0
	s_and_b64 s[0:1], vcc, exec
                                        ; implicit-def: $vgpr0
                                        ; implicit-def: $vgpr2_vgpr3
	s_andn2_saveexec_b64 s[2:3], s[20:21]
	s_cbranch_execz .LBB19_2
.LBB19_70:
	v_cmp_eq_u32_e32 vcc, 31, v0
	s_mov_b64 s[6:7], s[0:1]
	s_and_saveexec_b64 s[4:5], vcc
	s_cbranch_execz .LBB19_76
; %bb.71:
	s_mov_b64 s[6:7], exec
	v_add_u32_e32 v0, s33, v2
	s_brev_b32 s8, -2
.LBB19_72:                              ; =>This Inner Loop Header: Depth=1
	s_ff1_i32_b64 s9, s[6:7]
	v_readlane_b32 s12, v0, s9
	s_lshl_b64 s[10:11], 1, s9
	s_min_i32 s8, s8, s12
	s_andn2_b64 s[6:7], s[6:7], s[10:11]
	s_cmp_lg_u64 s[6:7], 0
	s_cbranch_scc1 .LBB19_72
; %bb.73:
	v_mbcnt_lo_u32_b32 v0, exec_lo, 0
	v_mbcnt_hi_u32_b32 v0, exec_hi, v0
	v_cmp_eq_u32_e32 vcc, 0, v0
	s_and_saveexec_b64 s[6:7], vcc
	s_xor_b64 s[6:7], exec, s[6:7]
	s_cbranch_execz .LBB19_75
; %bb.74:
	v_mov_b32_e32 v0, 0
	v_mov_b32_e32 v1, s8
	global_atomic_smin v0, v1, s[22:23]
.LBB19_75:
	s_or_b64 exec, exec, s[6:7]
	s_or_b64 s[6:7], s[0:1], exec
.LBB19_76:
	s_or_b64 exec, exec, s[4:5]
	s_andn2_b64 s[0:1], s[0:1], exec
	s_and_b64 s[4:5], s[6:7], exec
	s_or_b64 s[0:1], s[0:1], s[4:5]
	s_or_b64 exec, exec, s[2:3]
	s_and_saveexec_b64 s[2:3], s[0:1]
	s_cbranch_execz .LBB19_3
.LBB19_77:
	v_lshlrev_b64 v[0:1], 2, s[14:15]
	v_mov_b32_e32 v2, s19
	v_add_co_u32_e32 v0, vcc, s18, v0
	v_addc_co_u32_e32 v1, vcc, v2, v1, vcc
	v_mov_b32_e32 v2, 1
	s_waitcnt vmcnt(0)
	global_store_dword v[0:1], v2, off
	s_endpgm
	.section	.rodata,"a",@progbits
	.p2align	6, 0x0
	.amdhsa_kernel _ZN9rocsparseL23bsric0_binsearch_kernelILj32ELj32ELb0EdEEv20rocsparse_direction_iiPKiS3_PT2_S3_PiS3_S6_21rocsparse_index_base_
		.amdhsa_group_segment_fixed_size 0
		.amdhsa_private_segment_fixed_size 0
		.amdhsa_kernarg_size 76
		.amdhsa_user_sgpr_count 6
		.amdhsa_user_sgpr_private_segment_buffer 1
		.amdhsa_user_sgpr_dispatch_ptr 0
		.amdhsa_user_sgpr_queue_ptr 0
		.amdhsa_user_sgpr_kernarg_segment_ptr 1
		.amdhsa_user_sgpr_dispatch_id 0
		.amdhsa_user_sgpr_flat_scratch_init 0
		.amdhsa_user_sgpr_kernarg_preload_length 0
		.amdhsa_user_sgpr_kernarg_preload_offset 0
		.amdhsa_user_sgpr_private_segment_size 0
		.amdhsa_uses_dynamic_stack 0
		.amdhsa_system_sgpr_private_segment_wavefront_offset 0
		.amdhsa_system_sgpr_workgroup_id_x 1
		.amdhsa_system_sgpr_workgroup_id_y 0
		.amdhsa_system_sgpr_workgroup_id_z 0
		.amdhsa_system_sgpr_workgroup_info 0
		.amdhsa_system_vgpr_workitem_id 0
		.amdhsa_next_free_vgpr 51
		.amdhsa_next_free_sgpr 59
		.amdhsa_accum_offset 52
		.amdhsa_reserve_vcc 1
		.amdhsa_reserve_flat_scratch 0
		.amdhsa_float_round_mode_32 0
		.amdhsa_float_round_mode_16_64 0
		.amdhsa_float_denorm_mode_32 3
		.amdhsa_float_denorm_mode_16_64 3
		.amdhsa_dx10_clamp 1
		.amdhsa_ieee_mode 1
		.amdhsa_fp16_overflow 0
		.amdhsa_tg_split 0
		.amdhsa_exception_fp_ieee_invalid_op 0
		.amdhsa_exception_fp_denorm_src 0
		.amdhsa_exception_fp_ieee_div_zero 0
		.amdhsa_exception_fp_ieee_overflow 0
		.amdhsa_exception_fp_ieee_underflow 0
		.amdhsa_exception_fp_ieee_inexact 0
		.amdhsa_exception_int_div_zero 0
	.end_amdhsa_kernel
	.section	.text._ZN9rocsparseL23bsric0_binsearch_kernelILj32ELj32ELb0EdEEv20rocsparse_direction_iiPKiS3_PT2_S3_PiS3_S6_21rocsparse_index_base_,"axG",@progbits,_ZN9rocsparseL23bsric0_binsearch_kernelILj32ELj32ELb0EdEEv20rocsparse_direction_iiPKiS3_PT2_S3_PiS3_S6_21rocsparse_index_base_,comdat
.Lfunc_end19:
	.size	_ZN9rocsparseL23bsric0_binsearch_kernelILj32ELj32ELb0EdEEv20rocsparse_direction_iiPKiS3_PT2_S3_PiS3_S6_21rocsparse_index_base_, .Lfunc_end19-_ZN9rocsparseL23bsric0_binsearch_kernelILj32ELj32ELb0EdEEv20rocsparse_direction_iiPKiS3_PT2_S3_PiS3_S6_21rocsparse_index_base_
                                        ; -- End function
	.section	.AMDGPU.csdata,"",@progbits
; Kernel info:
; codeLenInByte = 2736
; NumSgprs: 63
; NumVgprs: 51
; NumAgprs: 0
; TotalNumVgprs: 51
; ScratchSize: 0
; MemoryBound: 0
; FloatMode: 240
; IeeeMode: 1
; LDSByteSize: 0 bytes/workgroup (compile time only)
; SGPRBlocks: 7
; VGPRBlocks: 6
; NumSGPRsForWavesPerEU: 63
; NumVGPRsForWavesPerEU: 51
; AccumOffset: 52
; Occupancy: 8
; WaveLimiterHint : 1
; COMPUTE_PGM_RSRC2:SCRATCH_EN: 0
; COMPUTE_PGM_RSRC2:USER_SGPR: 6
; COMPUTE_PGM_RSRC2:TRAP_HANDLER: 0
; COMPUTE_PGM_RSRC2:TGID_X_EN: 1
; COMPUTE_PGM_RSRC2:TGID_Y_EN: 0
; COMPUTE_PGM_RSRC2:TGID_Z_EN: 0
; COMPUTE_PGM_RSRC2:TIDIG_COMP_CNT: 0
; COMPUTE_PGM_RSRC3_GFX90A:ACCUM_OFFSET: 12
; COMPUTE_PGM_RSRC3_GFX90A:TG_SPLIT: 0
	.section	.text._ZN9rocsparseL23bsric0_binsearch_kernelILj64ELj64ELb1EdEEv20rocsparse_direction_iiPKiS3_PT2_S3_PiS3_S6_21rocsparse_index_base_,"axG",@progbits,_ZN9rocsparseL23bsric0_binsearch_kernelILj64ELj64ELb1EdEEv20rocsparse_direction_iiPKiS3_PT2_S3_PiS3_S6_21rocsparse_index_base_,comdat
	.globl	_ZN9rocsparseL23bsric0_binsearch_kernelILj64ELj64ELb1EdEEv20rocsparse_direction_iiPKiS3_PT2_S3_PiS3_S6_21rocsparse_index_base_ ; -- Begin function _ZN9rocsparseL23bsric0_binsearch_kernelILj64ELj64ELb1EdEEv20rocsparse_direction_iiPKiS3_PT2_S3_PiS3_S6_21rocsparse_index_base_
	.p2align	8
	.type	_ZN9rocsparseL23bsric0_binsearch_kernelILj64ELj64ELb1EdEEv20rocsparse_direction_iiPKiS3_PT2_S3_PiS3_S6_21rocsparse_index_base_,@function
_ZN9rocsparseL23bsric0_binsearch_kernelILj64ELj64ELb1EdEEv20rocsparse_direction_iiPKiS3_PT2_S3_PiS3_S6_21rocsparse_index_base_: ; @_ZN9rocsparseL23bsric0_binsearch_kernelILj64ELj64ELb1EdEEv20rocsparse_direction_iiPKiS3_PT2_S3_PiS3_S6_21rocsparse_index_base_
; %bb.0:
	s_load_dwordx8 s[16:23], s[4:5], 0x28
	s_ashr_i32 s7, s6, 31
	s_lshl_b64 s[0:1], s[6:7], 2
	s_waitcnt lgkmcnt(0)
	s_add_u32 s0, s20, s0
	s_addc_u32 s1, s21, s1
	s_load_dword s14, s[0:1], 0x0
	s_waitcnt lgkmcnt(0)
	s_ashr_i32 s15, s14, 31
	s_lshl_b64 s[0:1], s[14:15], 2
	s_add_u32 s0, s16, s0
	s_addc_u32 s1, s17, s1
	s_load_dword s54, s[0:1], 0x0
	s_load_dword s33, s[4:5], 0x48
	v_pk_mov_b32 v[2:3], s[14:15], s[14:15] op_sel:[0,1]
	s_mov_b64 s[0:1], 0
	s_waitcnt lgkmcnt(0)
	s_cmp_lg_u32 s54, -1
	s_cselect_b64 s[2:3], -1, 0
	s_and_saveexec_b64 s[6:7], s[2:3]
	s_xor_b64 s[20:21], exec, s[6:7]
	s_cbranch_execnz .LBB20_4
; %bb.1:
	s_andn2_saveexec_b64 s[2:3], s[20:21]
	s_cbranch_execnz .LBB20_72
.LBB20_2:
	s_or_b64 exec, exec, s[2:3]
	s_and_saveexec_b64 s[2:3], s[0:1]
	s_cbranch_execnz .LBB20_79
.LBB20_3:
	s_endpgm
.LBB20_4:
	s_load_dword s55, s[4:5], 0x8
	s_waitcnt lgkmcnt(0)
	v_cmp_gt_i32_e32 vcc, s55, v0
	s_and_saveexec_b64 s[28:29], vcc
	s_cbranch_execz .LBB20_71
; %bb.5:
	s_load_dwordx4 s[24:27], s[4:5], 0x10
	s_load_dword s6, s[4:5], 0x0
	v_lshlrev_b64 v[4:5], 2, s[14:15]
	v_add_u32_e32 v24, s33, v2
	s_load_dwordx2 s[30:31], s[4:5], 0x20
	s_waitcnt lgkmcnt(0)
	v_mov_b32_e32 v1, s25
	v_add_co_u32_e32 v4, vcc, s24, v4
	v_addc_co_u32_e32 v5, vcc, v1, v5, vcc
	global_load_dwordx2 v[4:5], v[4:5], off
	v_mov_b32_e32 v3, s54
	s_mul_i32 s25, s55, s55
	v_mul_lo_u32 v29, v3, s25
	s_cmp_eq_u32 s6, 0
	s_mov_b32 s36, 0
	v_mov_b32_e32 v30, s27
	s_cselect_b64 s[2:3], -1, 0
	s_cmp_lg_u32 s6, 0
	v_cmp_ne_u32_e64 s[0:1], 0, v0
	s_mov_b64 s[34:35], 0
	v_mov_b32_e32 v25, 0
	s_brev_b32 s37, 8
	v_mov_b32_e32 v26, 0x260
	v_mov_b32_e32 v27, 0x3ff00000
	;; [unrolled: 1-line block ×3, first 2 shown]
	s_cselect_b64 s[38:39], -1, 0
	s_waitcnt vmcnt(0)
	v_subrev_u32_e32 v31, s33, v4
	v_xad_u32 v32, s33, -1, v5
	v_add_u32_e32 v2, v32, v31
	v_ashrrev_i32_e32 v2, 1, v2
	v_ashrrev_i32_e32 v3, 31, v2
	v_lshlrev_b64 v[4:5], 2, v[2:3]
	v_mul_lo_u32 v33, s25, v31
	v_add_co_u32_e32 v4, vcc, s26, v4
	v_cmp_gt_i32_e64 s[4:5], s54, v31
	v_cmp_le_i32_e64 s[6:7], s54, v31
	v_cmp_lt_i32_e64 s[8:9], v31, v32
	v_add_u32_e32 v34, v33, v0
	v_addc_co_u32_e32 v5, vcc, v30, v5, vcc
	v_mov_b32_e32 v3, v0
	s_branch .LBB20_7
.LBB20_6:                               ;   in Loop: Header=BB20_7 Depth=1
	v_add_u32_e32 v3, 64, v3
	v_cmp_le_i32_e32 vcc, s55, v3
	s_or_b64 s[34:35], vcc, s[34:35]
	v_add_u32_e32 v34, 64, v34
	s_andn2_b64 exec, exec, s[34:35]
	s_cbranch_execz .LBB20_71
.LBB20_7:                               ; =>This Loop Header: Depth=1
                                        ;     Child Loop BB20_12 Depth 2
                                        ;       Child Loop BB20_16 Depth 3
                                        ;         Child Loop BB20_17 Depth 4
                                        ;       Child Loop BB20_21 Depth 3
                                        ;         Child Loop BB20_23 Depth 4
                                        ;         Child Loop BB20_30 Depth 4
                                        ;           Child Loop BB20_32 Depth 5
                                        ;           Child Loop BB20_38 Depth 5
                                        ;     Child Loop BB20_45 Depth 2
                                        ;       Child Loop BB20_49 Depth 3
                                        ;       Child Loop BB20_57 Depth 3
                                        ;         Child Loop BB20_59 Depth 4
                                        ;       Child Loop BB20_67 Depth 3
	v_mul_lo_u32 v35, v3, s55
                                        ; implicit-def: $sgpr10_sgpr11
	s_and_saveexec_b64 s[12:13], s[6:7]
	s_xor_b64 s[12:13], exec, s[12:13]
; %bb.8:                                ;   in Loop: Header=BB20_7 Depth=1
	v_mul_lo_u32 v35, v3, s55
	s_mov_b64 s[10:11], 0
; %bb.9:                                ;   in Loop: Header=BB20_7 Depth=1
	s_or_saveexec_b64 s[40:41], s[12:13]
	v_pk_mov_b32 v[6:7], s[10:11], s[10:11] op_sel:[0,1]
	s_xor_b64 exec, exec, s[40:41]
	s_cbranch_execz .LBB20_42
; %bb.10:                               ;   in Loop: Header=BB20_7 Depth=1
	s_mov_b64 s[42:43], 0
	v_pk_mov_b32 v[6:7], 0, 0
	v_mov_b32_e32 v8, v31
	s_branch .LBB20_12
.LBB20_11:                              ;   in Loop: Header=BB20_12 Depth=2
	s_or_b64 exec, exec, s[44:45]
	v_add_u32_e32 v8, 1, v8
	v_cmp_le_i32_e32 vcc, s54, v8
	s_xor_b64 s[10:11], s[10:11], -1
	s_or_b64 s[10:11], s[10:11], vcc
	s_and_b64 s[10:11], exec, s[10:11]
	s_or_b64 s[42:43], s[10:11], s[42:43]
	s_andn2_b64 exec, exec, s[42:43]
	s_cbranch_execz .LBB20_41
.LBB20_12:                              ;   Parent Loop BB20_7 Depth=1
                                        ; =>  This Loop Header: Depth=2
                                        ;       Child Loop BB20_16 Depth 3
                                        ;         Child Loop BB20_17 Depth 4
                                        ;       Child Loop BB20_21 Depth 3
                                        ;         Child Loop BB20_23 Depth 4
                                        ;         Child Loop BB20_30 Depth 4
                                        ;           Child Loop BB20_32 Depth 5
                                        ;           Child Loop BB20_38 Depth 5
	v_ashrrev_i32_e32 v9, 31, v8
	v_lshlrev_b64 v[10:11], 2, v[8:9]
	v_add_co_u32_e32 v10, vcc, s26, v10
	v_addc_co_u32_e32 v11, vcc, v30, v11, vcc
	global_load_dword v9, v[10:11], off
	v_mov_b32_e32 v15, s17
	s_waitcnt vmcnt(0)
	v_subrev_u32_e32 v10, s33, v9
	v_ashrrev_i32_e32 v11, 31, v10
	v_lshlrev_b64 v[12:13], 2, v[10:11]
	v_add_co_u32_e32 v14, vcc, s16, v12
	v_addc_co_u32_e32 v15, vcc, v15, v13, vcc
	global_load_dword v36, v[14:15], off
	s_waitcnt vmcnt(0)
	v_cmp_ne_u32_e64 s[10:11], -1, v36
	s_and_saveexec_b64 s[44:45], s[10:11]
	s_cbranch_execz .LBB20_11
; %bb.13:                               ;   in Loop: Header=BB20_12 Depth=2
	v_add_co_u32_e32 v14, vcc, s24, v12
	v_addc_co_u32_e32 v15, vcc, v1, v13, vcc
	global_load_dword v11, v[14:15], off
	v_mov_b32_e32 v14, s19
	v_add_co_u32_e32 v12, vcc, s18, v12
	v_addc_co_u32_e32 v13, vcc, v14, v13, vcc
	global_load_dword v14, v[12:13], off glc
	s_waitcnt vmcnt(0)
	v_cmp_eq_u32_e32 vcc, 0, v14
	s_and_saveexec_b64 s[12:13], vcc
	s_cbranch_execz .LBB20_18
; %bb.14:                               ;   in Loop: Header=BB20_12 Depth=2
	s_mov_b32 s48, 0
	s_mov_b64 s[46:47], 0
	s_branch .LBB20_16
.LBB20_15:                              ;   in Loop: Header=BB20_16 Depth=3
	global_load_dword v14, v[12:13], off glc
	s_cmpk_lt_u32 s48, 0xf43
	s_cselect_b64 s[50:51], -1, 0
	s_cmp_lg_u64 s[50:51], 0
	s_addc_u32 s48, s48, 0
	s_waitcnt vmcnt(0)
	v_cmp_ne_u32_e32 vcc, 0, v14
	s_or_b64 s[46:47], vcc, s[46:47]
	s_andn2_b64 exec, exec, s[46:47]
	s_cbranch_execz .LBB20_18
.LBB20_16:                              ;   Parent Loop BB20_7 Depth=1
                                        ;     Parent Loop BB20_12 Depth=2
                                        ; =>    This Loop Header: Depth=3
                                        ;         Child Loop BB20_17 Depth 4
	s_cmp_eq_u32 s48, 0
	s_mov_b32 s49, s48
	s_cbranch_scc1 .LBB20_15
.LBB20_17:                              ;   Parent Loop BB20_7 Depth=1
                                        ;     Parent Loop BB20_12 Depth=2
                                        ;       Parent Loop BB20_16 Depth=3
                                        ; =>      This Inner Loop Header: Depth=4
	s_add_i32 s49, s49, -1
	s_cmp_eq_u32 s49, 0
	s_sleep 1
	s_cbranch_scc0 .LBB20_17
	s_branch .LBB20_15
.LBB20_18:                              ;   in Loop: Header=BB20_12 Depth=2
	s_or_b64 exec, exec, s[12:13]
	v_subrev_u32_e32 v37, s33, v11
	v_mul_lo_u32 v38, v10, s55
	v_mul_lo_u32 v10, v8, s25
	;; [unrolled: 1-line block ×3, first 2 shown]
	v_add_u32_e32 v40, v10, v3
	v_add_u32_e32 v41, v10, v35
	v_cmp_le_i32_e64 s[12:13], v37, v36
	v_mul_lo_u32 v42, s25, v37
	s_mov_b32 s56, 0
	buffer_wbinvl1_vol
	s_branch .LBB20_21
.LBB20_19:                              ;   in Loop: Header=BB20_21 Depth=3
	s_or_b64 exec, exec, s[48:49]
.LBB20_20:                              ;   in Loop: Header=BB20_21 Depth=3
	s_or_b64 exec, exec, s[46:47]
	s_waitcnt vmcnt(0)
	v_add_f64 v[14:15], v[14:15], -v[16:17]
	v_div_scale_f64 v[16:17], s[46:47], v[10:11], v[10:11], v[14:15]
	v_rcp_f64_e32 v[18:19], v[16:17]
	v_div_scale_f64 v[20:21], vcc, v[14:15], v[10:11], v[14:15]
	s_add_i32 s56, s56, 1
	v_fma_f64 v[22:23], -v[16:17], v[18:19], 1.0
	v_fmac_f64_e32 v[18:19], v[18:19], v[22:23]
	v_fma_f64 v[22:23], -v[16:17], v[18:19], 1.0
	v_fmac_f64_e32 v[18:19], v[18:19], v[22:23]
	v_mul_f64 v[22:23], v[20:21], v[18:19]
	v_fma_f64 v[16:17], -v[16:17], v[22:23], v[20:21]
	v_div_fmas_f64 v[16:17], v[16:17], v[18:19], v[22:23]
	v_div_fixup_f64 v[10:11], v[16:17], v[10:11], v[14:15]
	v_fmac_f64_e32 v[6:7], v[10:11], v[10:11]
	s_cmp_eq_u32 s56, s55
	v_add_u32_e32 v42, 1, v42
	global_store_dwordx2 v[12:13], v[10:11], off
	s_cbranch_scc1 .LBB20_11
.LBB20_21:                              ;   Parent Loop BB20_7 Depth=1
                                        ;     Parent Loop BB20_12 Depth=2
                                        ; =>    This Loop Header: Depth=3
                                        ;         Child Loop BB20_23 Depth 4
                                        ;         Child Loop BB20_30 Depth 4
                                        ;           Child Loop BB20_32 Depth 5
                                        ;           Child Loop BB20_38 Depth 5
	s_mul_i32 s57, s56, s55
	s_add_i32 s46, s57, s56
	v_add_u32_e32 v10, s46, v39
	v_ashrrev_i32_e32 v11, 31, v10
	v_lshlrev_b64 v[10:11], 3, v[10:11]
	v_mov_b32_e32 v12, s31
	v_add_co_u32_e32 v10, vcc, s30, v10
	v_addc_co_u32_e32 v11, vcc, v12, v11, vcc
	global_load_dwordx2 v[10:11], v[10:11], off
	s_waitcnt vmcnt(0)
	v_cmp_neq_f64_e32 vcc, 0, v[10:11]
	s_or_b64 s[46:47], vcc, s[0:1]
	v_cndmask_b32_e32 v11, v27, v11, vcc
	s_xor_b64 s[48:49], s[46:47], -1
	v_cndmask_b32_e32 v10, 0, v10, vcc
	s_and_saveexec_b64 s[46:47], s[48:49]
	s_cbranch_execz .LBB20_27
; %bb.22:                               ;   in Loop: Header=BB20_21 Depth=3
	s_mov_b64 s[48:49], exec
	s_brev_b32 s50, -2
.LBB20_23:                              ;   Parent Loop BB20_7 Depth=1
                                        ;     Parent Loop BB20_12 Depth=2
                                        ;       Parent Loop BB20_21 Depth=3
                                        ; =>      This Inner Loop Header: Depth=4
	s_ff1_i32_b64 s51, s[48:49]
	v_readlane_b32 s58, v9, s51
	s_lshl_b64 s[52:53], 1, s51
	s_min_i32 s50, s50, s58
	s_andn2_b64 s[48:49], s[48:49], s[52:53]
	s_cmp_lg_u64 s[48:49], 0
	s_cbranch_scc1 .LBB20_23
; %bb.24:                               ;   in Loop: Header=BB20_21 Depth=3
	v_mbcnt_lo_u32_b32 v10, exec_lo, 0
	v_mbcnt_hi_u32_b32 v10, exec_hi, v10
	v_cmp_eq_u32_e32 vcc, 0, v10
	s_and_saveexec_b64 s[48:49], vcc
	s_xor_b64 s[48:49], exec, s[48:49]
	s_cbranch_execz .LBB20_26
; %bb.25:                               ;   in Loop: Header=BB20_21 Depth=3
	v_mov_b32_e32 v10, s50
	global_atomic_smin v25, v10, s[22:23]
.LBB20_26:                              ;   in Loop: Header=BB20_21 Depth=3
	s_or_b64 exec, exec, s[48:49]
	v_mov_b32_e32 v10, 0
	v_mov_b32_e32 v11, 0x3ff00000
.LBB20_27:                              ;   in Loop: Header=BB20_21 Depth=3
	s_or_b64 exec, exec, s[46:47]
	v_add_u32_e32 v12, s57, v40
	v_add_u32_e32 v13, s56, v41
	v_cndmask_b32_e64 v12, v12, v13, s[2:3]
	v_ashrrev_i32_e32 v13, 31, v12
	v_lshlrev_b64 v[12:13], 3, v[12:13]
	v_mov_b32_e32 v14, s31
	v_add_co_u32_e32 v12, vcc, s30, v12
	v_addc_co_u32_e32 v13, vcc, v14, v13, vcc
	global_load_dwordx2 v[14:15], v[12:13], off
	v_pk_mov_b32 v[16:17], 0, 0
	s_and_saveexec_b64 s[46:47], s[12:13]
	s_cbranch_execz .LBB20_20
; %bb.28:                               ;   in Loop: Header=BB20_21 Depth=3
	global_load_dword v43, v[4:5], off
	v_add_u32_e32 v44, s56, v38
	s_mov_b64 s[48:49], 0
	v_pk_mov_b32 v[16:17], 0, 0
	v_mov_b32_e32 v45, v42
	v_mov_b32_e32 v18, v37
	s_branch .LBB20_30
.LBB20_29:                              ;   in Loop: Header=BB20_30 Depth=4
	s_or_b64 exec, exec, s[50:51]
	v_add_u32_e32 v19, 1, v18
	v_cmp_ge_i32_e32 vcc, v18, v36
	v_add_u32_e32 v45, s25, v45
	s_or_b64 s[48:49], vcc, s[48:49]
	v_mov_b32_e32 v18, v19
	s_andn2_b64 exec, exec, s[48:49]
	s_cbranch_execz .LBB20_19
.LBB20_30:                              ;   Parent Loop BB20_7 Depth=1
                                        ;     Parent Loop BB20_12 Depth=2
                                        ;       Parent Loop BB20_21 Depth=3
                                        ; =>      This Loop Header: Depth=4
                                        ;           Child Loop BB20_32 Depth 5
                                        ;           Child Loop BB20_38 Depth 5
	v_ashrrev_i32_e32 v19, 31, v18
	v_lshlrev_b64 v[20:21], 2, v[18:19]
	v_mov_b32_e32 v19, s27
	v_add_co_u32_e32 v20, vcc, s26, v20
	v_addc_co_u32_e32 v21, vcc, v19, v21, vcc
	global_load_dword v19, v[20:21], off
	s_waitcnt vmcnt(1)
	v_mov_b32_e32 v21, v43
	v_mov_b32_e32 v20, v2
	s_and_saveexec_b64 s[50:51], s[8:9]
	s_cbranch_execz .LBB20_34
; %bb.31:                               ;   in Loop: Header=BB20_30 Depth=4
	s_mov_b64 s[52:53], 0
	v_mov_b32_e32 v21, v43
	v_mov_b32_e32 v20, v2
	;; [unrolled: 1-line block ×4, first 2 shown]
.LBB20_32:                              ;   Parent Loop BB20_7 Depth=1
                                        ;     Parent Loop BB20_12 Depth=2
                                        ;       Parent Loop BB20_21 Depth=3
                                        ;         Parent Loop BB20_30 Depth=4
                                        ; =>        This Inner Loop Header: Depth=5
	v_add_u32_e32 v46, 1, v20
	s_waitcnt vmcnt(0)
	v_cmp_lt_i32_e32 vcc, v21, v19
	v_cndmask_b32_e32 v23, v23, v46, vcc
	v_cndmask_b32_e32 v22, v20, v22, vcc
	v_add_u32_e32 v20, v22, v23
	v_ashrrev_i32_e32 v20, 1, v20
	v_ashrrev_i32_e32 v21, 31, v20
	v_lshlrev_b64 v[46:47], 2, v[20:21]
	v_mov_b32_e32 v21, s27
	v_add_co_u32_e32 v46, vcc, s26, v46
	v_addc_co_u32_e32 v47, vcc, v21, v47, vcc
	global_load_dword v21, v[46:47], off
	v_cmp_ge_i32_e32 vcc, v23, v22
	s_or_b64 s[52:53], vcc, s[52:53]
	s_andn2_b64 exec, exec, s[52:53]
	s_cbranch_execnz .LBB20_32
; %bb.33:                               ;   in Loop: Header=BB20_30 Depth=4
	s_or_b64 exec, exec, s[52:53]
.LBB20_34:                              ;   in Loop: Header=BB20_30 Depth=4
	s_or_b64 exec, exec, s[50:51]
	s_waitcnt vmcnt(0)
	v_cmp_eq_u32_e32 vcc, v21, v19
	s_and_saveexec_b64 s[50:51], vcc
	s_cbranch_execz .LBB20_29
; %bb.35:                               ;   in Loop: Header=BB20_30 Depth=4
	v_subrev_u32_e32 v19, s33, v19
	v_mul_lo_u32 v21, v18, s25
	v_mul_lo_u32 v20, v20, s25
	;; [unrolled: 1-line block ×3, first 2 shown]
	v_add_u32_e32 v46, s57, v21
	v_add_u32_e32 v47, v20, v35
	v_add_u32_e32 v48, v3, v20
	s_mov_b32 s58, 0
	v_mov_b32_e32 v49, v45
	s_branch .LBB20_38
.LBB20_36:                              ;   in Loop: Header=BB20_38 Depth=5
	v_ashrrev_i32_e32 v23, 31, v22
	v_lshlrev_b64 v[22:23], 3, v[22:23]
	v_mov_b32_e32 v50, s31
	v_add_co_u32_e32 v22, vcc, s30, v22
	v_ashrrev_i32_e32 v21, 31, v20
	v_addc_co_u32_e32 v23, vcc, v50, v23, vcc
	v_lshlrev_b64 v[20:21], 3, v[20:21]
	v_add_co_u32_e32 v20, vcc, s30, v20
	v_addc_co_u32_e32 v21, vcc, v50, v21, vcc
	global_load_dwordx2 v[22:23], v[22:23], off
	s_nop 0
	global_load_dwordx2 v[20:21], v[20:21], off
	s_waitcnt vmcnt(0)
	v_fmac_f64_e32 v[16:17], v[22:23], v[20:21]
.LBB20_37:                              ;   in Loop: Header=BB20_38 Depth=5
	s_or_b64 exec, exec, s[52:53]
	s_add_i32 s58, s58, 1
	v_add_u32_e32 v48, s55, v48
	s_cmp_lg_u32 s55, s58
	v_add_u32_e32 v49, s55, v49
	s_cbranch_scc0 .LBB20_29
.LBB20_38:                              ;   Parent Loop BB20_7 Depth=1
                                        ;     Parent Loop BB20_12 Depth=2
                                        ;       Parent Loop BB20_21 Depth=3
                                        ;         Parent Loop BB20_30 Depth=4
                                        ; =>        This Inner Loop Header: Depth=5
	v_add_u32_e32 v20, s58, v19
	v_cmp_lt_i32_e32 vcc, v20, v44
	s_and_saveexec_b64 s[52:53], vcc
	s_cbranch_execz .LBB20_37
; %bb.39:                               ;   in Loop: Header=BB20_38 Depth=5
	s_andn2_b64 vcc, exec, s[2:3]
	v_mov_b32_e32 v20, v48
	v_mov_b32_e32 v22, v49
	s_cbranch_vccnz .LBB20_36
; %bb.40:                               ;   in Loop: Header=BB20_38 Depth=5
	v_add_u32_e32 v22, s58, v46
	v_add_u32_e32 v20, s58, v47
	s_branch .LBB20_36
.LBB20_41:                              ;   in Loop: Header=BB20_7 Depth=1
	s_or_b64 exec, exec, s[42:43]
.LBB20_42:                              ;   in Loop: Header=BB20_7 Depth=1
	s_or_b64 exec, exec, s[40:41]
	v_add_u32_e32 v20, v35, v29
	s_mov_b32 s44, 0
	v_mov_b32_e32 v21, v33
	s_branch .LBB20_45
.LBB20_43:                              ;   in Loop: Header=BB20_45 Depth=2
	s_waitcnt vmcnt(0)
	v_add_f64 v[12:13], v[12:13], -v[14:15]
	v_div_scale_f64 v[14:15], s[12:13], v[8:9], v[8:9], v[12:13]
	v_rcp_f64_e32 v[16:17], v[14:15]
	v_div_scale_f64 v[18:19], vcc, v[12:13], v[8:9], v[12:13]
	v_fma_f64 v[22:23], -v[14:15], v[16:17], 1.0
	v_fmac_f64_e32 v[16:17], v[16:17], v[22:23]
	v_fma_f64 v[22:23], -v[14:15], v[16:17], 1.0
	v_fmac_f64_e32 v[16:17], v[16:17], v[22:23]
	v_mul_f64 v[22:23], v[18:19], v[16:17]
	v_fma_f64 v[14:15], -v[14:15], v[22:23], v[18:19]
	v_div_fmas_f64 v[14:15], v[14:15], v[16:17], v[22:23]
	v_div_fixup_f64 v[8:9], v[14:15], v[8:9], v[12:13]
	v_fmac_f64_e32 v[6:7], v[8:9], v[8:9]
	global_store_dwordx2 v[10:11], v[8:9], off
.LBB20_44:                              ;   in Loop: Header=BB20_45 Depth=2
	s_or_b64 exec, exec, s[10:11]
	s_add_i32 s44, s44, 1
	s_cmp_eq_u32 s44, s55
	v_add_u32_e32 v21, 1, v21
	s_waitcnt vmcnt(0)
	buffer_wbinvl1_vol
	s_cbranch_scc1 .LBB20_6
.LBB20_45:                              ;   Parent Loop BB20_7 Depth=1
                                        ; =>  This Loop Header: Depth=2
                                        ;       Child Loop BB20_49 Depth 3
                                        ;       Child Loop BB20_57 Depth 3
                                        ;         Child Loop BB20_59 Depth 4
                                        ;       Child Loop BB20_67 Depth 3
	s_mul_i32 s45, s44, s55
	v_add_u32_e32 v22, s45, v29
	v_add_u32_e32 v8, s44, v22
	v_ashrrev_i32_e32 v9, 31, v8
	v_cmp_eq_u32_e32 vcc, s44, v3
	v_lshlrev_b64 v[8:9], 3, v[8:9]
	s_and_saveexec_b64 s[10:11], vcc
	s_cbranch_execz .LBB20_47
; %bb.46:                               ;   in Loop: Header=BB20_45 Depth=2
	v_mov_b32_e32 v11, s31
	v_add_co_u32_e32 v10, vcc, s30, v8
	v_addc_co_u32_e32 v11, vcc, v11, v9, vcc
	global_load_dwordx2 v[12:13], v[10:11], off
	s_waitcnt vmcnt(0)
	v_add_f64 v[12:13], v[12:13], -v[6:7]
	v_xor_b32_e32 v14, 0x80000000, v13
	v_cmp_gt_f64_e32 vcc, 0, v[12:13]
	v_cndmask_b32_e32 v13, v13, v14, vcc
	v_cndmask_b32_e32 v12, v12, v12, vcc
	v_cmp_gt_f64_e32 vcc, s[36:37], v[12:13]
	v_cndmask_b32_e64 v14, 0, 1, vcc
	v_lshlrev_b32_e32 v14, 8, v14
	v_ldexp_f64 v[12:13], v[12:13], v14
	v_rsq_f64_e32 v[14:15], v[12:13]
	v_cndmask_b32_e32 v23, 0, v28, vcc
	v_cmp_class_f64_e32 vcc, v[12:13], v26
	v_mul_f64 v[16:17], v[12:13], v[14:15]
	v_mul_f64 v[14:15], v[14:15], 0.5
	v_fma_f64 v[18:19], -v[14:15], v[16:17], 0.5
	v_fmac_f64_e32 v[16:17], v[16:17], v[18:19]
	v_fmac_f64_e32 v[14:15], v[14:15], v[18:19]
	v_fma_f64 v[18:19], -v[16:17], v[16:17], v[12:13]
	v_fmac_f64_e32 v[16:17], v[18:19], v[14:15]
	v_fma_f64 v[18:19], -v[16:17], v[16:17], v[12:13]
	v_fmac_f64_e32 v[16:17], v[18:19], v[14:15]
	v_ldexp_f64 v[14:15], v[16:17], v23
	v_cndmask_b32_e32 v13, v15, v13, vcc
	v_cndmask_b32_e32 v12, v14, v12, vcc
	global_store_dwordx2 v[10:11], v[12:13], off
.LBB20_47:                              ;   in Loop: Header=BB20_45 Depth=2
	s_or_b64 exec, exec, s[10:11]
	v_mov_b32_e32 v10, s31
	v_add_co_u32_e32 v8, vcc, s30, v8
	v_addc_co_u32_e32 v9, vcc, v10, v9, vcc
	s_waitcnt vmcnt(0)
	buffer_wbinvl1_vol
	global_load_dwordx2 v[8:9], v[8:9], off
	s_waitcnt vmcnt(0)
	v_cmp_neq_f64_e32 vcc, 0, v[8:9]
	s_or_b64 s[10:11], vcc, s[0:1]
	v_cndmask_b32_e32 v9, v27, v9, vcc
	s_xor_b64 s[12:13], s[10:11], -1
	v_cndmask_b32_e32 v8, 0, v8, vcc
	s_and_saveexec_b64 s[10:11], s[12:13]
	s_cbranch_execz .LBB20_53
; %bb.48:                               ;   in Loop: Header=BB20_45 Depth=2
	s_mov_b64 s[12:13], exec
	s_brev_b32 s40, -2
.LBB20_49:                              ;   Parent Loop BB20_7 Depth=1
                                        ;     Parent Loop BB20_45 Depth=2
                                        ; =>    This Inner Loop Header: Depth=3
	s_ff1_i32_b64 s41, s[12:13]
	v_readlane_b32 s46, v24, s41
	s_lshl_b64 s[42:43], 1, s41
	s_min_i32 s40, s40, s46
	s_andn2_b64 s[12:13], s[12:13], s[42:43]
	s_cmp_lg_u64 s[12:13], 0
	s_cbranch_scc1 .LBB20_49
; %bb.50:                               ;   in Loop: Header=BB20_45 Depth=2
	v_mbcnt_lo_u32_b32 v8, exec_lo, 0
	v_mbcnt_hi_u32_b32 v8, exec_hi, v8
	v_cmp_eq_u32_e32 vcc, 0, v8
	s_and_saveexec_b64 s[12:13], vcc
	s_xor_b64 s[12:13], exec, s[12:13]
	s_cbranch_execz .LBB20_52
; %bb.51:                               ;   in Loop: Header=BB20_45 Depth=2
	v_mov_b32_e32 v8, s40
	global_atomic_smin v25, v8, s[22:23]
.LBB20_52:                              ;   in Loop: Header=BB20_45 Depth=2
	s_or_b64 exec, exec, s[12:13]
	v_mov_b32_e32 v8, 0
	v_mov_b32_e32 v9, 0x3ff00000
.LBB20_53:                              ;   in Loop: Header=BB20_45 Depth=2
	s_or_b64 exec, exec, s[10:11]
	v_cmp_lt_i32_e32 vcc, s44, v3
	s_and_saveexec_b64 s[10:11], vcc
	s_cbranch_execz .LBB20_44
; %bb.54:                               ;   in Loop: Header=BB20_45 Depth=2
	v_add_u32_e32 v10, v22, v3
	v_add_u32_e32 v11, s44, v20
	v_cndmask_b32_e64 v10, v10, v11, s[2:3]
	v_ashrrev_i32_e32 v11, 31, v10
	v_lshlrev_b64 v[10:11], 3, v[10:11]
	v_mov_b32_e32 v12, s31
	v_add_co_u32_e32 v10, vcc, s30, v10
	v_addc_co_u32_e32 v11, vcc, v12, v11, vcc
	global_load_dwordx2 v[12:13], v[10:11], off
	v_pk_mov_b32 v[14:15], 0, 0
	s_and_saveexec_b64 s[12:13], s[4:5]
	s_cbranch_execz .LBB20_64
; %bb.55:                               ;   in Loop: Header=BB20_45 Depth=2
	s_mov_b64 s[40:41], 0
	v_pk_mov_b32 v[14:15], 0, 0
	v_mov_b32_e32 v23, v21
	v_mov_b32_e32 v36, v34
	;; [unrolled: 1-line block ×3, first 2 shown]
	s_branch .LBB20_57
.LBB20_56:                              ;   in Loop: Header=BB20_57 Depth=3
	v_add_u32_e32 v37, 1, v37
	v_cmp_le_i32_e32 vcc, s54, v37
	v_add_u32_e32 v36, s25, v36
	s_or_b64 s[40:41], vcc, s[40:41]
	v_add_u32_e32 v23, s25, v23
	s_andn2_b64 exec, exec, s[40:41]
	s_cbranch_execz .LBB20_63
.LBB20_57:                              ;   Parent Loop BB20_7 Depth=1
                                        ;     Parent Loop BB20_45 Depth=2
                                        ; =>    This Loop Header: Depth=3
                                        ;         Child Loop BB20_59 Depth 4
	v_mul_lo_u32 v16, v37, s25
	v_add_u32_e32 v38, s45, v16
	v_add_u32_e32 v39, v16, v35
	s_mov_b32 s46, 0
	s_mov_b32 s47, s55
	;; [unrolled: 1-line block ×3, first 2 shown]
	s_branch .LBB20_59
.LBB20_58:                              ;   in Loop: Header=BB20_59 Depth=4
	v_ashrrev_i32_e32 v19, 31, v18
	v_lshlrev_b64 v[18:19], 3, v[18:19]
	v_mov_b32_e32 v40, s31
	v_add_co_u32_e32 v18, vcc, s30, v18
	v_ashrrev_i32_e32 v17, 31, v16
	v_addc_co_u32_e32 v19, vcc, v40, v19, vcc
	v_lshlrev_b64 v[16:17], 3, v[16:17]
	v_add_co_u32_e32 v16, vcc, s30, v16
	v_addc_co_u32_e32 v17, vcc, v40, v17, vcc
	global_load_dwordx2 v[18:19], v[18:19], off
	s_nop 0
	global_load_dwordx2 v[16:17], v[16:17], off
	s_add_i32 s48, s48, 1
	s_add_i32 s46, s46, s55
	s_add_i32 s47, s47, -1
	s_cmp_eq_u32 s47, 0
	s_waitcnt vmcnt(0)
	v_fmac_f64_e32 v[14:15], v[18:19], v[16:17]
	s_cbranch_scc1 .LBB20_56
.LBB20_59:                              ;   Parent Loop BB20_7 Depth=1
                                        ;     Parent Loop BB20_45 Depth=2
                                        ;       Parent Loop BB20_57 Depth=3
                                        ; =>      This Inner Loop Header: Depth=4
	s_and_b64 vcc, exec, s[38:39]
	s_cbranch_vccz .LBB20_61
; %bb.60:                               ;   in Loop: Header=BB20_59 Depth=4
	v_add_u32_e32 v18, s46, v23
	v_add_u32_e32 v16, s46, v36
	s_cbranch_execnz .LBB20_58
	s_branch .LBB20_62
.LBB20_61:                              ;   in Loop: Header=BB20_59 Depth=4
                                        ; implicit-def: $vgpr18
                                        ; implicit-def: $vgpr16
.LBB20_62:                              ;   in Loop: Header=BB20_59 Depth=4
	v_add_u32_e32 v18, s48, v38
	v_add_u32_e32 v16, s48, v39
	s_branch .LBB20_58
.LBB20_63:                              ;   in Loop: Header=BB20_45 Depth=2
	s_or_b64 exec, exec, s[40:41]
.LBB20_64:                              ;   in Loop: Header=BB20_45 Depth=2
	s_or_b64 exec, exec, s[12:13]
	s_cmp_eq_u32 s44, 0
	s_cbranch_scc1 .LBB20_43
; %bb.65:                               ;   in Loop: Header=BB20_45 Depth=2
	s_mov_b32 s40, 0
	v_mov_b32_e32 v23, v29
	s_branch .LBB20_67
.LBB20_66:                              ;   in Loop: Header=BB20_67 Depth=3
	v_ashrrev_i32_e32 v19, 31, v18
	v_lshlrev_b64 v[18:19], 3, v[18:19]
	v_mov_b32_e32 v36, s31
	v_add_co_u32_e32 v18, vcc, s30, v18
	v_ashrrev_i32_e32 v17, 31, v16
	v_addc_co_u32_e32 v19, vcc, v36, v19, vcc
	v_lshlrev_b64 v[16:17], 3, v[16:17]
	v_add_co_u32_e32 v16, vcc, s30, v16
	v_addc_co_u32_e32 v17, vcc, v36, v17, vcc
	global_load_dwordx2 v[36:37], v[18:19], off
	global_load_dwordx2 v[38:39], v[16:17], off
	s_add_i32 s40, s40, 1
	s_cmp_ge_u32 s40, s44
	v_add_u32_e32 v23, s55, v23
	s_waitcnt vmcnt(0)
	v_fmac_f64_e32 v[14:15], v[36:37], v[38:39]
	s_cbranch_scc1 .LBB20_43
.LBB20_67:                              ;   Parent Loop BB20_7 Depth=1
                                        ;     Parent Loop BB20_45 Depth=2
                                        ; =>    This Inner Loop Header: Depth=3
	s_and_b64 vcc, exec, s[38:39]
	s_cbranch_vccz .LBB20_69
; %bb.68:                               ;   in Loop: Header=BB20_67 Depth=3
	v_add_u32_e32 v18, s44, v23
	v_add_u32_e32 v16, v3, v23
	s_cbranch_execnz .LBB20_66
	s_branch .LBB20_70
.LBB20_69:                              ;   in Loop: Header=BB20_67 Depth=3
                                        ; implicit-def: $vgpr18
                                        ; implicit-def: $vgpr16
.LBB20_70:                              ;   in Loop: Header=BB20_67 Depth=3
	v_add_u32_e32 v18, s40, v22
	v_add_u32_e32 v16, s40, v20
	s_branch .LBB20_66
.LBB20_71:
	s_or_b64 exec, exec, s[28:29]
	v_cmp_eq_u32_e32 vcc, 63, v0
	s_and_b64 s[0:1], vcc, exec
                                        ; implicit-def: $vgpr0
                                        ; implicit-def: $vgpr2_vgpr3
	s_andn2_saveexec_b64 s[2:3], s[20:21]
	s_cbranch_execz .LBB20_2
.LBB20_72:
	v_cmp_eq_u32_e32 vcc, 63, v0
	s_mov_b64 s[6:7], s[0:1]
	s_and_saveexec_b64 s[4:5], vcc
	s_cbranch_execz .LBB20_78
; %bb.73:
	s_mov_b64 s[6:7], exec
	v_add_u32_e32 v0, s33, v2
	s_brev_b32 s8, -2
.LBB20_74:                              ; =>This Inner Loop Header: Depth=1
	s_ff1_i32_b64 s9, s[6:7]
	v_readlane_b32 s12, v0, s9
	s_lshl_b64 s[10:11], 1, s9
	s_min_i32 s8, s8, s12
	s_andn2_b64 s[6:7], s[6:7], s[10:11]
	s_cmp_lg_u64 s[6:7], 0
	s_cbranch_scc1 .LBB20_74
; %bb.75:
	v_mbcnt_lo_u32_b32 v0, exec_lo, 0
	v_mbcnt_hi_u32_b32 v0, exec_hi, v0
	v_cmp_eq_u32_e32 vcc, 0, v0
	s_and_saveexec_b64 s[6:7], vcc
	s_xor_b64 s[6:7], exec, s[6:7]
	s_cbranch_execz .LBB20_77
; %bb.76:
	v_mov_b32_e32 v0, 0
	v_mov_b32_e32 v1, s8
	global_atomic_smin v0, v1, s[22:23]
.LBB20_77:
	s_or_b64 exec, exec, s[6:7]
	s_or_b64 s[6:7], s[0:1], exec
.LBB20_78:
	s_or_b64 exec, exec, s[4:5]
	s_andn2_b64 s[0:1], s[0:1], exec
	s_and_b64 s[4:5], s[6:7], exec
	s_or_b64 s[0:1], s[0:1], s[4:5]
	s_or_b64 exec, exec, s[2:3]
	s_and_saveexec_b64 s[2:3], s[0:1]
	s_cbranch_execz .LBB20_3
.LBB20_79:
	v_lshlrev_b64 v[0:1], 2, s[14:15]
	v_mov_b32_e32 v2, s19
	v_add_co_u32_e32 v0, vcc, s18, v0
	v_addc_co_u32_e32 v1, vcc, v2, v1, vcc
	v_mov_b32_e32 v2, 1
	s_waitcnt vmcnt(0)
	global_store_dword v[0:1], v2, off
	s_endpgm
	.section	.rodata,"a",@progbits
	.p2align	6, 0x0
	.amdhsa_kernel _ZN9rocsparseL23bsric0_binsearch_kernelILj64ELj64ELb1EdEEv20rocsparse_direction_iiPKiS3_PT2_S3_PiS3_S6_21rocsparse_index_base_
		.amdhsa_group_segment_fixed_size 0
		.amdhsa_private_segment_fixed_size 0
		.amdhsa_kernarg_size 76
		.amdhsa_user_sgpr_count 6
		.amdhsa_user_sgpr_private_segment_buffer 1
		.amdhsa_user_sgpr_dispatch_ptr 0
		.amdhsa_user_sgpr_queue_ptr 0
		.amdhsa_user_sgpr_kernarg_segment_ptr 1
		.amdhsa_user_sgpr_dispatch_id 0
		.amdhsa_user_sgpr_flat_scratch_init 0
		.amdhsa_user_sgpr_kernarg_preload_length 0
		.amdhsa_user_sgpr_kernarg_preload_offset 0
		.amdhsa_user_sgpr_private_segment_size 0
		.amdhsa_uses_dynamic_stack 0
		.amdhsa_system_sgpr_private_segment_wavefront_offset 0
		.amdhsa_system_sgpr_workgroup_id_x 1
		.amdhsa_system_sgpr_workgroup_id_y 0
		.amdhsa_system_sgpr_workgroup_id_z 0
		.amdhsa_system_sgpr_workgroup_info 0
		.amdhsa_system_vgpr_workitem_id 0
		.amdhsa_next_free_vgpr 51
		.amdhsa_next_free_sgpr 59
		.amdhsa_accum_offset 52
		.amdhsa_reserve_vcc 1
		.amdhsa_reserve_flat_scratch 0
		.amdhsa_float_round_mode_32 0
		.amdhsa_float_round_mode_16_64 0
		.amdhsa_float_denorm_mode_32 3
		.amdhsa_float_denorm_mode_16_64 3
		.amdhsa_dx10_clamp 1
		.amdhsa_ieee_mode 1
		.amdhsa_fp16_overflow 0
		.amdhsa_tg_split 0
		.amdhsa_exception_fp_ieee_invalid_op 0
		.amdhsa_exception_fp_denorm_src 0
		.amdhsa_exception_fp_ieee_div_zero 0
		.amdhsa_exception_fp_ieee_overflow 0
		.amdhsa_exception_fp_ieee_underflow 0
		.amdhsa_exception_fp_ieee_inexact 0
		.amdhsa_exception_int_div_zero 0
	.end_amdhsa_kernel
	.section	.text._ZN9rocsparseL23bsric0_binsearch_kernelILj64ELj64ELb1EdEEv20rocsparse_direction_iiPKiS3_PT2_S3_PiS3_S6_21rocsparse_index_base_,"axG",@progbits,_ZN9rocsparseL23bsric0_binsearch_kernelILj64ELj64ELb1EdEEv20rocsparse_direction_iiPKiS3_PT2_S3_PiS3_S6_21rocsparse_index_base_,comdat
.Lfunc_end20:
	.size	_ZN9rocsparseL23bsric0_binsearch_kernelILj64ELj64ELb1EdEEv20rocsparse_direction_iiPKiS3_PT2_S3_PiS3_S6_21rocsparse_index_base_, .Lfunc_end20-_ZN9rocsparseL23bsric0_binsearch_kernelILj64ELj64ELb1EdEEv20rocsparse_direction_iiPKiS3_PT2_S3_PiS3_S6_21rocsparse_index_base_
                                        ; -- End function
	.section	.AMDGPU.csdata,"",@progbits
; Kernel info:
; codeLenInByte = 2792
; NumSgprs: 63
; NumVgprs: 51
; NumAgprs: 0
; TotalNumVgprs: 51
; ScratchSize: 0
; MemoryBound: 0
; FloatMode: 240
; IeeeMode: 1
; LDSByteSize: 0 bytes/workgroup (compile time only)
; SGPRBlocks: 7
; VGPRBlocks: 6
; NumSGPRsForWavesPerEU: 63
; NumVGPRsForWavesPerEU: 51
; AccumOffset: 52
; Occupancy: 8
; WaveLimiterHint : 1
; COMPUTE_PGM_RSRC2:SCRATCH_EN: 0
; COMPUTE_PGM_RSRC2:USER_SGPR: 6
; COMPUTE_PGM_RSRC2:TRAP_HANDLER: 0
; COMPUTE_PGM_RSRC2:TGID_X_EN: 1
; COMPUTE_PGM_RSRC2:TGID_Y_EN: 0
; COMPUTE_PGM_RSRC2:TGID_Z_EN: 0
; COMPUTE_PGM_RSRC2:TIDIG_COMP_CNT: 0
; COMPUTE_PGM_RSRC3_GFX90A:ACCUM_OFFSET: 12
; COMPUTE_PGM_RSRC3_GFX90A:TG_SPLIT: 0
	.section	.text._ZN9rocsparseL26bsric0_2_8_unrolled_kernelILi1ELi32ELi1EdEEv20rocsparse_direction_iiPKiS3_PT2_S3_PiS3_S6_21rocsparse_index_base_,"axG",@progbits,_ZN9rocsparseL26bsric0_2_8_unrolled_kernelILi1ELi32ELi1EdEEv20rocsparse_direction_iiPKiS3_PT2_S3_PiS3_S6_21rocsparse_index_base_,comdat
	.globl	_ZN9rocsparseL26bsric0_2_8_unrolled_kernelILi1ELi32ELi1EdEEv20rocsparse_direction_iiPKiS3_PT2_S3_PiS3_S6_21rocsparse_index_base_ ; -- Begin function _ZN9rocsparseL26bsric0_2_8_unrolled_kernelILi1ELi32ELi1EdEEv20rocsparse_direction_iiPKiS3_PT2_S3_PiS3_S6_21rocsparse_index_base_
	.p2align	8
	.type	_ZN9rocsparseL26bsric0_2_8_unrolled_kernelILi1ELi32ELi1EdEEv20rocsparse_direction_iiPKiS3_PT2_S3_PiS3_S6_21rocsparse_index_base_,@function
_ZN9rocsparseL26bsric0_2_8_unrolled_kernelILi1ELi32ELi1EdEEv20rocsparse_direction_iiPKiS3_PT2_S3_PiS3_S6_21rocsparse_index_base_: ; @_ZN9rocsparseL26bsric0_2_8_unrolled_kernelILi1ELi32ELi1EdEEv20rocsparse_direction_iiPKiS3_PT2_S3_PiS3_S6_21rocsparse_index_base_
; %bb.0:
	s_load_dwordx8 s[8:15], s[4:5], 0x28
	s_mov_b32 s7, 0
	s_lshl_b64 s[0:1], s[6:7], 2
	s_waitcnt lgkmcnt(0)
	s_add_u32 s0, s12, s0
	s_addc_u32 s1, s13, s1
	s_load_dword s12, s[0:1], 0x0
	s_waitcnt lgkmcnt(0)
	s_ashr_i32 s13, s12, 31
	s_lshl_b64 s[6:7], s[12:13], 2
	s_add_u32 s0, s8, s6
	s_addc_u32 s1, s9, s7
	s_load_dword s16, s[0:1], 0x0
	s_load_dword s13, s[4:5], 0x48
	s_waitcnt lgkmcnt(0)
	s_cmp_lg_u32 s16, -1
	s_cbranch_scc0 .LBB21_65
; %bb.1:
	s_load_dwordx4 s[0:3], s[4:5], 0x10
	s_load_dwordx2 s[18:19], s[4:5], 0x20
	s_waitcnt lgkmcnt(0)
	s_add_u32 s20, s0, s6
	s_addc_u32 s21, s1, s7
	s_load_dword s24, s[20:21], 0x0
	s_waitcnt lgkmcnt(0)
	s_sub_i32 s17, s24, s13
	s_cmp_gt_i32 s17, s16
	s_cbranch_scc1 .LBB21_13
; %bb.2:
	s_add_i32 s20, s16, s13
	s_sub_i32 s25, s20, s24
	s_add_i32 s25, s25, 1
	s_mov_b64 s[22:23], -1
	s_cmp_gt_u32 s25, 1
	s_mov_b32 s20, s17
	s_cbranch_scc0 .LBB21_10
; %bb.3:
	s_add_i32 s20, s25, -2
	s_lshr_b32 s23, s20, 1
	s_add_i32 s23, s23, 1
	s_cmp_lt_u32 s20, 14
	s_mov_b32 s22, 0
	s_cbranch_scc1 .LBB21_6
; %bb.4:
	s_and_b32 s26, s23, -8
	s_movk_i32 s27, 0x100
.LBB21_5:                               ; =>This Inner Loop Header: Depth=1
	s_add_i32 s20, s17, s22
	s_ashr_i32 s21, s20, 31
	s_lshl_b64 s[28:29], s[20:21], 2
	s_add_u32 s28, s2, s28
	s_addc_u32 s29, s3, s29
	s_load_dwordx2 s[28:29], s[28:29], 0x0
	s_add_i32 s30, s20, 2
	s_ashr_i32 s31, s30, 31
	s_lshl_b64 s[30:31], s[30:31], 2
	v_mov_b32_e32 v0, s27
	s_waitcnt lgkmcnt(0)
	s_sub_i32 s21, s29, s13
	s_sub_i32 s28, s28, s13
	v_mov_b32_e32 v1, s28
	s_add_u32 s28, s2, s30
	s_addc_u32 s29, s3, s31
	s_load_dwordx2 s[28:29], s[28:29], 0x0
	s_add_i32 s30, s20, 4
	s_ashr_i32 s31, s30, 31
	v_mov_b32_e32 v2, s21
	s_lshl_b64 s[30:31], s[30:31], 2
	s_waitcnt lgkmcnt(0)
	s_sub_i32 s21, s29, s13
	s_sub_i32 s28, s28, s13
	ds_write2_b32 v0, v1, v2 offset1:1
	v_mov_b32_e32 v1, s28
	s_add_u32 s28, s2, s30
	s_addc_u32 s29, s3, s31
	s_load_dwordx2 s[28:29], s[28:29], 0x0
	s_add_i32 s30, s20, 6
	s_ashr_i32 s31, s30, 31
	v_mov_b32_e32 v2, s21
	s_lshl_b64 s[30:31], s[30:31], 2
	s_waitcnt lgkmcnt(0)
	s_sub_i32 s21, s29, s13
	s_sub_i32 s28, s28, s13
	ds_write2_b32 v0, v1, v2 offset0:2 offset1:3
	v_mov_b32_e32 v1, s28
	s_add_u32 s28, s2, s30
	s_addc_u32 s29, s3, s31
	s_load_dwordx2 s[28:29], s[28:29], 0x0
	s_add_i32 s30, s20, 8
	s_ashr_i32 s31, s30, 31
	v_mov_b32_e32 v2, s21
	s_lshl_b64 s[30:31], s[30:31], 2
	s_waitcnt lgkmcnt(0)
	s_sub_i32 s21, s29, s13
	s_sub_i32 s28, s28, s13
	ds_write2_b32 v0, v1, v2 offset0:4 offset1:5
	;; [unrolled: 12-line block ×4, first 2 shown]
	v_mov_b32_e32 v1, s28
	s_add_u32 s28, s2, s30
	s_addc_u32 s29, s3, s31
	s_load_dwordx2 s[28:29], s[28:29], 0x0
	s_add_i32 s20, s20, 14
	v_mov_b32_e32 v2, s21
	s_ashr_i32 s21, s20, 31
	s_lshl_b64 s[20:21], s[20:21], 2
	s_waitcnt lgkmcnt(0)
	s_sub_i32 s29, s29, s13
	s_sub_i32 s28, s28, s13
	s_add_u32 s20, s2, s20
	s_addc_u32 s21, s3, s21
	s_load_dwordx2 s[20:21], s[20:21], 0x0
	ds_write2_b32 v0, v1, v2 offset0:10 offset1:11
	v_mov_b32_e32 v1, s28
	v_mov_b32_e32 v2, s29
	s_add_i32 s22, s22, 16
	s_add_i32 s27, s27, 64
	s_add_i32 s26, s26, -8
	s_waitcnt lgkmcnt(0)
	s_sub_i32 s21, s21, s13
	s_sub_i32 s20, s20, s13
	ds_write2_b32 v0, v1, v2 offset0:12 offset1:13
	v_mov_b32_e32 v1, s20
	v_mov_b32_e32 v2, s21
	s_cmp_lg_u32 s26, 0
	ds_write2_b32 v0, v1, v2 offset0:14 offset1:15
	s_cbranch_scc1 .LBB21_5
.LBB21_6:
	s_and_b32 s23, s23, 7
	s_cmp_eq_u32 s23, 0
	s_cbranch_scc1 .LBB21_9
; %bb.7:
	s_lshl_b32 s20, s22, 2
	s_add_i32 s26, s20, 0x100
	s_add_i32 s20, s22, s24
	s_sub_i32 s20, s20, s13
.LBB21_8:                               ; =>This Inner Loop Header: Depth=1
	s_ashr_i32 s21, s20, 31
	s_lshl_b64 s[28:29], s[20:21], 2
	s_add_u32 s28, s2, s28
	s_addc_u32 s29, s3, s29
	s_load_dwordx2 s[28:29], s[28:29], 0x0
	v_mov_b32_e32 v0, s26
	s_add_i32 s26, s26, 8
	s_add_i32 s20, s20, 2
	s_add_i32 s23, s23, -1
	s_waitcnt lgkmcnt(0)
	s_sub_i32 s21, s29, s13
	s_sub_i32 s22, s28, s13
	v_mov_b32_e32 v1, s22
	v_mov_b32_e32 v2, s21
	s_cmp_lg_u32 s23, 0
	ds_write2_b32 v0, v1, v2 offset1:1
	s_cbranch_scc1 .LBB21_8
.LBB21_9:
	s_and_b32 s21, s25, -2
	s_add_i32 s20, s17, s21
	s_cmp_lg_u32 s25, s21
	s_cselect_b64 s[22:23], -1, 0
.LBB21_10:
	s_and_b64 vcc, exec, s[22:23]
	s_cbranch_vccz .LBB21_13
; %bb.11:
	s_add_i32 s21, s20, s13
	s_sub_i32 s21, s21, s24
	s_lshl_b32 s21, s21, 2
	s_add_i32 s23, s21, 0x100
	s_ashr_i32 s21, s20, 31
	s_add_i32 s22, s20, -1
	s_lshl_b64 s[20:21], s[20:21], 2
	s_add_u32 s20, s2, s20
	s_addc_u32 s21, s3, s21
.LBB21_12:                              ; =>This Inner Loop Header: Depth=1
	s_load_dword s24, s[20:21], 0x0
	v_mov_b32_e32 v0, s23
	s_add_i32 s22, s22, 1
	s_add_i32 s23, s23, 4
	s_waitcnt lgkmcnt(0)
	s_sub_i32 s24, s24, s13
	s_add_u32 s20, s20, 4
	s_addc_u32 s21, s21, 0
	v_mov_b32_e32 v1, s24
	s_cmp_ge_i32 s22, s16
	ds_write_b32 v0, v1
	s_cbranch_scc0 .LBB21_12
.LBB21_13:
	v_mov_b32_e32 v0, 0
	v_mov_b32_e32 v1, v0
	s_cmp_ge_i32 s17, s16
	ds_write_b64 v0, v[0:1] offset:432
	s_waitcnt lgkmcnt(0)
	s_cbranch_scc1 .LBB21_55
; %bb.14:
	s_load_dword s4, s[4:5], 0x0
	v_mov_b32_e32 v1, 0x1a0
	v_mov_b32_e32 v6, s19
	;; [unrolled: 1-line block ×4, first 2 shown]
	s_waitcnt lgkmcnt(0)
	s_cmp_lg_u32 s4, 0
	s_cselect_b64 s[4:5], -1, 0
	v_mov_b32_e32 v9, 0x1b0
	v_mov_b32_e32 v10, 0x3ff00000
	s_mov_b32 s20, s17
	s_branch .LBB21_16
.LBB21_15:                              ;   in Loop: Header=BB21_16 Depth=1
                                        ; implicit-def: $sgpr20
	s_cbranch_execnz .LBB21_55
.LBB21_16:                              ; =>This Loop Header: Depth=1
                                        ;     Child Loop BB21_19 Depth 2
                                        ;     Child Loop BB21_30 Depth 2
	;; [unrolled: 1-line block ×6, first 2 shown]
	s_ashr_i32 s21, s20, 31
	s_lshl_b64 s[22:23], s[20:21], 2
	s_add_u32 s22, s2, s22
	s_addc_u32 s23, s3, s23
	s_load_dword s33, s[22:23], 0x0
	s_waitcnt lgkmcnt(0)
	s_sub_i32 s28, s33, s13
	s_ashr_i32 s29, s28, 31
	s_lshl_b64 s[26:27], s[28:29], 2
	s_add_u32 s22, s8, s26
	s_addc_u32 s23, s9, s27
	s_load_dword s24, s[22:23], 0x0
	s_waitcnt lgkmcnt(0)
	s_cmp_eq_u32 s24, -1
	s_cbranch_scc1 .LBB21_15
; %bb.17:                               ;   in Loop: Header=BB21_16 Depth=1
	s_add_u32 s22, s0, s26
	s_addc_u32 s23, s1, s27
	s_load_dword s25, s[22:23], 0x0
	s_lshl_b64 s[22:23], s[20:21], 3
	s_mov_b32 s29, 0
	ds_read_b32 v4, v0 offset:256
	s_waitcnt lgkmcnt(0)
	s_sub_i32 s30, s25, s13
	s_add_u32 s22, s18, s22
	s_addc_u32 s23, s19, s23
	global_load_dwordx2 v[2:3], v0, s[22:23]
	s_cmp_le_i32 s30, s24
	s_cselect_b64 s[34:35], -1, 0
	v_cmp_ge_i32_e32 vcc, s28, v4
	s_and_b64 s[34:35], s[34:35], vcc
	s_andn2_b64 vcc, exec, s[34:35]
	s_waitcnt vmcnt(0)
	ds_write_b64 v1, v[2:3]
	s_cbranch_vccnz .LBB21_29
; %bb.18:                               ;   in Loop: Header=BB21_16 Depth=1
	s_mov_b32 s21, 0
	s_mov_b32 s25, 0
.LBB21_19:                              ;   Parent Loop BB21_16 Depth=1
                                        ; =>  This Inner Loop Header: Depth=2
	s_ashr_i32 s31, s30, 31
	s_lshl_b64 s[34:35], s[30:31], 2
	s_add_u32 s34, s2, s34
	s_addc_u32 s35, s3, s35
	s_lshl_b32 s31, s25, 2
	s_load_dword s29, s[34:35], 0x0
	v_mov_b32_e32 v2, s31
	ds_read_b32 v2, v2 offset:256
	s_mov_b64 s[34:35], -1
                                        ; implicit-def: $sgpr37
                                        ; implicit-def: $sgpr36
	s_waitcnt lgkmcnt(0)
	s_sub_i32 s38, s29, s13
                                        ; implicit-def: $sgpr29
	v_cmp_ge_i32_e32 vcc, s38, v2
	v_readfirstlane_b32 s31, v2
	s_cbranch_vccz .LBB21_25
; %bb.20:                               ;   in Loop: Header=BB21_19 Depth=2
	s_cmp_le_i32 s38, s31
                                        ; implicit-def: $sgpr29
                                        ; implicit-def: $sgpr37
                                        ; implicit-def: $sgpr36
	s_cbranch_scc0 .LBB21_22
; %bb.21:                               ;   in Loop: Header=BB21_19 Depth=2
	s_add_i32 s29, s25, s17
	s_lshl_b32 s34, s21, 2
	v_mov_b32_e32 v2, s34
	v_mov_b32_e32 v3, s29
	v_mov_b32_e32 v4, s30
	ds_write2_b32 v2, v4, v3 offset1:32
	s_add_i32 s36, s25, 1
	s_add_i32 s37, s30, 1
	;; [unrolled: 1-line block ×3, first 2 shown]
	s_mov_b64 s[34:35], 0
.LBB21_22:                              ;   in Loop: Header=BB21_19 Depth=2
	s_andn2_b64 vcc, exec, s[34:35]
	s_cbranch_vccnz .LBB21_24
; %bb.23:                               ;   in Loop: Header=BB21_19 Depth=2
	s_add_i32 s36, s25, 1
	s_mov_b32 s29, s21
	s_mov_b32 s37, s30
.LBB21_24:                              ;   in Loop: Header=BB21_19 Depth=2
	s_mov_b64 s[34:35], 0
.LBB21_25:                              ;   in Loop: Header=BB21_19 Depth=2
	s_andn2_b64 vcc, exec, s[34:35]
	s_cbranch_vccnz .LBB21_27
; %bb.26:                               ;   in Loop: Header=BB21_19 Depth=2
	s_add_i32 s37, s30, 1
	s_mov_b32 s36, s25
	s_mov_b32 s29, s21
.LBB21_27:                              ;   in Loop: Header=BB21_19 Depth=2
	s_cmp_le_i32 s37, s24
	s_cselect_b64 s[34:35], -1, 0
	s_cmp_le_i32 s31, s28
	s_cselect_b64 s[30:31], -1, 0
	s_and_b64 s[30:31], s[34:35], s[30:31]
	s_and_b64 vcc, exec, s[30:31]
	s_cbranch_vccz .LBB21_29
; %bb.28:                               ;   in Loop: Header=BB21_19 Depth=2
	s_mov_b32 s21, s29
	s_mov_b32 s30, s37
	;; [unrolled: 1-line block ×3, first 2 shown]
	s_branch .LBB21_19
.LBB21_29:                              ;   in Loop: Header=BB21_16 Depth=1
	s_add_u32 s26, s10, s26
	s_addc_u32 s27, s11, s27
	s_waitcnt lgkmcnt(0)
.LBB21_30:                              ;   Parent Loop BB21_16 Depth=1
                                        ; =>  This Inner Loop Header: Depth=2
	global_load_dword v2, v0, s[26:27] glc
	s_waitcnt vmcnt(0)
	v_cmp_eq_u32_e32 vcc, 0, v2
	s_cbranch_vccnz .LBB21_30
; %bb.31:                               ;   in Loop: Header=BB21_16 Depth=1
	s_ashr_i32 s25, s24, 31
	s_lshl_b64 s[24:25], s[24:25], 3
	s_add_u32 s24, s18, s24
	s_addc_u32 s25, s19, s25
	buffer_wbinvl1_vol
	global_load_dwordx2 v[2:3], v0, s[24:25]
	s_cmp_lt_i32 s29, 2
	s_waitcnt vmcnt(0)
	ds_write_b64 v8, v[2:3]
	v_pk_mov_b32 v[2:3], 0, 0
	s_waitcnt lgkmcnt(0)
	s_cbranch_scc1 .LBB21_49
; %bb.32:                               ;   in Loop: Header=BB21_16 Depth=1
	s_andn2_b64 vcc, exec, s[4:5]
	s_add_i32 s21, s29, -1
	s_cbranch_vccnz .LBB21_37
; %bb.33:                               ;   in Loop: Header=BB21_16 Depth=1
	s_add_i32 s24, s29, -2
	s_cmp_lt_u32 s24, 7
	s_cbranch_scc1 .LBB21_38
; %bb.34:                               ;   in Loop: Header=BB21_16 Depth=1
	s_and_b32 s24, s21, -8
	s_mov_b32 s25, 0
	s_mov_b32 s26, 0
	v_pk_mov_b32 v[2:3], 0, 0
.LBB21_35:                              ;   Parent Loop BB21_16 Depth=1
                                        ; =>  This Inner Loop Header: Depth=2
	v_mov_b32_e32 v4, s25
	ds_read_b128 v[12:15], v4
	ds_read_b128 v[16:19], v4 offset:128
	ds_read_b128 v[20:23], v4 offset:16
	;; [unrolled: 1-line block ×3, first 2 shown]
	s_add_i32 s26, s26, 8
	s_waitcnt lgkmcnt(3)
	v_ashrrev_i32_e32 v5, 31, v12
	v_mov_b32_e32 v4, v12
	v_lshlrev_b64 v[4:5], 3, v[4:5]
	s_waitcnt lgkmcnt(2)
	v_ashrrev_i32_e32 v29, 31, v16
	v_mov_b32_e32 v28, v16
	v_add_co_u32_e32 v4, vcc, s18, v4
	v_ashrrev_i32_e32 v31, 31, v13
	v_mov_b32_e32 v30, v13
	v_ashrrev_i32_e32 v13, 31, v17
	v_mov_b32_e32 v12, v17
	;; [unrolled: 2-line block ×6, first 2 shown]
	s_waitcnt lgkmcnt(1)
	v_ashrrev_i32_e32 v19, 31, v20
	v_mov_b32_e32 v18, v20
	s_waitcnt lgkmcnt(0)
	v_ashrrev_i32_e32 v37, 31, v24
	v_mov_b32_e32 v36, v24
	v_ashrrev_i32_e32 v39, 31, v21
	v_mov_b32_e32 v38, v21
	;; [unrolled: 2-line block ×7, first 2 shown]
	v_lshlrev_b64 v[26:27], 3, v[28:29]
	v_addc_co_u32_e32 v5, vcc, v6, v5, vcc
	v_add_co_u32_e32 v26, vcc, s18, v26
	v_lshlrev_b64 v[28:29], 3, v[30:31]
	v_addc_co_u32_e32 v27, vcc, v6, v27, vcc
	v_add_co_u32_e32 v28, vcc, s18, v28
	;; [unrolled: 3-line block ×15, first 2 shown]
	v_addc_co_u32_e32 v23, vcc, v6, v23, vcc
	global_load_dwordx2 v[42:43], v[4:5], off
	global_load_dwordx2 v[44:45], v[28:29], off
	;; [unrolled: 1-line block ×15, first 2 shown]
                                        ; kill: killed $vgpr26 killed $vgpr27
                                        ; kill: killed $vgpr40 killed $vgpr41
                                        ; kill: killed $vgpr30 killed $vgpr31
                                        ; kill: killed $vgpr20 killed $vgpr21
                                        ; kill: killed $vgpr28 killed $vgpr29
                                        ; kill: killed $vgpr18 killed $vgpr19
                                        ; kill: killed $vgpr32 killed $vgpr33
                                        ; kill: killed $vgpr24 killed $vgpr25
                                        ; kill: killed $vgpr12 killed $vgpr13
                                        ; kill: killed $vgpr34 killed $vgpr35
                                        ; kill: killed $vgpr4 killed $vgpr5
                                        ; kill: killed $vgpr14 killed $vgpr15
                                        ; kill: killed $vgpr38 killed $vgpr39
                                        ; kill: killed $vgpr16 killed $vgpr17
                                        ; kill: killed $vgpr36 killed $vgpr37
	global_load_dwordx2 v[4:5], v[22:23], off
	s_add_i32 s25, s25, 32
	s_cmp_eq_u32 s24, s26
	s_waitcnt vmcnt(11)
	v_fmac_f64_e32 v[2:3], v[42:43], v[50:51]
	s_waitcnt vmcnt(10)
	v_fmac_f64_e32 v[2:3], v[44:45], v[52:53]
	;; [unrolled: 2-line block ×8, first 2 shown]
	s_cbranch_scc0 .LBB21_35
; %bb.36:                               ;   in Loop: Header=BB21_16 Depth=1
	s_and_b32 s25, s21, 7
	s_cmp_eq_u32 s25, 0
	s_cbranch_scc0 .LBB21_39
	s_branch .LBB21_41
.LBB21_37:                              ;   in Loop: Header=BB21_16 Depth=1
                                        ; implicit-def: $vgpr2_vgpr3
	s_cbranch_execnz .LBB21_42
	s_branch .LBB21_49
.LBB21_38:                              ;   in Loop: Header=BB21_16 Depth=1
	s_mov_b32 s24, 0
	v_pk_mov_b32 v[2:3], 0, 0
	s_and_b32 s25, s21, 7
	s_cmp_eq_u32 s25, 0
	s_cbranch_scc1 .LBB21_41
.LBB21_39:                              ;   in Loop: Header=BB21_16 Depth=1
	s_lshl_b32 s24, s24, 2
.LBB21_40:                              ;   Parent Loop BB21_16 Depth=1
                                        ; =>  This Inner Loop Header: Depth=2
	v_mov_b32_e32 v4, s24
	ds_read2_b32 v[4:5], v4 offset1:32
	v_mov_b32_e32 v11, s19
	s_add_i32 s24, s24, 4
	s_add_i32 s25, s25, -1
	s_cmp_lg_u32 s25, 0
	s_waitcnt lgkmcnt(0)
	v_ashrrev_i32_e32 v13, 31, v4
	v_mov_b32_e32 v12, v4
	v_ashrrev_i32_e32 v15, 31, v5
	v_mov_b32_e32 v14, v5
	v_lshlrev_b64 v[4:5], 3, v[12:13]
	v_add_co_u32_e32 v4, vcc, s18, v4
	v_lshlrev_b64 v[12:13], 3, v[14:15]
	v_addc_co_u32_e32 v5, vcc, v11, v5, vcc
	v_add_co_u32_e32 v12, vcc, s18, v12
	v_addc_co_u32_e32 v13, vcc, v11, v13, vcc
	global_load_dwordx2 v[14:15], v[4:5], off
	global_load_dwordx2 v[16:17], v[12:13], off
	s_waitcnt vmcnt(0)
	v_fmac_f64_e32 v[2:3], v[14:15], v[16:17]
	s_cbranch_scc1 .LBB21_40
.LBB21_41:                              ;   in Loop: Header=BB21_16 Depth=1
	s_branch .LBB21_49
.LBB21_42:                              ;   in Loop: Header=BB21_16 Depth=1
	s_add_i32 s24, s29, -2
	s_cmp_lt_u32 s24, 7
	s_cbranch_scc1 .LBB21_46
; %bb.43:                               ;   in Loop: Header=BB21_16 Depth=1
	s_and_b32 s24, s21, -8
	s_mov_b32 s25, 0
	s_mov_b32 s26, 0
	v_pk_mov_b32 v[2:3], 0, 0
.LBB21_44:                              ;   Parent Loop BB21_16 Depth=1
                                        ; =>  This Inner Loop Header: Depth=2
	v_mov_b32_e32 v4, s25
	ds_read_b128 v[12:15], v4
	ds_read_b128 v[16:19], v4 offset:128
	ds_read_b128 v[20:23], v4 offset:16
	;; [unrolled: 1-line block ×3, first 2 shown]
	v_mov_b32_e32 v11, s19
	s_waitcnt lgkmcnt(3)
	v_ashrrev_i32_e32 v5, 31, v12
	v_mov_b32_e32 v4, v12
	v_lshlrev_b64 v[4:5], 3, v[4:5]
	s_waitcnt lgkmcnt(2)
	v_ashrrev_i32_e32 v29, 31, v16
	v_mov_b32_e32 v28, v16
	v_add_co_u32_e32 v4, vcc, s18, v4
	v_ashrrev_i32_e32 v31, 31, v13
	v_mov_b32_e32 v30, v13
	v_ashrrev_i32_e32 v13, 31, v17
	v_mov_b32_e32 v12, v17
	;; [unrolled: 2-line block ×6, first 2 shown]
	s_waitcnt lgkmcnt(1)
	v_ashrrev_i32_e32 v19, 31, v20
	v_mov_b32_e32 v18, v20
	s_waitcnt lgkmcnt(0)
	v_ashrrev_i32_e32 v37, 31, v24
	v_mov_b32_e32 v36, v24
	v_ashrrev_i32_e32 v39, 31, v21
	v_mov_b32_e32 v38, v21
	;; [unrolled: 2-line block ×7, first 2 shown]
	v_lshlrev_b64 v[26:27], 3, v[28:29]
	v_addc_co_u32_e32 v5, vcc, v11, v5, vcc
	v_add_co_u32_e32 v26, vcc, s18, v26
	v_lshlrev_b64 v[28:29], 3, v[30:31]
	v_addc_co_u32_e32 v27, vcc, v11, v27, vcc
	v_add_co_u32_e32 v28, vcc, s18, v28
	;; [unrolled: 3-line block ×15, first 2 shown]
	v_addc_co_u32_e32 v23, vcc, v11, v23, vcc
	global_load_dwordx2 v[42:43], v[4:5], off
	global_load_dwordx2 v[44:45], v[28:29], off
	global_load_dwordx2 v[46:47], v[16:17], off
	global_load_dwordx2 v[48:49], v[32:33], off
	global_load_dwordx2 v[50:51], v[26:27], off
	global_load_dwordx2 v[52:53], v[12:13], off
	global_load_dwordx2 v[54:55], v[30:31], off
	global_load_dwordx2 v[56:57], v[14:15], off
	global_load_dwordx2 v[58:59], v[18:19], off
	global_load_dwordx2 v[60:61], v[36:37], off
	global_load_dwordx2 v[62:63], v[24:25], off
	global_load_dwordx2 v[64:65], v[40:41], off
	global_load_dwordx2 v[66:67], v[34:35], off
	global_load_dwordx2 v[68:69], v[20:21], off
	global_load_dwordx2 v[70:71], v[38:39], off
                                        ; kill: killed $vgpr18 killed $vgpr19
                                        ; kill: killed $vgpr32 killed $vgpr33
                                        ; kill: killed $vgpr24 killed $vgpr25
                                        ; kill: killed $vgpr12 killed $vgpr13
                                        ; kill: killed $vgpr34 killed $vgpr35
                                        ; kill: killed $vgpr4 killed $vgpr5
                                        ; kill: killed $vgpr14 killed $vgpr15
                                        ; kill: killed $vgpr38 killed $vgpr39
                                        ; kill: killed $vgpr16 killed $vgpr17
                                        ; kill: killed $vgpr36 killed $vgpr37
                                        ; kill: killed $vgpr26 killed $vgpr27
                                        ; kill: killed $vgpr40 killed $vgpr41
                                        ; kill: killed $vgpr30 killed $vgpr31
                                        ; kill: killed $vgpr20 killed $vgpr21
                                        ; kill: killed $vgpr28 killed $vgpr29
	global_load_dwordx2 v[4:5], v[22:23], off
	s_add_i32 s26, s26, 8
	s_add_i32 s25, s25, 32
	s_cmp_lg_u32 s24, s26
	s_waitcnt vmcnt(11)
	v_fmac_f64_e32 v[2:3], v[42:43], v[50:51]
	s_waitcnt vmcnt(10)
	v_fmac_f64_e32 v[2:3], v[44:45], v[52:53]
	;; [unrolled: 2-line block ×8, first 2 shown]
	s_cbranch_scc1 .LBB21_44
; %bb.45:                               ;   in Loop: Header=BB21_16 Depth=1
	s_and_b32 s21, s21, 7
	s_cmp_eq_u32 s21, 0
	s_cbranch_scc0 .LBB21_47
	s_branch .LBB21_49
.LBB21_46:                              ;   in Loop: Header=BB21_16 Depth=1
	s_mov_b32 s24, 0
	v_pk_mov_b32 v[2:3], 0, 0
	s_and_b32 s21, s21, 7
	s_cmp_eq_u32 s21, 0
	s_cbranch_scc1 .LBB21_49
.LBB21_47:                              ;   in Loop: Header=BB21_16 Depth=1
	s_lshl_b32 s24, s24, 2
.LBB21_48:                              ;   Parent Loop BB21_16 Depth=1
                                        ; =>  This Inner Loop Header: Depth=2
	v_mov_b32_e32 v4, s24
	ds_read2_b32 v[4:5], v4 offset1:32
	v_mov_b32_e32 v11, s19
	s_add_i32 s24, s24, 4
	s_add_i32 s21, s21, -1
	s_cmp_eq_u32 s21, 0
	s_waitcnt lgkmcnt(0)
	v_ashrrev_i32_e32 v13, 31, v4
	v_mov_b32_e32 v12, v4
	v_ashrrev_i32_e32 v15, 31, v5
	v_mov_b32_e32 v14, v5
	v_lshlrev_b64 v[4:5], 3, v[12:13]
	v_add_co_u32_e32 v4, vcc, s18, v4
	v_lshlrev_b64 v[12:13], 3, v[14:15]
	v_addc_co_u32_e32 v5, vcc, v11, v5, vcc
	v_add_co_u32_e32 v12, vcc, s18, v12
	v_addc_co_u32_e32 v13, vcc, v11, v13, vcc
	global_load_dwordx2 v[14:15], v[4:5], off
	global_load_dwordx2 v[16:17], v[12:13], off
	s_waitcnt vmcnt(0)
	v_fmac_f64_e32 v[2:3], v[14:15], v[16:17]
	s_cbranch_scc0 .LBB21_48
.LBB21_49:                              ;   in Loop: Header=BB21_16 Depth=1
	ds_write_b64 v7, v[2:3]
	s_waitcnt lgkmcnt(0)
	ds_read_b64 v[4:5], v0 offset:384
	ds_read_b64 v[2:3], v1
	s_waitcnt lgkmcnt(1)
	v_cmp_eq_f64_e32 vcc, 0, v[4:5]
	s_cbranch_vccz .LBB21_53
; %bb.50:                               ;   in Loop: Header=BB21_16 Depth=1
	v_mbcnt_lo_u32_b32 v4, exec_lo, 0
	v_mbcnt_hi_u32_b32 v4, exec_hi, v4
	v_cmp_ne_u32_e32 vcc, 0, v4
	s_and_b64 s[24:25], vcc, exec
	s_cbranch_scc1 .LBB21_52
; %bb.51:                               ;   in Loop: Header=BB21_16 Depth=1
	v_mov_b32_e32 v4, s33
	global_atomic_smin v0, v4, s[14:15]
.LBB21_52:                              ;   in Loop: Header=BB21_16 Depth=1
	v_mov_b32_e32 v4, 0
	v_mov_b32_e32 v5, 0x3ff00000
	s_branch .LBB21_54
.LBB21_53:                              ;   in Loop: Header=BB21_16 Depth=1
	v_cmp_neq_f64_e32 vcc, 0, v[4:5]
	v_cndmask_b32_e32 v5, v10, v5, vcc
	v_cndmask_b32_e32 v4, 0, v4, vcc
.LBB21_54:                              ;   in Loop: Header=BB21_16 Depth=1
	ds_read_b64 v[12:13], v7
	s_add_i32 s20, s20, 1
	s_cmp_ge_i32 s20, s16
	s_waitcnt lgkmcnt(0)
	v_add_f64 v[2:3], v[2:3], -v[12:13]
	v_div_scale_f64 v[12:13], s[24:25], v[4:5], v[4:5], v[2:3]
	v_rcp_f64_e32 v[14:15], v[12:13]
	v_div_scale_f64 v[16:17], vcc, v[2:3], v[4:5], v[2:3]
	v_fma_f64 v[18:19], -v[12:13], v[14:15], 1.0
	v_fmac_f64_e32 v[14:15], v[14:15], v[18:19]
	v_fma_f64 v[18:19], -v[12:13], v[14:15], 1.0
	v_fmac_f64_e32 v[14:15], v[14:15], v[18:19]
	v_mul_f64 v[18:19], v[16:17], v[14:15]
	v_fma_f64 v[12:13], -v[12:13], v[18:19], v[16:17]
	v_div_fmas_f64 v[12:13], v[12:13], v[14:15], v[18:19]
	v_div_fixup_f64 v[2:3], v[12:13], v[4:5], v[2:3]
	ds_write_b64 v1, v[2:3]
	s_waitcnt lgkmcnt(0)
	ds_read_b64 v[4:5], v1
	ds_read_b64 v[12:13], v9
	s_waitcnt lgkmcnt(0)
	v_fmac_f64_e32 v[12:13], v[2:3], v[4:5]
	ds_write_b64 v9, v[12:13]
	s_waitcnt lgkmcnt(0)
	ds_read_b64 v[2:3], v1
	s_waitcnt lgkmcnt(0)
	global_store_dwordx2 v0, v[2:3], s[22:23]
	s_cselect_b64 s[22:23], -1, 0
	s_waitcnt vmcnt(0)
	buffer_wbinvl1_vol
	s_and_b64 vcc, exec, s[22:23]
	s_cbranch_vccz .LBB21_16
.LBB21_55:
	s_ashr_i32 s17, s16, 31
	s_lshl_b64 s[0:1], s[16:17], 3
	s_add_u32 s0, s18, s0
	s_addc_u32 s1, s19, s1
	global_load_dwordx2 v[2:3], v0, s[0:1]
	s_waitcnt vmcnt(0)
	ds_write_b64 v0, v[2:3] offset:416
	s_waitcnt lgkmcnt(0)
; %bb.56:
	v_mov_b32_e32 v8, 0
	ds_read2_b64 v[0:3], v8 offset0:52 offset1:54
	s_mov_b32 s2, 0
	s_brev_b32 s3, 8
	s_waitcnt lgkmcnt(0)
	v_add_f64 v[0:1], v[0:1], -v[2:3]
	v_xor_b32_e32 v2, 0x80000000, v1
	v_cmp_gt_f64_e32 vcc, 0, v[0:1]
	v_cndmask_b32_e32 v1, v1, v2, vcc
	v_cndmask_b32_e32 v0, v0, v0, vcc
	v_cmp_gt_f64_e32 vcc, s[2:3], v[0:1]
	v_cndmask_b32_e64 v2, 0, 1, vcc
	v_lshlrev_b32_e32 v2, 8, v2
	v_ldexp_f64 v[0:1], v[0:1], v2
	v_rsq_f64_e32 v[2:3], v[0:1]
	s_and_b64 s[2:3], vcc, exec
	s_cselect_b32 s2, 0xffffff80, 0
	v_mul_f64 v[4:5], v[0:1], v[2:3]
	v_mul_f64 v[2:3], v[2:3], 0.5
	v_fma_f64 v[6:7], -v[2:3], v[4:5], 0.5
	v_fmac_f64_e32 v[4:5], v[4:5], v[6:7]
	v_fmac_f64_e32 v[2:3], v[2:3], v[6:7]
	v_fma_f64 v[6:7], -v[4:5], v[4:5], v[0:1]
	v_fmac_f64_e32 v[4:5], v[6:7], v[2:3]
	v_fma_f64 v[6:7], -v[4:5], v[4:5], v[0:1]
	v_fmac_f64_e32 v[4:5], v[6:7], v[2:3]
	v_ldexp_f64 v[2:3], v[4:5], s2
	v_mov_b32_e32 v4, 0x260
	v_cmp_class_f64_e32 vcc, v[0:1], v4
	v_cndmask_b32_e32 v1, v3, v1, vcc
	v_cndmask_b32_e32 v0, v2, v0, vcc
	ds_write_b64 v8, v[0:1] offset:416
; %bb.57:
	v_mov_b32_e32 v0, 0
	s_waitcnt lgkmcnt(0)
	ds_read_b64 v[0:1], v0 offset:416
	s_waitcnt lgkmcnt(0)
	v_cmp_neq_f64_e32 vcc, 0, v[0:1]
	s_cbranch_vccnz .LBB21_62
; %bb.58:
; %bb.59:
	v_mbcnt_lo_u32_b32 v0, exec_lo, 0
	v_mbcnt_hi_u32_b32 v0, exec_hi, v0
	v_cmp_ne_u32_e32 vcc, 0, v0
	s_and_b64 s[2:3], vcc, exec
	s_cbranch_scc1 .LBB21_61
; %bb.60:
	s_add_i32 s2, s12, s13
	v_mov_b32_e32 v0, 0
	v_mov_b32_e32 v1, s2
	global_atomic_smin v0, v1, s[14:15]
.LBB21_61:
	v_mov_b32_e32 v0, 0
	v_mov_b32_e32 v1, 0x3ff00000
.LBB21_62:
	s_mov_b64 s[2:3], -1
	s_cbranch_execnz .LBB21_64
; %bb.63:
	v_mov_b32_e32 v12, 0
	ds_read2_b64 v[2:5], v12 offset0:52 offset1:54
	v_mov_b32_e32 v13, 0x1b0
	s_waitcnt lgkmcnt(0)
	v_add_f64 v[2:3], v[2:3], -v[4:5]
	v_div_scale_f64 v[4:5], s[4:5], v[0:1], v[0:1], v[2:3]
	v_rcp_f64_e32 v[6:7], v[4:5]
	v_div_scale_f64 v[8:9], vcc, v[2:3], v[0:1], v[2:3]
	v_fma_f64 v[10:11], -v[4:5], v[6:7], 1.0
	v_fmac_f64_e32 v[6:7], v[6:7], v[10:11]
	v_fma_f64 v[10:11], -v[4:5], v[6:7], 1.0
	v_fmac_f64_e32 v[6:7], v[6:7], v[10:11]
	v_mul_f64 v[10:11], v[8:9], v[6:7]
	v_fma_f64 v[4:5], -v[4:5], v[10:11], v[8:9]
	v_div_fmas_f64 v[4:5], v[4:5], v[6:7], v[10:11]
	v_div_fixup_f64 v[0:1], v[4:5], v[0:1], v[2:3]
	ds_write_b64 v12, v[0:1] offset:416
	s_waitcnt lgkmcnt(0)
	ds_read_b64 v[2:3], v12 offset:416
	ds_read_b64 v[4:5], v13
	s_waitcnt lgkmcnt(0)
	v_fmac_f64_e32 v[4:5], v[0:1], v[2:3]
	ds_write_b64 v13, v[4:5]
.LBB21_64:
	v_mov_b32_e32 v0, 0x1a0
	s_waitcnt lgkmcnt(0)
	ds_read_b64 v[0:1], v0
	v_mov_b32_e32 v2, 0
	s_waitcnt lgkmcnt(0)
	global_store_dwordx2 v2, v[0:1], s[0:1]
	s_branch .LBB21_67
.LBB21_65:
	s_mov_b64 s[2:3], 0
	s_cbranch_execz .LBB21_67
; %bb.66:
	s_cbranch_execnz .LBB21_70
.LBB21_67:
	s_and_b64 vcc, exec, s[2:3]
	s_cbranch_vccz .LBB21_69
.LBB21_68:
	s_add_u32 s0, s10, s6
	s_addc_u32 s1, s11, s7
	v_mov_b32_e32 v0, 0
	v_mov_b32_e32 v1, 1
	s_waitcnt vmcnt(0)
	global_store_dword v0, v1, s[0:1]
.LBB21_69:
	s_endpgm
.LBB21_70:
	v_mbcnt_lo_u32_b32 v0, exec_lo, 0
	v_mbcnt_hi_u32_b32 v0, exec_hi, v0
	v_cmp_ne_u32_e32 vcc, 0, v0
	s_and_b64 s[0:1], vcc, exec
	s_cbranch_scc0 .LBB21_72
; %bb.71:
	s_cbranch_execnz .LBB21_68
	s_branch .LBB21_69
.LBB21_72:
	s_add_i32 s0, s12, s13
	v_mov_b32_e32 v0, 0
	v_mov_b32_e32 v1, s0
	global_atomic_smin v0, v1, s[14:15]
	s_cbranch_execnz .LBB21_68
	s_branch .LBB21_69
	.section	.rodata,"a",@progbits
	.p2align	6, 0x0
	.amdhsa_kernel _ZN9rocsparseL26bsric0_2_8_unrolled_kernelILi1ELi32ELi1EdEEv20rocsparse_direction_iiPKiS3_PT2_S3_PiS3_S6_21rocsparse_index_base_
		.amdhsa_group_segment_fixed_size 448
		.amdhsa_private_segment_fixed_size 0
		.amdhsa_kernarg_size 76
		.amdhsa_user_sgpr_count 6
		.amdhsa_user_sgpr_private_segment_buffer 1
		.amdhsa_user_sgpr_dispatch_ptr 0
		.amdhsa_user_sgpr_queue_ptr 0
		.amdhsa_user_sgpr_kernarg_segment_ptr 1
		.amdhsa_user_sgpr_dispatch_id 0
		.amdhsa_user_sgpr_flat_scratch_init 0
		.amdhsa_user_sgpr_kernarg_preload_length 0
		.amdhsa_user_sgpr_kernarg_preload_offset 0
		.amdhsa_user_sgpr_private_segment_size 0
		.amdhsa_uses_dynamic_stack 0
		.amdhsa_system_sgpr_private_segment_wavefront_offset 0
		.amdhsa_system_sgpr_workgroup_id_x 1
		.amdhsa_system_sgpr_workgroup_id_y 0
		.amdhsa_system_sgpr_workgroup_id_z 0
		.amdhsa_system_sgpr_workgroup_info 0
		.amdhsa_system_vgpr_workitem_id 0
		.amdhsa_next_free_vgpr 72
		.amdhsa_next_free_sgpr 39
		.amdhsa_accum_offset 72
		.amdhsa_reserve_vcc 1
		.amdhsa_reserve_flat_scratch 0
		.amdhsa_float_round_mode_32 0
		.amdhsa_float_round_mode_16_64 0
		.amdhsa_float_denorm_mode_32 3
		.amdhsa_float_denorm_mode_16_64 3
		.amdhsa_dx10_clamp 1
		.amdhsa_ieee_mode 1
		.amdhsa_fp16_overflow 0
		.amdhsa_tg_split 0
		.amdhsa_exception_fp_ieee_invalid_op 0
		.amdhsa_exception_fp_denorm_src 0
		.amdhsa_exception_fp_ieee_div_zero 0
		.amdhsa_exception_fp_ieee_overflow 0
		.amdhsa_exception_fp_ieee_underflow 0
		.amdhsa_exception_fp_ieee_inexact 0
		.amdhsa_exception_int_div_zero 0
	.end_amdhsa_kernel
	.section	.text._ZN9rocsparseL26bsric0_2_8_unrolled_kernelILi1ELi32ELi1EdEEv20rocsparse_direction_iiPKiS3_PT2_S3_PiS3_S6_21rocsparse_index_base_,"axG",@progbits,_ZN9rocsparseL26bsric0_2_8_unrolled_kernelILi1ELi32ELi1EdEEv20rocsparse_direction_iiPKiS3_PT2_S3_PiS3_S6_21rocsparse_index_base_,comdat
.Lfunc_end21:
	.size	_ZN9rocsparseL26bsric0_2_8_unrolled_kernelILi1ELi32ELi1EdEEv20rocsparse_direction_iiPKiS3_PT2_S3_PiS3_S6_21rocsparse_index_base_, .Lfunc_end21-_ZN9rocsparseL26bsric0_2_8_unrolled_kernelILi1ELi32ELi1EdEEv20rocsparse_direction_iiPKiS3_PT2_S3_PiS3_S6_21rocsparse_index_base_
                                        ; -- End function
	.section	.AMDGPU.csdata,"",@progbits
; Kernel info:
; codeLenInByte = 4084
; NumSgprs: 43
; NumVgprs: 72
; NumAgprs: 0
; TotalNumVgprs: 72
; ScratchSize: 0
; MemoryBound: 0
; FloatMode: 240
; IeeeMode: 1
; LDSByteSize: 448 bytes/workgroup (compile time only)
; SGPRBlocks: 5
; VGPRBlocks: 8
; NumSGPRsForWavesPerEU: 43
; NumVGPRsForWavesPerEU: 72
; AccumOffset: 72
; Occupancy: 7
; WaveLimiterHint : 1
; COMPUTE_PGM_RSRC2:SCRATCH_EN: 0
; COMPUTE_PGM_RSRC2:USER_SGPR: 6
; COMPUTE_PGM_RSRC2:TRAP_HANDLER: 0
; COMPUTE_PGM_RSRC2:TGID_X_EN: 1
; COMPUTE_PGM_RSRC2:TGID_Y_EN: 0
; COMPUTE_PGM_RSRC2:TGID_Z_EN: 0
; COMPUTE_PGM_RSRC2:TIDIG_COMP_CNT: 0
; COMPUTE_PGM_RSRC3_GFX90A:ACCUM_OFFSET: 17
; COMPUTE_PGM_RSRC3_GFX90A:TG_SPLIT: 0
	.section	.text._ZN9rocsparseL26bsric0_2_8_unrolled_kernelILi4ELi32ELi2EdEEv20rocsparse_direction_iiPKiS3_PT2_S3_PiS3_S6_21rocsparse_index_base_,"axG",@progbits,_ZN9rocsparseL26bsric0_2_8_unrolled_kernelILi4ELi32ELi2EdEEv20rocsparse_direction_iiPKiS3_PT2_S3_PiS3_S6_21rocsparse_index_base_,comdat
	.globl	_ZN9rocsparseL26bsric0_2_8_unrolled_kernelILi4ELi32ELi2EdEEv20rocsparse_direction_iiPKiS3_PT2_S3_PiS3_S6_21rocsparse_index_base_ ; -- Begin function _ZN9rocsparseL26bsric0_2_8_unrolled_kernelILi4ELi32ELi2EdEEv20rocsparse_direction_iiPKiS3_PT2_S3_PiS3_S6_21rocsparse_index_base_
	.p2align	8
	.type	_ZN9rocsparseL26bsric0_2_8_unrolled_kernelILi4ELi32ELi2EdEEv20rocsparse_direction_iiPKiS3_PT2_S3_PiS3_S6_21rocsparse_index_base_,@function
_ZN9rocsparseL26bsric0_2_8_unrolled_kernelILi4ELi32ELi2EdEEv20rocsparse_direction_iiPKiS3_PT2_S3_PiS3_S6_21rocsparse_index_base_: ; @_ZN9rocsparseL26bsric0_2_8_unrolled_kernelILi4ELi32ELi2EdEEv20rocsparse_direction_iiPKiS3_PT2_S3_PiS3_S6_21rocsparse_index_base_
; %bb.0:
	s_load_dwordx8 s[8:15], s[4:5], 0x28
	s_mov_b32 s7, 0
	s_lshl_b64 s[0:1], s[6:7], 2
	v_and_b32_e32 v12, 0x3ff, v0
	v_bfe_u32 v13, v0, 10, 10
	s_waitcnt lgkmcnt(0)
	s_add_u32 s0, s12, s0
	s_addc_u32 s1, s13, s1
	s_load_dword s12, s[0:1], 0x0
	s_waitcnt lgkmcnt(0)
	s_ashr_i32 s13, s12, 31
	s_lshl_b64 s[6:7], s[12:13], 2
	s_add_u32 s0, s8, s6
	s_addc_u32 s1, s9, s7
	s_load_dword s30, s[0:1], 0x0
	s_load_dword s13, s[4:5], 0x48
	s_waitcnt lgkmcnt(0)
	s_cmp_lg_u32 s30, -1
	s_cbranch_scc0 .LBB22_16
; %bb.1:
	s_load_dwordx4 s[16:19], s[4:5], 0x10
	v_lshlrev_b32_e32 v15, 1, v13
	v_add_u32_e32 v14, v15, v12
	s_waitcnt lgkmcnt(0)
	s_add_u32 s0, s16, s6
	s_addc_u32 s1, s17, s7
	s_load_dword s24, s[0:1], 0x0
	s_waitcnt lgkmcnt(0)
	s_sub_i32 s31, s24, s13
	v_add_u32_e32 v0, s31, v14
	v_cmp_ge_i32_e32 vcc, s30, v0
	s_and_saveexec_b64 s[0:1], vcc
	s_cbranch_execz .LBB22_14
; %bb.2:
	v_add_u32_e32 v1, s24, v14
	v_subrev_u32_e32 v1, s13, v1
	v_add_u32_e32 v1, 4, v1
	s_add_i32 s2, s30, 1
	v_max_i32_e32 v1, s2, v1
	v_not_b32_e32 v2, v12
	v_add3_u32 v1, v1, s13, v2
	v_add_u32_e32 v2, s24, v15
	v_sub_u32_e32 v1, v1, v2
	v_cmp_lt_u32_e32 vcc, 3, v1
	s_mov_b64 s[20:21], -1
	s_and_saveexec_b64 s[2:3], vcc
	s_cbranch_execz .LBB22_11
; %bb.3:
	v_lshrrev_b32_e32 v16, 2, v1
	v_add_u32_e32 v2, -1, v16
	v_add_u32_e32 v1, 4, v0
	v_lshrrev_b32_e32 v3, 1, v2
	v_add_u32_e32 v17, 1, v3
	v_cmp_lt_u32_e32 vcc, 13, v2
	v_pk_mov_b32 v[2:3], v[0:1], v[0:1] op_sel:[0,1]
	s_and_saveexec_b64 s[20:21], vcc
	s_cbranch_execz .LBB22_7
; %bb.4:
	v_and_b32_e32 v18, -8, v17
	s_mov_b64 s[22:23], 0
	v_mov_b32_e32 v19, s19
	v_pk_mov_b32 v[2:3], v[0:1], v[0:1] op_sel:[0,1]
.LBB22_5:                               ; =>This Inner Loop Header: Depth=1
	v_ashrrev_i32_e32 v23, 31, v2
	v_mov_b32_e32 v22, v2
	v_lshlrev_b64 v[22:23], 2, v[22:23]
	v_ashrrev_i32_e32 v21, 31, v3
	v_mov_b32_e32 v20, v3
	v_add_co_u32_e32 v22, vcc, s18, v22
	v_add_u32_e32 v4, 8, v2
	v_lshlrev_b64 v[20:21], 2, v[20:21]
	v_addc_co_u32_e32 v23, vcc, v19, v23, vcc
	v_ashrrev_i32_e32 v5, 31, v4
	v_add_co_u32_e32 v20, vcc, s18, v20
	v_add_u32_e32 v6, 8, v3
	v_addc_co_u32_e32 v21, vcc, v19, v21, vcc
	v_lshlrev_b64 v[42:43], 2, v[4:5]
	v_ashrrev_i32_e32 v7, 31, v6
	v_add_co_u32_e32 v42, vcc, s18, v42
	v_add_u32_e32 v8, 16, v2
	v_lshlrev_b64 v[44:45], 2, v[6:7]
	v_addc_co_u32_e32 v43, vcc, v19, v43, vcc
	v_ashrrev_i32_e32 v9, 31, v8
	v_add_co_u32_e32 v44, vcc, s18, v44
	v_add_u32_e32 v10, 16, v3
	v_lshlrev_b64 v[46:47], 2, v[8:9]
	v_addc_co_u32_e32 v45, vcc, v19, v45, vcc
	;; [unrolled: 5-line block ×11, first 2 shown]
	v_ashrrev_i32_e32 v41, 31, v40
	v_add_co_u32_e32 v64, vcc, s18, v64
	v_addc_co_u32_e32 v65, vcc, v19, v65, vcc
	v_lshlrev_b64 v[66:67], 2, v[40:41]
	v_add_u32_e32 v68, 56, v3
	v_add_co_u32_e32 v66, vcc, s18, v66
	v_ashrrev_i32_e32 v69, 31, v68
	v_addc_co_u32_e32 v67, vcc, v19, v67, vcc
	v_lshlrev_b64 v[70:71], 2, v[68:69]
	v_add_co_u32_e32 v70, vcc, s18, v70
	v_addc_co_u32_e32 v71, vcc, v19, v71, vcc
	global_load_dword v1, v[20:21], off
	global_load_dword v5, v[22:23], off
	;; [unrolled: 1-line block ×15, first 2 shown]
                                        ; kill: killed $vgpr70 killed $vgpr71
                                        ; kill: killed $vgpr42 killed $vgpr43
                                        ; kill: killed $vgpr64 killed $vgpr65
                                        ; kill: killed $vgpr62 killed $vgpr63
                                        ; kill: killed $vgpr60 killed $vgpr61
                                        ; kill: killed $vgpr20 killed $vgpr21
                                        ; kill: killed $vgpr56 killed $vgpr57
                                        ; kill: killed $vgpr58 killed $vgpr59
                                        ; kill: killed $vgpr22 killed $vgpr23
                                        ; kill: killed $vgpr52 killed $vgpr53
                                        ; kill: killed $vgpr54 killed $vgpr55
                                        ; kill: killed $vgpr48 killed $vgpr49
                                        ; kill: killed $vgpr50 killed $vgpr51
                                        ; kill: killed $vgpr44 killed $vgpr45
                                        ; kill: killed $vgpr46 killed $vgpr47
	global_load_dword v20, v[66:67], off
	v_subrev_u32_e32 v22, s31, v2
	v_add_u32_e32 v18, -8, v18
	v_subrev_u32_e32 v21, s31, v3
	v_lshlrev_b32_e32 v22, 2, v22
	v_subrev_u32_e32 v4, s31, v4
	v_cmp_eq_u32_e32 vcc, 0, v18
	v_add_u32_e32 v3, 64, v3
	v_add_u32_e32 v2, 64, v2
	v_lshlrev_b32_e32 v21, 2, v21
	v_subrev_u32_e32 v6, s31, v6
	v_subrev_u32_e32 v10, s31, v10
	;; [unrolled: 1-line block ×13, first 2 shown]
	v_lshlrev_b32_e32 v4, 2, v4
	s_or_b64 s[22:23], vcc, s[22:23]
	v_lshlrev_b32_e32 v6, 2, v6
	v_lshlrev_b32_e32 v8, 2, v8
	;; [unrolled: 1-line block ×13, first 2 shown]
	s_waitcnt vmcnt(15)
	v_subrev_u32_e32 v1, s13, v1
	s_waitcnt vmcnt(14)
	v_subrev_u32_e32 v5, s13, v5
	ds_write_b32 v22, v5 offset:256
	ds_write_b32 v21, v1 offset:256
	s_waitcnt vmcnt(12)
	v_subrev_u32_e32 v5, s13, v9
	v_subrev_u32_e32 v1, s13, v7
	s_waitcnt vmcnt(11)
	v_subrev_u32_e32 v7, s13, v11
	s_waitcnt vmcnt(10)
	;; [unrolled: 2-line block ×12, first 2 shown]
	v_subrev_u32_e32 v20, s13, v20
	ds_write_b32 v4, v5 offset:256
	ds_write_b32 v6, v1 offset:256
	;; [unrolled: 1-line block ×14, first 2 shown]
	s_andn2_b64 exec, exec, s[22:23]
	s_cbranch_execnz .LBB22_5
; %bb.6:
	s_or_b64 exec, exec, s[22:23]
.LBB22_7:
	s_or_b64 exec, exec, s[20:21]
	v_and_b32_e32 v1, 7, v17
	v_cmp_ne_u32_e32 vcc, 0, v1
	s_and_saveexec_b64 s[20:21], vcc
	s_cbranch_execz .LBB22_10
; %bb.8:
	s_mov_b64 s[22:23], 0
	v_mov_b32_e32 v4, s19
.LBB22_9:                               ; =>This Inner Loop Header: Depth=1
	v_ashrrev_i32_e32 v9, 31, v2
	v_mov_b32_e32 v8, v2
	v_lshlrev_b64 v[8:9], 2, v[8:9]
	v_ashrrev_i32_e32 v7, 31, v3
	v_mov_b32_e32 v6, v3
	v_add_co_u32_e32 v8, vcc, s18, v8
	v_lshlrev_b64 v[6:7], 2, v[6:7]
	v_addc_co_u32_e32 v9, vcc, v4, v9, vcc
	v_add_co_u32_e32 v6, vcc, s18, v6
	v_addc_co_u32_e32 v7, vcc, v4, v7, vcc
	global_load_dword v5, v[6:7], off
	global_load_dword v10, v[8:9], off
	v_add_u32_e32 v1, -1, v1
	v_subrev_u32_e32 v7, s31, v2
	v_cmp_eq_u32_e32 vcc, 0, v1
	v_subrev_u32_e32 v6, s31, v3
	v_add_u32_e32 v3, 8, v3
	v_add_u32_e32 v2, 8, v2
	v_lshlrev_b32_e32 v7, 2, v7
	s_or_b64 s[22:23], vcc, s[22:23]
	v_lshlrev_b32_e32 v6, 2, v6
	s_waitcnt vmcnt(1)
	v_subrev_u32_e32 v5, s13, v5
	s_waitcnt vmcnt(0)
	v_subrev_u32_e32 v8, s13, v10
	ds_write_b32 v7, v8 offset:256
	ds_write_b32 v6, v5 offset:256
	s_andn2_b64 exec, exec, s[22:23]
	s_cbranch_execnz .LBB22_9
.LBB22_10:
	s_or_b64 exec, exec, s[20:21]
	v_add_u32_e32 v1, 1, v16
	v_and_b32_e32 v2, 0x7ffffffe, v1
	v_cmp_ne_u32_e32 vcc, v1, v2
	v_lshl_add_u32 v0, v2, 2, v0
	s_orn2_b64 s[20:21], vcc, exec
.LBB22_11:
	s_or_b64 exec, exec, s[2:3]
	s_and_b64 exec, exec, s[20:21]
	s_cbranch_execz .LBB22_14
; %bb.12:
	v_add_u32_e32 v1, s13, v0
	v_subrev_u32_e32 v1, s24, v1
	v_mov_b32_e32 v2, 0x100
	v_lshl_add_u32 v4, v1, 2, v2
	v_ashrrev_i32_e32 v1, 31, v0
	v_lshlrev_b64 v[2:3], 2, v[0:1]
	v_mov_b32_e32 v1, s19
	v_add_co_u32_e32 v2, vcc, s18, v2
	v_addc_co_u32_e32 v3, vcc, v1, v3, vcc
	s_mov_b64 s[2:3], 0
.LBB22_13:                              ; =>This Inner Loop Header: Depth=1
	global_load_dword v1, v[2:3], off
	v_add_co_u32_e32 v2, vcc, 16, v2
	v_add_u32_e32 v0, 4, v0
	v_addc_co_u32_e32 v3, vcc, 0, v3, vcc
	v_cmp_lt_i32_e32 vcc, s30, v0
	s_or_b64 s[2:3], vcc, s[2:3]
	s_waitcnt vmcnt(0)
	v_subrev_u32_e32 v1, s13, v1
	ds_write_b32 v4, v1
	v_add_u32_e32 v4, 16, v4
	s_andn2_b64 exec, exec, s[2:3]
	s_cbranch_execnz .LBB22_13
.LBB22_14:
	s_or_b64 exec, exec, s[0:1]
	s_load_dwordx2 s[2:3], s[4:5], 0x20
	v_lshlrev_b32_e32 v0, 3, v12
	v_mov_b32_e32 v2, 0
	v_mad_u32_u24 v10, v13, 24, v0
	v_mov_b32_e32 v3, v2
	s_cmp_lt_i32 s31, s30
	ds_write_b64 v10, v[2:3] offset:528
	s_waitcnt lgkmcnt(0)
	s_cbranch_scc1 .LBB22_17
; %bb.15:
	v_lshl_add_u32 v11, v12, 1, v13
	v_or_b32_e32 v8, v12, v13
	s_load_dword s33, s[4:5], 0x0
	v_add_u32_e32 v9, 0x210, v10
	s_cbranch_execz .LBB22_18
	s_branch .LBB22_63
.LBB22_16:
	s_mov_b64 s[0:1], 0
	s_cbranch_execnz .LBB22_80
	s_branch .LBB22_85
.LBB22_17:
                                        ; implicit-def: $vgpr11
                                        ; implicit-def: $vgpr8
	s_load_dword s33, s[4:5], 0x0
	v_add_u32_e32 v9, 0x210, v10
.LBB22_18:
	v_mul_u32_u24_e32 v2, 24, v13
	s_movk_i32 s0, 0x180
	s_waitcnt lgkmcnt(0)
	s_cmp_eq_u32 s33, 0
	v_lshlrev_b32_e32 v16, 1, v12
	v_mov_b32_e32 v1, 0x1e0
	v_add3_u32 v19, v2, v0, s0
	v_mov_b32_e32 v2, 0x1b0
	v_add_u32_e32 v11, v16, v13
	s_cselect_b64 vcc, -1, 0
	s_cmp_lg_u32 s33, 0
	v_mad_u32_u24 v17, v13, 24, v1
	v_mad_u32_u24 v22, v13, 24, v2
	v_or_b32_e32 v8, v12, v13
	s_cselect_b64 s[4:5], -1, 0
	v_add_u32_e32 v18, v17, v0
	v_add_u32_e32 v20, 2, v12
	;; [unrolled: 1-line block ×4, first 2 shown]
	v_cmp_ne_u32_e64 s[0:1], 0, v8
	v_mad_u32_u24 v24, v12, 24, v1
	v_cndmask_b32_e32 v25, v11, v14, vcc
	v_mov_b32_e32 v26, 0
	v_mov_b32_e32 v27, 0x3ff00000
	s_mov_b32 s20, s31
	s_branch .LBB22_22
.LBB22_19:                              ;   in Loop: Header=BB22_22 Depth=1
	s_or_b64 exec, exec, s[24:25]
	v_mov_b32_e32 v4, 0
	v_mov_b32_e32 v5, 0x3ff00000
.LBB22_20:                              ;   in Loop: Header=BB22_22 Depth=1
	s_or_b64 exec, exec, s[22:23]
	ds_read_b64 v[6:7], v17
	ds_read_b64 v[28:29], v26 offset:408
	ds_read_b64 v[30:31], v22 offset:8
	s_add_i32 s20, s20, 1
	s_cmp_ge_i32 s20, s30
	s_cselect_b64 s[26:27], -1, 0
	s_waitcnt lgkmcnt(0)
	v_fmac_f64_e32 v[30:31], v[28:29], v[6:7]
	v_add_f64 v[2:3], v[2:3], -v[30:31]
	v_div_scale_f64 v[6:7], s[22:23], v[4:5], v[4:5], v[2:3]
	v_rcp_f64_e32 v[28:29], v[6:7]
	v_div_scale_f64 v[30:31], vcc, v[2:3], v[4:5], v[2:3]
	v_fma_f64 v[32:33], -v[6:7], v[28:29], 1.0
	v_fmac_f64_e32 v[28:29], v[28:29], v[32:33]
	v_fma_f64 v[32:33], -v[6:7], v[28:29], 1.0
	v_fmac_f64_e32 v[28:29], v[28:29], v[32:33]
	v_mul_f64 v[32:33], v[30:31], v[28:29]
	v_fma_f64 v[6:7], -v[6:7], v[32:33], v[30:31]
	v_div_fmas_f64 v[6:7], v[6:7], v[28:29], v[32:33]
	v_div_fixup_f64 v[2:3], v[6:7], v[4:5], v[2:3]
	ds_write_b64 v17, v[2:3] offset:8
	s_waitcnt lgkmcnt(0)
	ds_read_b64 v[4:5], v24 offset:8
	ds_read_b64 v[6:7], v9
	s_waitcnt lgkmcnt(0)
	v_fmac_f64_e32 v[6:7], v[2:3], v[4:5]
	ds_write_b64 v9, v[6:7]
	s_waitcnt lgkmcnt(0)
	ds_read_b64 v[2:3], v18
	s_waitcnt lgkmcnt(0)
	global_store_dwordx2 v[0:1], v[2:3], off
	s_waitcnt vmcnt(0)
	buffer_wbinvl1_vol
.LBB22_21:                              ;   in Loop: Header=BB22_22 Depth=1
	s_and_b64 vcc, exec, s[26:27]
	s_cbranch_vccnz .LBB22_63
.LBB22_22:                              ; =>This Loop Header: Depth=1
                                        ;     Child Loop BB22_25 Depth 2
                                        ;     Child Loop BB22_36 Depth 2
                                        ;     Child Loop BB22_41 Depth 2
	s_ashr_i32 s21, s20, 31
	s_lshl_b64 s[22:23], s[20:21], 2
	s_add_u32 s22, s18, s22
	s_addc_u32 s23, s19, s23
	s_load_dword s21, s[22:23], 0x0
	s_waitcnt lgkmcnt(0)
	s_sub_i32 s24, s21, s13
	s_ashr_i32 s25, s24, 31
	s_lshl_b64 s[22:23], s[24:25], 2
	s_add_u32 s26, s8, s22
	s_addc_u32 s27, s9, s23
	s_load_dword s25, s[26:27], 0x0
	s_mov_b64 s[26:27], -1
	s_waitcnt lgkmcnt(0)
	s_cmp_eq_u32 s25, -1
	s_cbranch_scc1 .LBB22_21
; %bb.23:                               ;   in Loop: Header=BB22_22 Depth=1
	v_lshl_add_u32 v0, s20, 2, v25
	v_ashrrev_i32_e32 v1, 31, v0
	v_lshlrev_b64 v[0:1], 3, v[0:1]
	v_mov_b32_e32 v2, s3
	v_add_co_u32_e32 v0, vcc, s2, v0
	v_addc_co_u32_e32 v1, vcc, v2, v1, vcc
	global_load_dwordx2 v[2:3], v[0:1], off
	s_add_u32 s26, s16, s22
	s_addc_u32 s27, s17, s23
	s_load_dword s26, s[26:27], 0x0
	ds_read_b32 v4, v26 offset:256
	s_mov_b32 s27, 0
	s_waitcnt lgkmcnt(0)
	s_sub_i32 s26, s26, s13
	s_cmp_le_i32 s26, s25
	v_cmp_ge_i32_e32 vcc, s24, v4
	s_cselect_b64 s[28:29], -1, 0
	s_and_b64 s[28:29], s[28:29], vcc
	s_andn2_b64 vcc, exec, s[28:29]
	s_waitcnt vmcnt(0)
	ds_write_b64 v18, v[2:3]
	s_cbranch_vccnz .LBB22_35
; %bb.24:                               ;   in Loop: Header=BB22_22 Depth=1
	s_mov_b32 s34, 0
	s_mov_b32 s35, 0
.LBB22_25:                              ;   Parent Loop BB22_22 Depth=1
                                        ; =>  This Inner Loop Header: Depth=2
	s_ashr_i32 s27, s26, 31
	s_lshl_b64 s[28:29], s[26:27], 2
	s_add_u32 s28, s18, s28
	s_addc_u32 s29, s19, s29
	s_load_dword s27, s[28:29], 0x0
	s_lshl_b32 s28, s35, 2
	v_mov_b32_e32 v2, s28
	ds_read_b32 v2, v2 offset:256
	s_mov_b64 s[28:29], -1
	s_waitcnt lgkmcnt(0)
	s_sub_i32 s39, s27, s13
                                        ; implicit-def: $sgpr27
                                        ; implicit-def: $sgpr38
                                        ; implicit-def: $sgpr37
	v_cmp_ge_i32_e32 vcc, s39, v2
	v_readfirstlane_b32 s36, v2
	s_cbranch_vccz .LBB22_31
; %bb.26:                               ;   in Loop: Header=BB22_25 Depth=2
	s_cmp_le_i32 s39, s36
                                        ; implicit-def: $sgpr27
                                        ; implicit-def: $sgpr38
                                        ; implicit-def: $sgpr37
	s_cbranch_scc0 .LBB22_28
; %bb.27:                               ;   in Loop: Header=BB22_25 Depth=2
	s_add_i32 s27, s35, s31
	s_lshl_b32 s27, s27, 2
	s_lshl_b32 s28, s34, 2
	v_mov_b32_e32 v3, s27
	s_lshl_b32 s27, s26, 2
	v_mov_b32_e32 v2, s28
	v_mov_b32_e32 v4, s27
	ds_write2_b32 v2, v4, v3 offset1:32
	s_add_i32 s37, s35, 1
	s_add_i32 s38, s26, 1
	;; [unrolled: 1-line block ×3, first 2 shown]
	s_mov_b64 s[28:29], 0
.LBB22_28:                              ;   in Loop: Header=BB22_25 Depth=2
	s_andn2_b64 vcc, exec, s[28:29]
	s_cbranch_vccnz .LBB22_30
; %bb.29:                               ;   in Loop: Header=BB22_25 Depth=2
	s_add_i32 s37, s35, 1
	s_mov_b32 s27, s34
	s_mov_b32 s38, s26
.LBB22_30:                              ;   in Loop: Header=BB22_25 Depth=2
	s_mov_b64 s[28:29], 0
.LBB22_31:                              ;   in Loop: Header=BB22_25 Depth=2
	s_andn2_b64 vcc, exec, s[28:29]
	s_cbranch_vccnz .LBB22_33
; %bb.32:                               ;   in Loop: Header=BB22_25 Depth=2
	s_add_i32 s38, s26, 1
	s_mov_b32 s37, s35
	s_mov_b32 s27, s34
.LBB22_33:                              ;   in Loop: Header=BB22_25 Depth=2
	s_cmp_le_i32 s38, s25
	s_cselect_b64 s[28:29], -1, 0
	s_cmp_le_i32 s36, s24
	s_cselect_b64 s[34:35], -1, 0
	s_and_b64 s[28:29], s[28:29], s[34:35]
	s_and_b64 vcc, exec, s[28:29]
	s_cbranch_vccz .LBB22_35
; %bb.34:                               ;   in Loop: Header=BB22_25 Depth=2
	s_mov_b32 s34, s27
	s_mov_b32 s26, s38
	;; [unrolled: 1-line block ×3, first 2 shown]
	s_branch .LBB22_25
.LBB22_35:                              ;   in Loop: Header=BB22_22 Depth=1
	s_add_u32 s22, s10, s22
	s_addc_u32 s23, s11, s23
	s_waitcnt lgkmcnt(0)
.LBB22_36:                              ;   Parent Loop BB22_22 Depth=1
                                        ; =>  This Inner Loop Header: Depth=2
	global_load_dword v2, v26, s[22:23] glc
	s_waitcnt vmcnt(0)
	v_cmp_eq_u32_e32 vcc, 0, v2
	s_cbranch_vccnz .LBB22_36
; %bb.37:                               ;   in Loop: Header=BB22_22 Depth=1
	v_lshl_add_u32 v2, s25, 2, v25
	v_ashrrev_i32_e32 v3, 31, v2
	v_lshlrev_b64 v[2:3], 3, v[2:3]
	v_mov_b32_e32 v4, s3
	v_add_co_u32_e32 v2, vcc, s2, v2
	v_addc_co_u32_e32 v3, vcc, v4, v3, vcc
	buffer_wbinvl1_vol
	global_load_dwordx2 v[2:3], v[2:3], off
	s_cmp_lt_i32 s27, 2
	s_waitcnt vmcnt(0)
	ds_write_b64 v19, v[2:3]
	v_pk_mov_b32 v[2:3], 0, 0
	s_waitcnt lgkmcnt(0)
	s_cbranch_scc1 .LBB22_56
; %bb.38:                               ;   in Loop: Header=BB22_22 Depth=1
	s_add_i32 s24, s27, -1
	s_cmp_eq_u32 s27, 2
	s_cbranch_scc1 .LBB22_49
; %bb.39:                               ;   in Loop: Header=BB22_22 Depth=1
	s_and_b32 s25, s24, -2
	s_mov_b32 s26, 0
	s_mov_b32 s27, 0
	v_pk_mov_b32 v[2:3], 0, 0
	s_branch .LBB22_41
.LBB22_40:                              ;   in Loop: Header=BB22_41 Depth=2
	s_add_i32 s27, s27, 2
	s_add_i32 s26, s26, 8
	s_cmp_eq_u32 s25, s27
	s_cbranch_scc1 .LBB22_50
.LBB22_41:                              ;   Parent Loop BB22_22 Depth=1
                                        ; =>  This Inner Loop Header: Depth=2
	v_mov_b32_e32 v4, s26
	s_waitcnt lgkmcnt(0)
	ds_read2_b32 v[6:7], v4 offset1:32
	s_and_b64 vcc, exec, s[4:5]
	s_cbranch_vccz .LBB22_43
; %bb.42:                               ;   in Loop: Header=BB22_41 Depth=2
	s_waitcnt lgkmcnt(0)
	v_add_u32_e32 v4, v6, v12
	v_ashrrev_i32_e32 v5, 31, v4
	v_lshlrev_b64 v[4:5], 3, v[4:5]
	v_add_u32_e32 v28, v7, v13
	v_mov_b32_e32 v34, s3
	v_add_co_u32_e32 v4, vcc, s2, v4
	v_ashrrev_i32_e32 v29, 31, v28
	v_addc_co_u32_e32 v5, vcc, v34, v5, vcc
	v_lshlrev_b64 v[28:29], 3, v[28:29]
	v_add_u32_e32 v30, v20, v6
	v_add_co_u32_e32 v28, vcc, s2, v28
	v_ashrrev_i32_e32 v31, 31, v30
	v_addc_co_u32_e32 v29, vcc, v34, v29, vcc
	v_lshlrev_b64 v[30:31], 3, v[30:31]
	v_add_u32_e32 v32, v21, v7
	v_add_co_u32_e32 v30, vcc, s2, v30
	v_ashrrev_i32_e32 v33, 31, v32
	v_addc_co_u32_e32 v31, vcc, v34, v31, vcc
	v_lshlrev_b64 v[32:33], 3, v[32:33]
	v_add_co_u32_e32 v32, vcc, s2, v32
	v_addc_co_u32_e32 v33, vcc, v34, v33, vcc
	global_load_dwordx2 v[34:35], v[4:5], off
	global_load_dwordx2 v[36:37], v[28:29], off
	;; [unrolled: 1-line block ×4, first 2 shown]
	s_waitcnt vmcnt(2)
	v_fma_f64 v[4:5], v[34:35], v[36:37], v[2:3]
	s_waitcnt vmcnt(0)
	v_fmac_f64_e32 v[4:5], v[38:39], v[40:41]
	s_cbranch_execz .LBB22_44
	s_branch .LBB22_45
.LBB22_43:                              ;   in Loop: Header=BB22_41 Depth=2
                                        ; implicit-def: $vgpr4_vgpr5
.LBB22_44:                              ;   in Loop: Header=BB22_41 Depth=2
	s_waitcnt lgkmcnt(0)
	v_add_u32_e32 v4, v6, v16
	v_ashrrev_i32_e32 v5, 31, v4
	v_lshlrev_b64 v[4:5], 3, v[4:5]
	v_mov_b32_e32 v6, s3
	v_add_co_u32_e32 v32, vcc, s2, v4
	v_add_u32_e32 v4, v7, v15
	v_addc_co_u32_e32 v33, vcc, v6, v5, vcc
	v_ashrrev_i32_e32 v5, 31, v4
	v_lshlrev_b64 v[4:5], 3, v[4:5]
	v_add_co_u32_e32 v34, vcc, s2, v4
	v_addc_co_u32_e32 v35, vcc, v6, v5, vcc
	global_load_dwordx4 v[4:7], v[32:33], off
	global_load_dwordx4 v[28:31], v[34:35], off
	s_waitcnt vmcnt(0)
	v_fmac_f64_e32 v[2:3], v[4:5], v[28:29]
	v_fmac_f64_e32 v[2:3], v[6:7], v[30:31]
	v_pk_mov_b32 v[4:5], v[2:3], v[2:3] op_sel:[0,1]
.LBB22_45:                              ;   in Loop: Header=BB22_41 Depth=2
	v_mov_b32_e32 v2, s26
	s_waitcnt lgkmcnt(0)
	ds_read2_b32 v[6:7], v2 offset0:1 offset1:33
	s_andn2_b64 vcc, exec, s[4:5]
	s_cbranch_vccnz .LBB22_47
; %bb.46:                               ;   in Loop: Header=BB22_41 Depth=2
	s_waitcnt lgkmcnt(0)
	v_add_u32_e32 v2, v6, v12
	v_ashrrev_i32_e32 v3, 31, v2
	v_lshlrev_b64 v[2:3], 3, v[2:3]
	v_add_u32_e32 v28, v7, v13
	v_mov_b32_e32 v34, s3
	v_add_co_u32_e32 v2, vcc, s2, v2
	v_ashrrev_i32_e32 v29, 31, v28
	v_addc_co_u32_e32 v3, vcc, v34, v3, vcc
	v_lshlrev_b64 v[28:29], 3, v[28:29]
	v_add_u32_e32 v30, v20, v6
	v_add_co_u32_e32 v28, vcc, s2, v28
	v_ashrrev_i32_e32 v31, 31, v30
	v_addc_co_u32_e32 v29, vcc, v34, v29, vcc
	v_lshlrev_b64 v[30:31], 3, v[30:31]
	v_add_u32_e32 v32, v21, v7
	v_add_co_u32_e32 v30, vcc, s2, v30
	v_ashrrev_i32_e32 v33, 31, v32
	v_addc_co_u32_e32 v31, vcc, v34, v31, vcc
	v_lshlrev_b64 v[32:33], 3, v[32:33]
	v_add_co_u32_e32 v32, vcc, s2, v32
	v_addc_co_u32_e32 v33, vcc, v34, v33, vcc
	global_load_dwordx2 v[34:35], v[2:3], off
	global_load_dwordx2 v[36:37], v[28:29], off
	;; [unrolled: 1-line block ×4, first 2 shown]
	s_waitcnt vmcnt(2)
	v_fma_f64 v[2:3], v[34:35], v[36:37], v[4:5]
	s_waitcnt vmcnt(0)
	v_fmac_f64_e32 v[2:3], v[38:39], v[40:41]
	s_cbranch_execnz .LBB22_40
	s_branch .LBB22_48
.LBB22_47:                              ;   in Loop: Header=BB22_41 Depth=2
                                        ; implicit-def: $vgpr2_vgpr3
.LBB22_48:                              ;   in Loop: Header=BB22_41 Depth=2
	s_waitcnt lgkmcnt(0)
	v_add_u32_e32 v2, v6, v16
	v_ashrrev_i32_e32 v3, 31, v2
	v_lshlrev_b64 v[2:3], 3, v[2:3]
	v_add_u32_e32 v6, v7, v15
	v_mov_b32_e32 v28, s3
	v_add_co_u32_e32 v2, vcc, s2, v2
	v_ashrrev_i32_e32 v7, 31, v6
	v_addc_co_u32_e32 v3, vcc, v28, v3, vcc
	v_lshlrev_b64 v[6:7], 3, v[6:7]
	v_add_co_u32_e32 v6, vcc, s2, v6
	v_addc_co_u32_e32 v7, vcc, v28, v7, vcc
	global_load_dwordx4 v[28:31], v[2:3], off
	global_load_dwordx4 v[32:35], v[6:7], off
	s_waitcnt vmcnt(0)
	v_fmac_f64_e32 v[4:5], v[28:29], v[32:33]
	v_fmac_f64_e32 v[4:5], v[30:31], v[34:35]
	v_pk_mov_b32 v[2:3], v[4:5], v[4:5] op_sel:[0,1]
	s_branch .LBB22_40
.LBB22_49:                              ;   in Loop: Header=BB22_22 Depth=1
	s_mov_b32 s25, 0
	v_pk_mov_b32 v[2:3], 0, 0
.LBB22_50:                              ;   in Loop: Header=BB22_22 Depth=1
	s_bitcmp0_b32 s24, 0
	s_cbranch_scc1 .LBB22_56
; %bb.51:                               ;   in Loop: Header=BB22_22 Depth=1
	s_lshl_b32 s22, s25, 2
	v_mov_b32_e32 v4, s22
	ds_read2_b32 v[4:5], v4 offset1:32
	s_andn2_b64 vcc, exec, s[4:5]
	s_cbranch_vccnz .LBB22_53
; %bb.52:                               ;   in Loop: Header=BB22_22 Depth=1
	s_waitcnt lgkmcnt(0)
	v_add_u32_e32 v6, v4, v12
	v_ashrrev_i32_e32 v7, 31, v6
	v_lshlrev_b64 v[6:7], 3, v[6:7]
	v_add_u32_e32 v28, v5, v13
	v_mov_b32_e32 v34, s3
	v_add_co_u32_e32 v6, vcc, s2, v6
	v_ashrrev_i32_e32 v29, 31, v28
	v_addc_co_u32_e32 v7, vcc, v34, v7, vcc
	v_lshlrev_b64 v[28:29], 3, v[28:29]
	v_add_u32_e32 v30, v20, v4
	v_add_co_u32_e32 v28, vcc, s2, v28
	v_ashrrev_i32_e32 v31, 31, v30
	v_addc_co_u32_e32 v29, vcc, v34, v29, vcc
	v_lshlrev_b64 v[30:31], 3, v[30:31]
	v_add_u32_e32 v32, v21, v5
	v_add_co_u32_e32 v30, vcc, s2, v30
	v_ashrrev_i32_e32 v33, 31, v32
	v_addc_co_u32_e32 v31, vcc, v34, v31, vcc
	v_lshlrev_b64 v[32:33], 3, v[32:33]
	v_add_co_u32_e32 v32, vcc, s2, v32
	v_addc_co_u32_e32 v33, vcc, v34, v33, vcc
	global_load_dwordx2 v[34:35], v[6:7], off
	global_load_dwordx2 v[36:37], v[28:29], off
	;; [unrolled: 1-line block ×4, first 2 shown]
	s_waitcnt vmcnt(2)
	v_fma_f64 v[6:7], v[34:35], v[36:37], v[2:3]
	s_waitcnt vmcnt(0)
	v_fmac_f64_e32 v[6:7], v[38:39], v[40:41]
	s_cbranch_execz .LBB22_54
	s_branch .LBB22_55
.LBB22_53:                              ;   in Loop: Header=BB22_22 Depth=1
                                        ; implicit-def: $vgpr6_vgpr7
.LBB22_54:                              ;   in Loop: Header=BB22_22 Depth=1
	s_waitcnt lgkmcnt(0)
	v_add_u32_e32 v6, v4, v16
	v_ashrrev_i32_e32 v7, 31, v6
	v_lshlrev_b64 v[6:7], 3, v[6:7]
	v_add_u32_e32 v4, v5, v15
	v_mov_b32_e32 v28, s3
	v_add_co_u32_e32 v32, vcc, s2, v6
	v_ashrrev_i32_e32 v5, 31, v4
	v_addc_co_u32_e32 v33, vcc, v28, v7, vcc
	v_lshlrev_b64 v[4:5], 3, v[4:5]
	v_add_co_u32_e32 v34, vcc, s2, v4
	v_addc_co_u32_e32 v35, vcc, v28, v5, vcc
	global_load_dwordx4 v[4:7], v[32:33], off
	global_load_dwordx4 v[28:31], v[34:35], off
	s_waitcnt vmcnt(0)
	v_fmac_f64_e32 v[2:3], v[4:5], v[28:29]
	v_fmac_f64_e32 v[2:3], v[6:7], v[30:31]
	v_pk_mov_b32 v[6:7], v[2:3], v[2:3] op_sel:[0,1]
.LBB22_55:                              ;   in Loop: Header=BB22_22 Depth=1
	s_waitcnt lgkmcnt(1)
	v_pk_mov_b32 v[2:3], v[6:7], v[6:7] op_sel:[0,1]
.LBB22_56:                              ;   in Loop: Header=BB22_22 Depth=1
	ds_write_b64 v23, v[2:3]
	s_waitcnt lgkmcnt(0)
	ds_read_b64 v[4:5], v26 offset:384
	ds_read_b64 v[2:3], v17
	s_waitcnt lgkmcnt(1)
	v_cmp_neq_f64_e32 vcc, 0, v[4:5]
	s_or_b64 s[22:23], vcc, s[0:1]
	v_cndmask_b32_e32 v5, v27, v5, vcc
	s_xor_b64 s[24:25], s[22:23], -1
	v_cndmask_b32_e32 v4, 0, v4, vcc
	s_and_saveexec_b64 s[22:23], s[24:25]
	s_cbranch_execz .LBB22_60
; %bb.57:                               ;   in Loop: Header=BB22_22 Depth=1
	v_mbcnt_lo_u32_b32 v4, exec_lo, 0
	v_mbcnt_hi_u32_b32 v4, exec_hi, v4
	v_cmp_eq_u32_e32 vcc, 0, v4
	s_and_saveexec_b64 s[24:25], vcc
	s_cbranch_execz .LBB22_59
; %bb.58:                               ;   in Loop: Header=BB22_22 Depth=1
	v_mov_b32_e32 v4, s21
	global_atomic_smin v26, v4, s[14:15]
.LBB22_59:                              ;   in Loop: Header=BB22_22 Depth=1
	s_or_b64 exec, exec, s[24:25]
	v_mov_b32_e32 v4, 0
	v_mov_b32_e32 v5, 0x3ff00000
.LBB22_60:                              ;   in Loop: Header=BB22_22 Depth=1
	s_or_b64 exec, exec, s[22:23]
	ds_read_b64 v[6:7], v22
	s_waitcnt lgkmcnt(0)
	v_add_f64 v[2:3], v[2:3], -v[6:7]
	v_div_scale_f64 v[6:7], s[22:23], v[4:5], v[4:5], v[2:3]
	v_rcp_f64_e32 v[28:29], v[6:7]
	v_div_scale_f64 v[30:31], vcc, v[2:3], v[4:5], v[2:3]
	v_fma_f64 v[32:33], -v[6:7], v[28:29], 1.0
	v_fmac_f64_e32 v[28:29], v[28:29], v[32:33]
	v_fma_f64 v[32:33], -v[6:7], v[28:29], 1.0
	v_fmac_f64_e32 v[28:29], v[28:29], v[32:33]
	v_mul_f64 v[32:33], v[30:31], v[28:29]
	v_fma_f64 v[6:7], -v[6:7], v[32:33], v[30:31]
	v_div_fmas_f64 v[6:7], v[6:7], v[28:29], v[32:33]
	v_div_fixup_f64 v[2:3], v[6:7], v[4:5], v[2:3]
	ds_write_b64 v17, v[2:3]
	s_waitcnt lgkmcnt(0)
	ds_read_b64 v[4:5], v24
	ds_read_b64 v[6:7], v9
	s_waitcnt lgkmcnt(0)
	v_fmac_f64_e32 v[6:7], v[2:3], v[4:5]
	ds_write_b64 v9, v[6:7]
	s_waitcnt lgkmcnt(0)
	ds_read_b64 v[4:5], v26 offset:416
	ds_read_b64 v[2:3], v17 offset:8
	s_waitcnt lgkmcnt(1)
	v_cmp_neq_f64_e32 vcc, 0, v[4:5]
	s_or_b64 s[22:23], vcc, s[0:1]
	v_cndmask_b32_e32 v5, v27, v5, vcc
	s_xor_b64 s[24:25], s[22:23], -1
	v_cndmask_b32_e32 v4, 0, v4, vcc
	s_and_saveexec_b64 s[22:23], s[24:25]
	s_cbranch_execz .LBB22_20
; %bb.61:                               ;   in Loop: Header=BB22_22 Depth=1
	v_mbcnt_lo_u32_b32 v4, exec_lo, 0
	v_mbcnt_hi_u32_b32 v4, exec_hi, v4
	v_cmp_eq_u32_e32 vcc, 0, v4
	s_and_saveexec_b64 s[24:25], vcc
	s_cbranch_execz .LBB22_19
; %bb.62:                               ;   in Loop: Header=BB22_22 Depth=1
	v_mov_b32_e32 v4, s21
	global_atomic_smin v26, v4, s[14:15]
	s_branch .LBB22_19
.LBB22_63:
	s_waitcnt lgkmcnt(0)
	s_cmp_eq_u32 s33, 0
	s_cselect_b64 vcc, -1, 0
	v_cndmask_b32_e32 v0, v11, v14, vcc
	v_lshl_add_u32 v0, s30, 2, v0
	v_ashrrev_i32_e32 v1, 31, v0
	v_lshlrev_b64 v[0:1], 3, v[0:1]
	v_mov_b32_e32 v2, s3
	v_add_co_u32_e32 v0, vcc, s2, v0
	v_addc_co_u32_e32 v1, vcc, v2, v1, vcc
	global_load_dwordx2 v[2:3], v[0:1], off
	v_cmp_ne_u32_e32 vcc, 0, v13
	v_cmp_eq_u32_e64 s[0:1], 0, v13
	s_waitcnt vmcnt(0)
	ds_write_b64 v10, v[2:3] offset:480
	s_waitcnt lgkmcnt(0)
	s_and_saveexec_b64 s[2:3], s[0:1]
	s_cbranch_execz .LBB22_65
; %bb.64:
	v_mov_b32_e32 v11, 0
	ds_read2_b64 v[2:5], v11 offset0:60 offset1:66
	s_mov_b32 s4, 0
	s_brev_b32 s5, 8
	s_waitcnt lgkmcnt(0)
	v_add_f64 v[2:3], v[2:3], -v[4:5]
	v_xor_b32_e32 v4, 0x80000000, v3
	v_cmp_gt_f64_e64 s[0:1], 0, v[2:3]
	v_cndmask_b32_e64 v3, v3, v4, s[0:1]
	v_cndmask_b32_e64 v2, v2, v2, s[0:1]
	v_cmp_gt_f64_e64 s[0:1], s[4:5], v[2:3]
	v_cndmask_b32_e64 v4, 0, 1, s[0:1]
	v_lshlrev_b32_e32 v4, 8, v4
	v_ldexp_f64 v[2:3], v[2:3], v4
	v_rsq_f64_e32 v[4:5], v[2:3]
	s_and_b64 s[0:1], s[0:1], exec
	s_cselect_b32 s0, 0xffffff80, 0
	v_mul_f64 v[6:7], v[2:3], v[4:5]
	v_mul_f64 v[4:5], v[4:5], 0.5
	v_fma_f64 v[14:15], -v[4:5], v[6:7], 0.5
	v_fmac_f64_e32 v[6:7], v[6:7], v[14:15]
	v_fmac_f64_e32 v[4:5], v[4:5], v[14:15]
	v_fma_f64 v[14:15], -v[6:7], v[6:7], v[2:3]
	v_fmac_f64_e32 v[6:7], v[14:15], v[4:5]
	v_fma_f64 v[14:15], -v[6:7], v[6:7], v[2:3]
	v_fmac_f64_e32 v[6:7], v[14:15], v[4:5]
	v_ldexp_f64 v[4:5], v[6:7], s0
	v_mov_b32_e32 v6, 0x260
	v_cmp_class_f64_e64 s[0:1], v[2:3], v6
	v_cndmask_b32_e64 v3, v5, v3, s[0:1]
	v_cndmask_b32_e64 v2, v4, v2, s[0:1]
	ds_write_b64 v11, v[2:3] offset:480
.LBB22_65:
	s_or_b64 exec, exec, s[2:3]
	v_mov_b32_e32 v2, 0
	s_waitcnt lgkmcnt(0)
	ds_read_b64 v[2:3], v2 offset:480
	v_cmp_ne_u32_e64 s[0:1], 0, v8
	v_mov_b32_e32 v4, 0x3ff00000
	s_add_i32 s16, s12, s13
	s_waitcnt lgkmcnt(0)
	v_cmp_neq_f64_e64 s[2:3], 0, v[2:3]
	s_or_b64 s[4:5], s[2:3], s[0:1]
	v_cndmask_b32_e64 v3, v4, v3, s[2:3]
	s_xor_b64 s[8:9], s[4:5], -1
	v_cndmask_b32_e64 v2, 0, v2, s[2:3]
	s_and_saveexec_b64 s[4:5], s[8:9]
	s_cbranch_execz .LBB22_69
; %bb.66:
	v_mbcnt_lo_u32_b32 v2, exec_lo, 0
	v_mbcnt_hi_u32_b32 v2, exec_hi, v2
	v_cmp_eq_u32_e64 s[2:3], 0, v2
	s_and_saveexec_b64 s[8:9], s[2:3]
	s_cbranch_execz .LBB22_68
; %bb.67:
	v_mov_b32_e32 v2, 0
	v_mov_b32_e32 v3, s16
	global_atomic_smin v2, v3, s[14:15]
.LBB22_68:
	s_or_b64 exec, exec, s[8:9]
	v_mov_b32_e32 v2, 0
	v_mov_b32_e32 v3, 0x3ff00000
.LBB22_69:
	s_or_b64 exec, exec, s[4:5]
	s_and_saveexec_b64 s[2:3], vcc
	s_cbranch_execz .LBB22_71
; %bb.70:
	v_mul_u32_u24_e32 v11, 24, v13
	ds_read2_b64 v[4:7], v11 offset0:60 offset1:66
	v_mul_u32_u24_e32 v20, 24, v12
	s_waitcnt lgkmcnt(0)
	v_add_f64 v[4:5], v[4:5], -v[6:7]
	v_div_scale_f64 v[6:7], s[4:5], v[2:3], v[2:3], v[4:5]
	v_rcp_f64_e32 v[14:15], v[6:7]
	v_div_scale_f64 v[16:17], vcc, v[4:5], v[2:3], v[4:5]
	v_fma_f64 v[18:19], -v[6:7], v[14:15], 1.0
	v_fmac_f64_e32 v[14:15], v[14:15], v[18:19]
	v_fma_f64 v[18:19], -v[6:7], v[14:15], 1.0
	v_fmac_f64_e32 v[14:15], v[14:15], v[18:19]
	v_mul_f64 v[18:19], v[16:17], v[14:15]
	v_fma_f64 v[6:7], -v[6:7], v[18:19], v[16:17]
	v_div_fmas_f64 v[6:7], v[6:7], v[14:15], v[18:19]
	v_div_fixup_f64 v[2:3], v[6:7], v[2:3], v[4:5]
	ds_write_b64 v11, v[2:3] offset:480
	s_waitcnt lgkmcnt(0)
	ds_read_b64 v[4:5], v20 offset:480
	ds_read_b64 v[6:7], v9
	s_waitcnt lgkmcnt(0)
	v_fmac_f64_e32 v[6:7], v[2:3], v[4:5]
	ds_write_b64 v9, v[6:7]
.LBB22_71:
	s_or_b64 exec, exec, s[2:3]
	v_cmp_eq_u32_e32 vcc, 1, v13
	s_waitcnt lgkmcnt(0)
	s_and_saveexec_b64 s[2:3], vcc
	s_cbranch_execz .LBB22_73
; %bb.72:
	v_mov_b32_e32 v11, 0
	ds_read2_b64 v[2:5], v11 offset0:64 offset1:70
	s_mov_b32 s4, 0
	s_brev_b32 s5, 8
	s_waitcnt lgkmcnt(0)
	v_add_f64 v[2:3], v[2:3], -v[4:5]
	v_xor_b32_e32 v4, 0x80000000, v3
	v_cmp_gt_f64_e32 vcc, 0, v[2:3]
	v_cndmask_b32_e32 v3, v3, v4, vcc
	v_cndmask_b32_e32 v2, v2, v2, vcc
	v_cmp_gt_f64_e32 vcc, s[4:5], v[2:3]
	v_cndmask_b32_e64 v4, 0, 1, vcc
	v_lshlrev_b32_e32 v4, 8, v4
	v_ldexp_f64 v[2:3], v[2:3], v4
	v_rsq_f64_e32 v[4:5], v[2:3]
	s_and_b64 s[4:5], vcc, exec
	s_cselect_b32 s4, 0xffffff80, 0
	v_mul_f64 v[6:7], v[2:3], v[4:5]
	v_mul_f64 v[4:5], v[4:5], 0.5
	v_fma_f64 v[14:15], -v[4:5], v[6:7], 0.5
	v_fmac_f64_e32 v[6:7], v[6:7], v[14:15]
	v_fmac_f64_e32 v[4:5], v[4:5], v[14:15]
	v_fma_f64 v[14:15], -v[6:7], v[6:7], v[2:3]
	v_fmac_f64_e32 v[6:7], v[14:15], v[4:5]
	v_fma_f64 v[14:15], -v[6:7], v[6:7], v[2:3]
	v_fmac_f64_e32 v[6:7], v[14:15], v[4:5]
	v_ldexp_f64 v[4:5], v[6:7], s4
	v_mov_b32_e32 v6, 0x260
	v_cmp_class_f64_e32 vcc, v[2:3], v6
	v_cndmask_b32_e32 v3, v5, v3, vcc
	v_cndmask_b32_e32 v2, v4, v2, vcc
	ds_write_b64 v11, v[2:3] offset:512
.LBB22_73:
	s_or_b64 exec, exec, s[2:3]
	v_mov_b32_e32 v2, 0
	s_waitcnt lgkmcnt(0)
	ds_read_b64 v[2:3], v2 offset:512
	v_mov_b32_e32 v4, 0x3ff00000
	s_waitcnt lgkmcnt(0)
	v_cmp_neq_f64_e32 vcc, 0, v[2:3]
	s_or_b64 s[0:1], vcc, s[0:1]
	v_cndmask_b32_e32 v3, v4, v3, vcc
	s_xor_b64 s[2:3], s[0:1], -1
	v_cndmask_b32_e32 v2, 0, v2, vcc
	s_and_saveexec_b64 s[0:1], s[2:3]
	s_cbranch_execz .LBB22_77
; %bb.74:
	v_mbcnt_lo_u32_b32 v2, exec_lo, 0
	v_mbcnt_hi_u32_b32 v2, exec_hi, v2
	v_cmp_eq_u32_e32 vcc, 0, v2
	s_and_saveexec_b64 s[2:3], vcc
	s_cbranch_execz .LBB22_76
; %bb.75:
	v_mov_b32_e32 v2, 0
	v_mov_b32_e32 v3, s16
	global_atomic_smin v2, v3, s[14:15]
.LBB22_76:
	s_or_b64 exec, exec, s[2:3]
	v_mov_b32_e32 v2, 0
	v_mov_b32_e32 v3, 0x3ff00000
.LBB22_77:
	s_or_b64 exec, exec, s[0:1]
	v_add_u32_e32 v4, 0x1e0, v10
	v_cmp_lt_u32_e32 vcc, 1, v13
	s_and_saveexec_b64 s[0:1], vcc
	s_cbranch_execz .LBB22_79
; %bb.78:
	v_mul_u32_u24_e32 v5, 24, v13
	ds_read2_b64 v[14:17], v5 offset0:61 offset1:67
	v_mul_u32_u24_e32 v20, 24, v12
	s_waitcnt lgkmcnt(0)
	v_add_f64 v[6:7], v[14:15], -v[16:17]
	v_div_scale_f64 v[10:11], s[2:3], v[2:3], v[2:3], v[6:7]
	v_rcp_f64_e32 v[14:15], v[10:11]
	v_div_scale_f64 v[16:17], vcc, v[6:7], v[2:3], v[6:7]
	v_fma_f64 v[18:19], -v[10:11], v[14:15], 1.0
	v_fmac_f64_e32 v[14:15], v[14:15], v[18:19]
	v_fma_f64 v[18:19], -v[10:11], v[14:15], 1.0
	v_fmac_f64_e32 v[14:15], v[14:15], v[18:19]
	v_mul_f64 v[18:19], v[16:17], v[14:15]
	v_fma_f64 v[10:11], -v[10:11], v[18:19], v[16:17]
	v_div_fmas_f64 v[10:11], v[10:11], v[14:15], v[18:19]
	v_div_fixup_f64 v[2:3], v[10:11], v[2:3], v[6:7]
	ds_write_b64 v5, v[2:3] offset:488
	s_waitcnt lgkmcnt(0)
	ds_read_b64 v[6:7], v20 offset:488
	ds_read_b64 v[10:11], v9
	s_waitcnt lgkmcnt(0)
	v_fmac_f64_e32 v[10:11], v[2:3], v[6:7]
	ds_write_b64 v9, v[10:11]
.LBB22_79:
	s_or_b64 exec, exec, s[0:1]
	s_waitcnt lgkmcnt(0)
	ds_read_b64 v[2:3], v4
	v_cmp_eq_u32_e64 s[0:1], 0, v8
	s_waitcnt lgkmcnt(0)
	global_store_dwordx2 v[0:1], v[2:3], off
	s_branch .LBB22_85
.LBB22_80:
	v_or_b32_e32 v0, v12, v13
	v_cmp_eq_u32_e32 vcc, 0, v0
	s_and_saveexec_b64 s[2:3], vcc
	s_cbranch_execz .LBB22_84
; %bb.81:
	v_mbcnt_lo_u32_b32 v0, exec_lo, 0
	v_mbcnt_hi_u32_b32 v0, exec_hi, v0
	v_cmp_eq_u32_e32 vcc, 0, v0
	s_and_saveexec_b64 s[4:5], vcc
	s_cbranch_execz .LBB22_83
; %bb.82:
	s_add_i32 s8, s12, s13
	v_mov_b32_e32 v0, 0
	v_mov_b32_e32 v1, s8
	global_atomic_smin v0, v1, s[14:15]
.LBB22_83:
	s_or_b64 exec, exec, s[4:5]
	s_or_b64 s[0:1], s[0:1], exec
.LBB22_84:
	s_or_b64 exec, exec, s[2:3]
.LBB22_85:
	s_and_saveexec_b64 s[2:3], s[0:1]
	s_cbranch_execnz .LBB22_87
; %bb.86:
	s_endpgm
.LBB22_87:
	s_add_u32 s0, s10, s6
	s_addc_u32 s1, s11, s7
	v_mov_b32_e32 v0, 0
	v_mov_b32_e32 v1, 1
	s_waitcnt vmcnt(0)
	global_store_dword v0, v1, s[0:1]
	s_endpgm
	.section	.rodata,"a",@progbits
	.p2align	6, 0x0
	.amdhsa_kernel _ZN9rocsparseL26bsric0_2_8_unrolled_kernelILi4ELi32ELi2EdEEv20rocsparse_direction_iiPKiS3_PT2_S3_PiS3_S6_21rocsparse_index_base_
		.amdhsa_group_segment_fixed_size 576
		.amdhsa_private_segment_fixed_size 0
		.amdhsa_kernarg_size 76
		.amdhsa_user_sgpr_count 6
		.amdhsa_user_sgpr_private_segment_buffer 1
		.amdhsa_user_sgpr_dispatch_ptr 0
		.amdhsa_user_sgpr_queue_ptr 0
		.amdhsa_user_sgpr_kernarg_segment_ptr 1
		.amdhsa_user_sgpr_dispatch_id 0
		.amdhsa_user_sgpr_flat_scratch_init 0
		.amdhsa_user_sgpr_kernarg_preload_length 0
		.amdhsa_user_sgpr_kernarg_preload_offset 0
		.amdhsa_user_sgpr_private_segment_size 0
		.amdhsa_uses_dynamic_stack 0
		.amdhsa_system_sgpr_private_segment_wavefront_offset 0
		.amdhsa_system_sgpr_workgroup_id_x 1
		.amdhsa_system_sgpr_workgroup_id_y 0
		.amdhsa_system_sgpr_workgroup_id_z 0
		.amdhsa_system_sgpr_workgroup_info 0
		.amdhsa_system_vgpr_workitem_id 1
		.amdhsa_next_free_vgpr 72
		.amdhsa_next_free_sgpr 40
		.amdhsa_accum_offset 72
		.amdhsa_reserve_vcc 1
		.amdhsa_reserve_flat_scratch 0
		.amdhsa_float_round_mode_32 0
		.amdhsa_float_round_mode_16_64 0
		.amdhsa_float_denorm_mode_32 3
		.amdhsa_float_denorm_mode_16_64 3
		.amdhsa_dx10_clamp 1
		.amdhsa_ieee_mode 1
		.amdhsa_fp16_overflow 0
		.amdhsa_tg_split 0
		.amdhsa_exception_fp_ieee_invalid_op 0
		.amdhsa_exception_fp_denorm_src 0
		.amdhsa_exception_fp_ieee_div_zero 0
		.amdhsa_exception_fp_ieee_overflow 0
		.amdhsa_exception_fp_ieee_underflow 0
		.amdhsa_exception_fp_ieee_inexact 0
		.amdhsa_exception_int_div_zero 0
	.end_amdhsa_kernel
	.section	.text._ZN9rocsparseL26bsric0_2_8_unrolled_kernelILi4ELi32ELi2EdEEv20rocsparse_direction_iiPKiS3_PT2_S3_PiS3_S6_21rocsparse_index_base_,"axG",@progbits,_ZN9rocsparseL26bsric0_2_8_unrolled_kernelILi4ELi32ELi2EdEEv20rocsparse_direction_iiPKiS3_PT2_S3_PiS3_S6_21rocsparse_index_base_,comdat
.Lfunc_end22:
	.size	_ZN9rocsparseL26bsric0_2_8_unrolled_kernelILi4ELi32ELi2EdEEv20rocsparse_direction_iiPKiS3_PT2_S3_PiS3_S6_21rocsparse_index_base_, .Lfunc_end22-_ZN9rocsparseL26bsric0_2_8_unrolled_kernelILi4ELi32ELi2EdEEv20rocsparse_direction_iiPKiS3_PT2_S3_PiS3_S6_21rocsparse_index_base_
                                        ; -- End function
	.section	.AMDGPU.csdata,"",@progbits
; Kernel info:
; codeLenInByte = 5076
; NumSgprs: 44
; NumVgprs: 72
; NumAgprs: 0
; TotalNumVgprs: 72
; ScratchSize: 0
; MemoryBound: 1
; FloatMode: 240
; IeeeMode: 1
; LDSByteSize: 576 bytes/workgroup (compile time only)
; SGPRBlocks: 5
; VGPRBlocks: 8
; NumSGPRsForWavesPerEU: 44
; NumVGPRsForWavesPerEU: 72
; AccumOffset: 72
; Occupancy: 7
; WaveLimiterHint : 1
; COMPUTE_PGM_RSRC2:SCRATCH_EN: 0
; COMPUTE_PGM_RSRC2:USER_SGPR: 6
; COMPUTE_PGM_RSRC2:TRAP_HANDLER: 0
; COMPUTE_PGM_RSRC2:TGID_X_EN: 1
; COMPUTE_PGM_RSRC2:TGID_Y_EN: 0
; COMPUTE_PGM_RSRC2:TGID_Z_EN: 0
; COMPUTE_PGM_RSRC2:TIDIG_COMP_CNT: 1
; COMPUTE_PGM_RSRC3_GFX90A:ACCUM_OFFSET: 17
; COMPUTE_PGM_RSRC3_GFX90A:TG_SPLIT: 0
	.section	.text._ZN9rocsparseL26bsric0_2_8_unrolled_kernelILi9ELi32ELi3EdEEv20rocsparse_direction_iiPKiS3_PT2_S3_PiS3_S6_21rocsparse_index_base_,"axG",@progbits,_ZN9rocsparseL26bsric0_2_8_unrolled_kernelILi9ELi32ELi3EdEEv20rocsparse_direction_iiPKiS3_PT2_S3_PiS3_S6_21rocsparse_index_base_,comdat
	.globl	_ZN9rocsparseL26bsric0_2_8_unrolled_kernelILi9ELi32ELi3EdEEv20rocsparse_direction_iiPKiS3_PT2_S3_PiS3_S6_21rocsparse_index_base_ ; -- Begin function _ZN9rocsparseL26bsric0_2_8_unrolled_kernelILi9ELi32ELi3EdEEv20rocsparse_direction_iiPKiS3_PT2_S3_PiS3_S6_21rocsparse_index_base_
	.p2align	8
	.type	_ZN9rocsparseL26bsric0_2_8_unrolled_kernelILi9ELi32ELi3EdEEv20rocsparse_direction_iiPKiS3_PT2_S3_PiS3_S6_21rocsparse_index_base_,@function
_ZN9rocsparseL26bsric0_2_8_unrolled_kernelILi9ELi32ELi3EdEEv20rocsparse_direction_iiPKiS3_PT2_S3_PiS3_S6_21rocsparse_index_base_: ; @_ZN9rocsparseL26bsric0_2_8_unrolled_kernelILi9ELi32ELi3EdEEv20rocsparse_direction_iiPKiS3_PT2_S3_PiS3_S6_21rocsparse_index_base_
; %bb.0:
	s_load_dwordx8 s[8:15], s[4:5], 0x28
	s_mov_b32 s7, 0
	s_lshl_b64 s[0:1], s[6:7], 2
	v_and_b32_e32 v12, 0x3ff, v0
	v_bfe_u32 v13, v0, 10, 10
	s_waitcnt lgkmcnt(0)
	s_add_u32 s0, s12, s0
	s_addc_u32 s1, s13, s1
	s_load_dword s12, s[0:1], 0x0
	s_waitcnt lgkmcnt(0)
	s_ashr_i32 s13, s12, 31
	s_lshl_b64 s[6:7], s[12:13], 2
	s_add_u32 s0, s8, s6
	s_addc_u32 s1, s9, s7
	s_load_dword s30, s[0:1], 0x0
	s_load_dword s13, s[4:5], 0x48
	s_waitcnt lgkmcnt(0)
	s_cmp_lg_u32 s30, -1
	s_cbranch_scc0 .LBB23_95
; %bb.1:
	s_load_dwordx4 s[16:19], s[4:5], 0x10
	s_load_dwordx2 s[20:21], s[4:5], 0x20
	v_mad_u32_u24 v14, v13, 3, v12
	v_mul_u32_u24_e32 v15, 3, v13
	s_waitcnt lgkmcnt(0)
	s_add_u32 s0, s16, s6
	s_addc_u32 s1, s17, s7
	s_load_dword s26, s[0:1], 0x0
	s_waitcnt lgkmcnt(0)
	s_sub_i32 s31, s26, s13
	v_add_u32_e32 v0, s31, v14
	v_cmp_ge_i32_e32 vcc, s30, v0
	s_and_saveexec_b64 s[2:3], vcc
	s_cbranch_execz .LBB23_14
; %bb.2:
	v_add_u32_e32 v1, s26, v12
	v_add_u32_e32 v2, v1, v15
	v_subrev_u32_e32 v2, s13, v2
	v_add_u32_e32 v2, 9, v2
	s_add_i32 s0, s30, 1
	v_max_i32_e32 v2, s0, v2
	v_add_u32_e32 v2, s13, v2
	v_sub_u32_e32 v1, v2, v1
	v_add_u32_e32 v1, -9, v1
	v_cmp_ne_u32_e32 vcc, v1, v15
	v_addc_co_u32_e64 v2, s[0:1], 0, v15, vcc
	v_sub_u32_e32 v1, v1, v2
	s_mov_b32 s0, 0x38e38e39
	v_mul_hi_u32 v1, v1, s0
	v_lshrrev_b32_e32 v1, 1, v1
	v_addc_co_u32_e32 v16, vcc, 0, v1, vcc
	v_cmp_ne_u32_e32 vcc, 0, v16
	s_mov_b64 s[22:23], -1
	s_and_saveexec_b64 s[0:1], vcc
	s_cbranch_execz .LBB23_11
; %bb.3:
	v_add_u32_e32 v2, -1, v16
	v_add_u32_e32 v1, 9, v0
	v_lshrrev_b32_e32 v2, 1, v2
	v_add_u32_e32 v17, 1, v2
	v_cmp_lt_u32_e32 vcc, 14, v16
	v_pk_mov_b32 v[2:3], v[0:1], v[0:1] op_sel:[0,1]
	s_and_saveexec_b64 s[22:23], vcc
	s_cbranch_execz .LBB23_7
; %bb.4:
	v_and_b32_e32 v18, -8, v17
	s_mov_b64 s[24:25], 0
	v_mov_b32_e32 v19, s19
	v_pk_mov_b32 v[2:3], v[0:1], v[0:1] op_sel:[0,1]
.LBB23_5:                               ; =>This Inner Loop Header: Depth=1
	v_ashrrev_i32_e32 v23, 31, v2
	v_mov_b32_e32 v22, v2
	v_lshlrev_b64 v[22:23], 2, v[22:23]
	v_ashrrev_i32_e32 v21, 31, v3
	v_mov_b32_e32 v20, v3
	v_add_co_u32_e32 v22, vcc, s18, v22
	v_add_u32_e32 v4, 18, v2
	v_lshlrev_b64 v[20:21], 2, v[20:21]
	v_addc_co_u32_e32 v23, vcc, v19, v23, vcc
	v_ashrrev_i32_e32 v5, 31, v4
	v_add_co_u32_e32 v20, vcc, s18, v20
	v_add_u32_e32 v6, 18, v3
	v_addc_co_u32_e32 v21, vcc, v19, v21, vcc
	v_lshlrev_b64 v[42:43], 2, v[4:5]
	v_ashrrev_i32_e32 v7, 31, v6
	v_add_co_u32_e32 v42, vcc, s18, v42
	v_add_u32_e32 v8, 36, v2
	v_lshlrev_b64 v[44:45], 2, v[6:7]
	v_addc_co_u32_e32 v43, vcc, v19, v43, vcc
	v_ashrrev_i32_e32 v9, 31, v8
	v_add_co_u32_e32 v44, vcc, s18, v44
	v_add_u32_e32 v10, 36, v3
	v_lshlrev_b64 v[46:47], 2, v[8:9]
	v_addc_co_u32_e32 v45, vcc, v19, v45, vcc
	;; [unrolled: 5-line block ×11, first 2 shown]
	v_ashrrev_i32_e32 v41, 31, v40
	v_add_co_u32_e32 v64, vcc, s18, v64
	v_addc_co_u32_e32 v65, vcc, v19, v65, vcc
	v_lshlrev_b64 v[66:67], 2, v[40:41]
	v_add_u32_e32 v68, 0x7e, v3
	v_add_co_u32_e32 v66, vcc, s18, v66
	v_ashrrev_i32_e32 v69, 31, v68
	v_addc_co_u32_e32 v67, vcc, v19, v67, vcc
	v_lshlrev_b64 v[70:71], 2, v[68:69]
	v_add_co_u32_e32 v70, vcc, s18, v70
	v_addc_co_u32_e32 v71, vcc, v19, v71, vcc
	global_load_dword v1, v[20:21], off
	global_load_dword v5, v[22:23], off
	;; [unrolled: 1-line block ×15, first 2 shown]
                                        ; kill: killed $vgpr48 killed $vgpr49
                                        ; kill: killed $vgpr50 killed $vgpr51
                                        ; kill: killed $vgpr44 killed $vgpr45
                                        ; kill: killed $vgpr46 killed $vgpr47
                                        ; kill: killed $vgpr70 killed $vgpr71
                                        ; kill: killed $vgpr42 killed $vgpr43
                                        ; kill: killed $vgpr64 killed $vgpr65
                                        ; kill: killed $vgpr62 killed $vgpr63
                                        ; kill: killed $vgpr60 killed $vgpr61
                                        ; kill: killed $vgpr20 killed $vgpr21
                                        ; kill: killed $vgpr56 killed $vgpr57
                                        ; kill: killed $vgpr58 killed $vgpr59
                                        ; kill: killed $vgpr22 killed $vgpr23
                                        ; kill: killed $vgpr52 killed $vgpr53
                                        ; kill: killed $vgpr54 killed $vgpr55
	global_load_dword v20, v[66:67], off
	v_subrev_u32_e32 v22, s31, v2
	v_add_u32_e32 v18, -8, v18
	v_subrev_u32_e32 v21, s31, v3
	v_lshlrev_b32_e32 v22, 2, v22
	v_subrev_u32_e32 v4, s31, v4
	v_cmp_eq_u32_e32 vcc, 0, v18
	v_add_u32_e32 v3, 0x90, v3
	v_add_u32_e32 v2, 0x90, v2
	v_lshlrev_b32_e32 v21, 2, v21
	v_subrev_u32_e32 v6, s31, v6
	v_subrev_u32_e32 v10, s31, v10
	;; [unrolled: 1-line block ×13, first 2 shown]
	v_lshlrev_b32_e32 v4, 2, v4
	s_or_b64 s[24:25], vcc, s[24:25]
	v_lshlrev_b32_e32 v6, 2, v6
	v_lshlrev_b32_e32 v8, 2, v8
	;; [unrolled: 1-line block ×13, first 2 shown]
	s_waitcnt vmcnt(15)
	v_subrev_u32_e32 v1, s13, v1
	s_waitcnt vmcnt(14)
	v_subrev_u32_e32 v5, s13, v5
	ds_write_b32 v22, v5 offset:256
	ds_write_b32 v21, v1 offset:256
	s_waitcnt vmcnt(12)
	v_subrev_u32_e32 v5, s13, v9
	v_subrev_u32_e32 v1, s13, v7
	s_waitcnt vmcnt(11)
	v_subrev_u32_e32 v7, s13, v11
	s_waitcnt vmcnt(10)
	;; [unrolled: 2-line block ×12, first 2 shown]
	v_subrev_u32_e32 v20, s13, v20
	ds_write_b32 v4, v5 offset:256
	ds_write_b32 v6, v1 offset:256
	;; [unrolled: 1-line block ×14, first 2 shown]
	s_andn2_b64 exec, exec, s[24:25]
	s_cbranch_execnz .LBB23_5
; %bb.6:
	s_or_b64 exec, exec, s[24:25]
.LBB23_7:
	s_or_b64 exec, exec, s[22:23]
	v_and_b32_e32 v1, 7, v17
	v_cmp_ne_u32_e32 vcc, 0, v1
	s_and_saveexec_b64 s[22:23], vcc
	s_cbranch_execz .LBB23_10
; %bb.8:
	v_sub_u32_e32 v1, 0, v1
	s_mov_b64 s[24:25], 0
	v_mov_b32_e32 v4, s19
.LBB23_9:                               ; =>This Inner Loop Header: Depth=1
	v_ashrrev_i32_e32 v9, 31, v2
	v_mov_b32_e32 v8, v2
	v_lshlrev_b64 v[8:9], 2, v[8:9]
	v_ashrrev_i32_e32 v7, 31, v3
	v_mov_b32_e32 v6, v3
	v_add_co_u32_e32 v8, vcc, s18, v8
	v_lshlrev_b64 v[6:7], 2, v[6:7]
	v_addc_co_u32_e32 v9, vcc, v4, v9, vcc
	v_add_co_u32_e32 v6, vcc, s18, v6
	v_addc_co_u32_e32 v7, vcc, v4, v7, vcc
	global_load_dword v5, v[6:7], off
	global_load_dword v10, v[8:9], off
	v_subrev_u32_e32 v7, s31, v2
	v_add_co_u32_e32 v1, vcc, 1, v1
	v_subrev_u32_e32 v6, s31, v3
	v_add_u32_e32 v3, 18, v3
	v_add_u32_e32 v2, 18, v2
	v_lshlrev_b32_e32 v7, 2, v7
	s_or_b64 s[24:25], vcc, s[24:25]
	v_lshlrev_b32_e32 v6, 2, v6
	s_waitcnt vmcnt(1)
	v_subrev_u32_e32 v5, s13, v5
	s_waitcnt vmcnt(0)
	v_subrev_u32_e32 v8, s13, v10
	ds_write_b32 v7, v8 offset:256
	ds_write_b32 v6, v5 offset:256
	s_andn2_b64 exec, exec, s[24:25]
	s_cbranch_execnz .LBB23_9
.LBB23_10:
	s_or_b64 exec, exec, s[22:23]
	v_add_u32_e32 v2, 1, v16
	v_and_b32_e32 v3, 0x7ffffffe, v2
	v_mad_u64_u32 v[0:1], s[22:23], v3, 9, v[0:1]
	v_cmp_ne_u32_e32 vcc, v2, v3
	s_orn2_b64 s[22:23], vcc, exec
.LBB23_11:
	s_or_b64 exec, exec, s[0:1]
	s_and_b64 exec, exec, s[22:23]
	s_cbranch_execz .LBB23_14
; %bb.12:
	v_add_u32_e32 v1, s13, v0
	v_subrev_u32_e32 v1, s26, v1
	v_mov_b32_e32 v2, 0x100
	v_lshl_add_u32 v4, v1, 2, v2
	v_ashrrev_i32_e32 v1, 31, v0
	v_lshlrev_b64 v[2:3], 2, v[0:1]
	v_mov_b32_e32 v1, s19
	v_add_co_u32_e32 v2, vcc, s18, v2
	v_addc_co_u32_e32 v3, vcc, v1, v3, vcc
	s_mov_b64 s[0:1], 0
.LBB23_13:                              ; =>This Inner Loop Header: Depth=1
	global_load_dword v1, v[2:3], off
	v_add_co_u32_e32 v2, vcc, 36, v2
	v_add_u32_e32 v0, 9, v0
	v_addc_co_u32_e32 v3, vcc, 0, v3, vcc
	v_cmp_lt_i32_e32 vcc, s30, v0
	s_or_b64 s[0:1], vcc, s[0:1]
	s_waitcnt vmcnt(0)
	v_subrev_u32_e32 v1, s13, v1
	ds_write_b32 v4, v1
	v_add_u32_e32 v4, 36, v4
	s_andn2_b64 exec, exec, s[0:1]
	s_cbranch_execnz .LBB23_13
.LBB23_14:
	s_or_b64 exec, exec, s[2:3]
	s_load_dword s33, s[4:5], 0x0
	v_lshlrev_b32_e32 v2, 3, v12
	v_lshl_add_u32 v17, v13, 5, v2
	v_mov_b32_e32 v0, 0
	v_add_u32_e32 v16, 0x2a0, v17
	v_mov_b32_e32 v1, v0
	s_cmp_ge_i32 s31, s30
	v_mad_u32_u24 v3, v12, 3, v13
	ds_write_b64 v17, v[0:1] offset:672
	s_waitcnt lgkmcnt(0)
	s_cbranch_scc1 .LBB23_64
; %bb.15:
	v_lshlrev_b32_e32 v5, 5, v13
	v_add_u32_e32 v18, 0x240, v5
	s_movk_i32 s0, 0x180
	v_add_u32_e32 v25, 0x1e0, v5
	s_cmp_eq_u32 s33, 0
	v_add_u32_e32 v19, v18, v2
	v_add3_u32 v20, v5, v2, s0
	v_add_u32_e32 v26, v25, v2
	v_or_b32_e32 v2, v12, v13
	v_mad_u32_u24 v4, v12, 3, v13
	s_cselect_b64 vcc, -1, 0
	s_cmp_lg_u32 s33, 0
	v_cmp_ne_u32_e64 s[0:1], 0, v2
	v_mov_b32_e32 v2, 0x240
	s_cselect_b64 s[2:3], -1, 0
	v_mul_u32_u24_e32 v1, 3, v12
	v_add_u32_e32 v21, 3, v12
	v_add_u32_e32 v22, 3, v13
	;; [unrolled: 1-line block ×4, first 2 shown]
	v_lshl_add_u32 v27, v12, 5, v2
	v_cndmask_b32_e32 v2, v4, v14, vcc
	v_mov_b32_e32 v28, 0x3ff00000
	s_mov_b32 s4, s31
	s_branch .LBB23_19
.LBB23_16:                              ;   in Loop: Header=BB23_19 Depth=1
	s_or_b64 exec, exec, s[24:25]
	v_mov_b32_e32 v8, 0
	v_mov_b32_e32 v9, 0x3ff00000
.LBB23_17:                              ;   in Loop: Header=BB23_19 Depth=1
	s_or_b64 exec, exec, s[22:23]
	ds_read_b128 v[30:33], v0 offset:448
	ds_read_b128 v[34:37], v18
	ds_read_b64 v[10:11], v25 offset:16
	s_add_i32 s4, s4, 1
	s_cmp_ge_i32 s4, s30
	s_cselect_b64 s[26:27], -1, 0
	s_waitcnt lgkmcnt(0)
	v_fmac_f64_e32 v[10:11], v[30:31], v[34:35]
	v_fmac_f64_e32 v[10:11], v[32:33], v[36:37]
	v_add_f64 v[6:7], v[6:7], -v[10:11]
	v_div_scale_f64 v[10:11], s[22:23], v[8:9], v[8:9], v[6:7]
	v_rcp_f64_e32 v[30:31], v[10:11]
	v_div_scale_f64 v[32:33], vcc, v[6:7], v[8:9], v[6:7]
	v_fma_f64 v[34:35], -v[10:11], v[30:31], 1.0
	v_fmac_f64_e32 v[30:31], v[30:31], v[34:35]
	v_fma_f64 v[34:35], -v[10:11], v[30:31], 1.0
	v_fmac_f64_e32 v[30:31], v[30:31], v[34:35]
	v_mul_f64 v[34:35], v[32:33], v[30:31]
	v_fma_f64 v[10:11], -v[10:11], v[34:35], v[32:33]
	v_div_fmas_f64 v[10:11], v[10:11], v[30:31], v[34:35]
	v_div_fixup_f64 v[6:7], v[10:11], v[8:9], v[6:7]
	ds_write_b64 v18, v[6:7] offset:16
	s_waitcnt lgkmcnt(0)
	ds_read_b64 v[8:9], v27 offset:16
	ds_read_b64 v[10:11], v16
	s_waitcnt lgkmcnt(0)
	v_fmac_f64_e32 v[10:11], v[6:7], v[8:9]
	ds_write_b64 v16, v[10:11]
	s_waitcnt lgkmcnt(0)
	ds_read_b64 v[6:7], v19
	s_waitcnt lgkmcnt(0)
	global_store_dwordx2 v[4:5], v[6:7], off
	s_waitcnt vmcnt(0)
	buffer_wbinvl1_vol
.LBB23_18:                              ;   in Loop: Header=BB23_19 Depth=1
	s_and_b64 vcc, exec, s[26:27]
	s_cbranch_vccnz .LBB23_64
.LBB23_19:                              ; =>This Loop Header: Depth=1
                                        ;     Child Loop BB23_22 Depth 2
                                        ;     Child Loop BB23_33 Depth 2
	;; [unrolled: 1-line block ×3, first 2 shown]
	s_ashr_i32 s5, s4, 31
	s_lshl_b64 s[22:23], s[4:5], 2
	s_add_u32 s22, s18, s22
	s_addc_u32 s23, s19, s23
	s_load_dword s5, s[22:23], 0x0
	s_waitcnt lgkmcnt(0)
	s_sub_i32 s24, s5, s13
	s_ashr_i32 s25, s24, 31
	s_lshl_b64 s[22:23], s[24:25], 2
	s_add_u32 s26, s8, s22
	s_addc_u32 s27, s9, s23
	s_load_dword s25, s[26:27], 0x0
	s_mov_b64 s[26:27], -1
	s_waitcnt lgkmcnt(0)
	s_cmp_eq_u32 s25, -1
	s_cbranch_scc1 .LBB23_18
; %bb.20:                               ;   in Loop: Header=BB23_19 Depth=1
	v_mad_u64_u32 v[4:5], s[26:27], s4, 9, v[2:3]
	v_ashrrev_i32_e32 v5, 31, v4
	v_lshlrev_b64 v[4:5], 3, v[4:5]
	v_mov_b32_e32 v6, s21
	v_add_co_u32_e32 v4, vcc, s20, v4
	v_addc_co_u32_e32 v5, vcc, v6, v5, vcc
	global_load_dwordx2 v[6:7], v[4:5], off
	s_add_u32 s26, s16, s22
	s_addc_u32 s27, s17, s23
	s_load_dword s26, s[26:27], 0x0
	ds_read_b32 v8, v0 offset:256
	s_mov_b32 s27, 0
	s_waitcnt lgkmcnt(0)
	s_sub_i32 s26, s26, s13
	s_cmp_le_i32 s26, s25
	v_cmp_ge_i32_e32 vcc, s24, v8
	s_cselect_b64 s[28:29], -1, 0
	s_and_b64 s[28:29], s[28:29], vcc
	s_andn2_b64 vcc, exec, s[28:29]
	s_waitcnt vmcnt(0)
	ds_write_b64 v19, v[6:7]
	s_cbranch_vccnz .LBB23_32
; %bb.21:                               ;   in Loop: Header=BB23_19 Depth=1
	s_mov_b32 s34, 0
	s_mov_b32 s35, 0
.LBB23_22:                              ;   Parent Loop BB23_19 Depth=1
                                        ; =>  This Inner Loop Header: Depth=2
	s_ashr_i32 s27, s26, 31
	s_lshl_b64 s[28:29], s[26:27], 2
	s_add_u32 s28, s18, s28
	s_addc_u32 s29, s19, s29
	s_load_dword s27, s[28:29], 0x0
	s_lshl_b32 s28, s35, 2
	v_mov_b32_e32 v6, s28
	ds_read_b32 v6, v6 offset:256
	s_mov_b64 s[28:29], -1
	s_waitcnt lgkmcnt(0)
	s_sub_i32 s39, s27, s13
                                        ; implicit-def: $sgpr27
                                        ; implicit-def: $sgpr38
                                        ; implicit-def: $sgpr37
	v_cmp_ge_i32_e32 vcc, s39, v6
	v_readfirstlane_b32 s36, v6
	s_cbranch_vccz .LBB23_28
; %bb.23:                               ;   in Loop: Header=BB23_22 Depth=2
	s_cmp_le_i32 s39, s36
                                        ; implicit-def: $sgpr27
                                        ; implicit-def: $sgpr38
                                        ; implicit-def: $sgpr37
	s_cbranch_scc0 .LBB23_25
; %bb.24:                               ;   in Loop: Header=BB23_22 Depth=2
	s_add_i32 s27, s35, s31
	s_mul_i32 s27, s27, 9
	s_lshl_b32 s28, s34, 2
	v_mov_b32_e32 v7, s27
	s_mul_i32 s27, s26, 9
	v_mov_b32_e32 v6, s28
	v_mov_b32_e32 v8, s27
	ds_write2_b32 v6, v8, v7 offset1:32
	s_add_i32 s37, s35, 1
	s_add_i32 s38, s26, 1
	;; [unrolled: 1-line block ×3, first 2 shown]
	s_mov_b64 s[28:29], 0
.LBB23_25:                              ;   in Loop: Header=BB23_22 Depth=2
	s_andn2_b64 vcc, exec, s[28:29]
	s_cbranch_vccnz .LBB23_27
; %bb.26:                               ;   in Loop: Header=BB23_22 Depth=2
	s_add_i32 s37, s35, 1
	s_mov_b32 s27, s34
	s_mov_b32 s38, s26
.LBB23_27:                              ;   in Loop: Header=BB23_22 Depth=2
	s_mov_b64 s[28:29], 0
.LBB23_28:                              ;   in Loop: Header=BB23_22 Depth=2
	s_andn2_b64 vcc, exec, s[28:29]
	s_cbranch_vccnz .LBB23_30
; %bb.29:                               ;   in Loop: Header=BB23_22 Depth=2
	s_add_i32 s38, s26, 1
	s_mov_b32 s37, s35
	s_mov_b32 s27, s34
.LBB23_30:                              ;   in Loop: Header=BB23_22 Depth=2
	s_cmp_le_i32 s38, s25
	s_cselect_b64 s[28:29], -1, 0
	s_cmp_le_i32 s36, s24
	s_cselect_b64 s[34:35], -1, 0
	s_and_b64 s[28:29], s[28:29], s[34:35]
	s_and_b64 vcc, exec, s[28:29]
	s_cbranch_vccz .LBB23_32
; %bb.31:                               ;   in Loop: Header=BB23_22 Depth=2
	s_mov_b32 s34, s27
	s_mov_b32 s26, s38
	;; [unrolled: 1-line block ×3, first 2 shown]
	s_branch .LBB23_22
.LBB23_32:                              ;   in Loop: Header=BB23_19 Depth=1
	s_add_u32 s22, s10, s22
	s_addc_u32 s23, s11, s23
	s_waitcnt lgkmcnt(0)
.LBB23_33:                              ;   Parent Loop BB23_19 Depth=1
                                        ; =>  This Inner Loop Header: Depth=2
	global_load_dword v6, v0, s[22:23] glc
	s_waitcnt vmcnt(0)
	v_cmp_eq_u32_e32 vcc, 0, v6
	s_cbranch_vccnz .LBB23_33
; %bb.34:                               ;   in Loop: Header=BB23_19 Depth=1
	v_mad_u64_u32 v[6:7], s[22:23], s25, 9, v[2:3]
	v_ashrrev_i32_e32 v7, 31, v6
	v_lshlrev_b64 v[6:7], 3, v[6:7]
	v_mov_b32_e32 v8, s21
	v_add_co_u32_e32 v6, vcc, s20, v6
	v_addc_co_u32_e32 v7, vcc, v8, v7, vcc
	buffer_wbinvl1_vol
	global_load_dwordx2 v[6:7], v[6:7], off
	s_cmp_lt_i32 s27, 2
	s_waitcnt vmcnt(0)
	ds_write_b64 v20, v[6:7]
	v_pk_mov_b32 v[6:7], 0, 0
	s_waitcnt lgkmcnt(0)
	s_cbranch_scc1 .LBB23_53
; %bb.35:                               ;   in Loop: Header=BB23_19 Depth=1
	s_add_i32 s24, s27, -1
	s_cmp_eq_u32 s27, 2
	s_cbranch_scc1 .LBB23_46
; %bb.36:                               ;   in Loop: Header=BB23_19 Depth=1
	s_and_b32 s25, s24, -2
	s_mov_b32 s26, 0
	s_mov_b32 s27, 0
	v_pk_mov_b32 v[6:7], 0, 0
	s_branch .LBB23_38
.LBB23_37:                              ;   in Loop: Header=BB23_38 Depth=2
	s_add_i32 s27, s27, 2
	s_add_i32 s26, s26, 8
	s_cmp_eq_u32 s25, s27
	s_cbranch_scc1 .LBB23_47
.LBB23_38:                              ;   Parent Loop BB23_19 Depth=1
                                        ; =>  This Inner Loop Header: Depth=2
	v_mov_b32_e32 v8, s26
	s_waitcnt lgkmcnt(0)
	ds_read2_b32 v[10:11], v8 offset1:32
	s_and_b64 vcc, exec, s[2:3]
	s_cbranch_vccz .LBB23_40
; %bb.39:                               ;   in Loop: Header=BB23_38 Depth=2
	s_waitcnt lgkmcnt(0)
	v_add_u32_e32 v8, v10, v12
	v_ashrrev_i32_e32 v9, 31, v8
	v_lshlrev_b64 v[8:9], 3, v[8:9]
	v_add_u32_e32 v30, v11, v13
	v_mov_b32_e32 v29, s21
	v_add_co_u32_e32 v8, vcc, s20, v8
	v_ashrrev_i32_e32 v31, 31, v30
	v_addc_co_u32_e32 v9, vcc, v29, v9, vcc
	v_lshlrev_b64 v[30:31], 3, v[30:31]
	v_add_u32_e32 v32, v21, v10
	v_add_co_u32_e32 v30, vcc, s20, v30
	v_ashrrev_i32_e32 v33, 31, v32
	v_addc_co_u32_e32 v31, vcc, v29, v31, vcc
	v_lshlrev_b64 v[32:33], 3, v[32:33]
	v_add_u32_e32 v34, v22, v11
	v_add_co_u32_e32 v32, vcc, s20, v32
	v_ashrrev_i32_e32 v35, 31, v34
	v_addc_co_u32_e32 v33, vcc, v29, v33, vcc
	v_lshlrev_b64 v[34:35], 3, v[34:35]
	v_add_co_u32_e32 v34, vcc, s20, v34
	v_addc_co_u32_e32 v35, vcc, v29, v35, vcc
	global_load_dwordx2 v[36:37], v[8:9], off
	global_load_dwordx2 v[38:39], v[30:31], off
	;; [unrolled: 1-line block ×4, first 2 shown]
	v_add_u32_e32 v8, v23, v10
	v_ashrrev_i32_e32 v9, 31, v8
	v_lshlrev_b64 v[8:9], 3, v[8:9]
	v_add_u32_e32 v30, v24, v11
	v_add_co_u32_e32 v8, vcc, s20, v8
	v_ashrrev_i32_e32 v31, 31, v30
	v_addc_co_u32_e32 v9, vcc, v29, v9, vcc
	v_lshlrev_b64 v[30:31], 3, v[30:31]
	v_add_co_u32_e32 v30, vcc, s20, v30
	v_addc_co_u32_e32 v31, vcc, v29, v31, vcc
	global_load_dwordx2 v[32:33], v[8:9], off
	global_load_dwordx2 v[34:35], v[30:31], off
	s_waitcnt vmcnt(4)
	v_fma_f64 v[8:9], v[36:37], v[38:39], v[6:7]
	s_waitcnt vmcnt(2)
	v_fmac_f64_e32 v[8:9], v[40:41], v[42:43]
	s_waitcnt vmcnt(0)
	v_fmac_f64_e32 v[8:9], v[32:33], v[34:35]
	s_cbranch_execz .LBB23_41
	s_branch .LBB23_42
.LBB23_40:                              ;   in Loop: Header=BB23_38 Depth=2
                                        ; implicit-def: $vgpr8_vgpr9
.LBB23_41:                              ;   in Loop: Header=BB23_38 Depth=2
	s_waitcnt lgkmcnt(0)
	v_add_u32_e32 v8, v10, v1
	v_ashrrev_i32_e32 v9, 31, v8
	v_lshlrev_b64 v[8:9], 3, v[8:9]
	v_mov_b32_e32 v10, s21
	v_add_co_u32_e32 v34, vcc, s20, v8
	v_add_u32_e32 v8, v11, v15
	v_addc_co_u32_e32 v35, vcc, v10, v9, vcc
	v_ashrrev_i32_e32 v9, 31, v8
	v_lshlrev_b64 v[8:9], 3, v[8:9]
	global_load_dwordx4 v[30:33], v[34:35], off
	v_add_co_u32_e32 v36, vcc, s20, v8
	v_addc_co_u32_e32 v37, vcc, v10, v9, vcc
	global_load_dwordx4 v[8:11], v[36:37], off
	global_load_dwordx2 v[38:39], v[34:35], off offset:16
	global_load_dwordx2 v[40:41], v[36:37], off offset:16
	s_waitcnt vmcnt(2)
	v_fmac_f64_e32 v[6:7], v[30:31], v[8:9]
	v_fmac_f64_e32 v[6:7], v[32:33], v[10:11]
	s_waitcnt vmcnt(0)
	v_fmac_f64_e32 v[6:7], v[38:39], v[40:41]
	v_pk_mov_b32 v[8:9], v[6:7], v[6:7] op_sel:[0,1]
.LBB23_42:                              ;   in Loop: Header=BB23_38 Depth=2
	v_mov_b32_e32 v6, s26
	s_waitcnt lgkmcnt(0)
	ds_read2_b32 v[10:11], v6 offset0:1 offset1:33
	s_andn2_b64 vcc, exec, s[2:3]
	s_cbranch_vccnz .LBB23_44
; %bb.43:                               ;   in Loop: Header=BB23_38 Depth=2
	s_waitcnt lgkmcnt(0)
	v_add_u32_e32 v6, v10, v12
	v_ashrrev_i32_e32 v7, 31, v6
	v_lshlrev_b64 v[6:7], 3, v[6:7]
	v_add_u32_e32 v30, v11, v13
	v_mov_b32_e32 v29, s21
	v_add_co_u32_e32 v6, vcc, s20, v6
	v_ashrrev_i32_e32 v31, 31, v30
	v_addc_co_u32_e32 v7, vcc, v29, v7, vcc
	v_lshlrev_b64 v[30:31], 3, v[30:31]
	v_add_u32_e32 v32, v21, v10
	v_add_co_u32_e32 v30, vcc, s20, v30
	v_ashrrev_i32_e32 v33, 31, v32
	v_addc_co_u32_e32 v31, vcc, v29, v31, vcc
	v_lshlrev_b64 v[32:33], 3, v[32:33]
	v_add_u32_e32 v34, v22, v11
	v_add_co_u32_e32 v32, vcc, s20, v32
	v_ashrrev_i32_e32 v35, 31, v34
	v_addc_co_u32_e32 v33, vcc, v29, v33, vcc
	v_lshlrev_b64 v[34:35], 3, v[34:35]
	v_add_co_u32_e32 v34, vcc, s20, v34
	v_addc_co_u32_e32 v35, vcc, v29, v35, vcc
	global_load_dwordx2 v[36:37], v[6:7], off
	global_load_dwordx2 v[38:39], v[30:31], off
	;; [unrolled: 1-line block ×4, first 2 shown]
	v_add_u32_e32 v6, v23, v10
	v_ashrrev_i32_e32 v7, 31, v6
	v_lshlrev_b64 v[6:7], 3, v[6:7]
	v_add_u32_e32 v30, v24, v11
	v_add_co_u32_e32 v6, vcc, s20, v6
	v_ashrrev_i32_e32 v31, 31, v30
	v_addc_co_u32_e32 v7, vcc, v29, v7, vcc
	v_lshlrev_b64 v[30:31], 3, v[30:31]
	v_add_co_u32_e32 v30, vcc, s20, v30
	v_addc_co_u32_e32 v31, vcc, v29, v31, vcc
	global_load_dwordx2 v[32:33], v[6:7], off
	global_load_dwordx2 v[34:35], v[30:31], off
	s_waitcnt vmcnt(4)
	v_fma_f64 v[6:7], v[36:37], v[38:39], v[8:9]
	s_waitcnt vmcnt(2)
	v_fmac_f64_e32 v[6:7], v[40:41], v[42:43]
	s_waitcnt vmcnt(0)
	v_fmac_f64_e32 v[6:7], v[32:33], v[34:35]
	s_cbranch_execnz .LBB23_37
	s_branch .LBB23_45
.LBB23_44:                              ;   in Loop: Header=BB23_38 Depth=2
                                        ; implicit-def: $vgpr6_vgpr7
.LBB23_45:                              ;   in Loop: Header=BB23_38 Depth=2
	s_waitcnt lgkmcnt(0)
	v_add_u32_e32 v6, v10, v1
	v_ashrrev_i32_e32 v7, 31, v6
	v_lshlrev_b64 v[6:7], 3, v[6:7]
	v_add_u32_e32 v10, v11, v15
	v_mov_b32_e32 v29, s21
	v_add_co_u32_e32 v6, vcc, s20, v6
	v_ashrrev_i32_e32 v11, 31, v10
	v_addc_co_u32_e32 v7, vcc, v29, v7, vcc
	v_lshlrev_b64 v[10:11], 3, v[10:11]
	global_load_dwordx4 v[30:33], v[6:7], off
	v_add_co_u32_e32 v10, vcc, s20, v10
	v_addc_co_u32_e32 v11, vcc, v29, v11, vcc
	global_load_dwordx4 v[34:37], v[10:11], off
	global_load_dwordx2 v[38:39], v[6:7], off offset:16
	global_load_dwordx2 v[40:41], v[10:11], off offset:16
	s_waitcnt vmcnt(2)
	v_fmac_f64_e32 v[8:9], v[30:31], v[34:35]
	v_fmac_f64_e32 v[8:9], v[32:33], v[36:37]
	s_waitcnt vmcnt(0)
	v_fmac_f64_e32 v[8:9], v[38:39], v[40:41]
	v_pk_mov_b32 v[6:7], v[8:9], v[8:9] op_sel:[0,1]
	s_branch .LBB23_37
.LBB23_46:                              ;   in Loop: Header=BB23_19 Depth=1
	s_mov_b32 s25, 0
	v_pk_mov_b32 v[6:7], 0, 0
.LBB23_47:                              ;   in Loop: Header=BB23_19 Depth=1
	s_bitcmp0_b32 s24, 0
	s_cbranch_scc1 .LBB23_53
; %bb.48:                               ;   in Loop: Header=BB23_19 Depth=1
	s_lshl_b32 s22, s25, 2
	v_mov_b32_e32 v8, s22
	ds_read2_b32 v[8:9], v8 offset1:32
	s_andn2_b64 vcc, exec, s[2:3]
	s_cbranch_vccnz .LBB23_50
; %bb.49:                               ;   in Loop: Header=BB23_19 Depth=1
	s_waitcnt lgkmcnt(0)
	v_add_u32_e32 v10, v8, v12
	v_ashrrev_i32_e32 v11, 31, v10
	v_lshlrev_b64 v[10:11], 3, v[10:11]
	v_add_u32_e32 v30, v9, v13
	v_mov_b32_e32 v29, s21
	v_add_co_u32_e32 v10, vcc, s20, v10
	v_ashrrev_i32_e32 v31, 31, v30
	v_addc_co_u32_e32 v11, vcc, v29, v11, vcc
	v_lshlrev_b64 v[30:31], 3, v[30:31]
	v_add_u32_e32 v32, v21, v8
	v_add_co_u32_e32 v30, vcc, s20, v30
	v_ashrrev_i32_e32 v33, 31, v32
	v_addc_co_u32_e32 v31, vcc, v29, v31, vcc
	v_lshlrev_b64 v[32:33], 3, v[32:33]
	v_add_u32_e32 v34, v22, v9
	v_add_co_u32_e32 v32, vcc, s20, v32
	v_ashrrev_i32_e32 v35, 31, v34
	v_addc_co_u32_e32 v33, vcc, v29, v33, vcc
	v_lshlrev_b64 v[34:35], 3, v[34:35]
	v_add_co_u32_e32 v34, vcc, s20, v34
	v_addc_co_u32_e32 v35, vcc, v29, v35, vcc
	global_load_dwordx2 v[36:37], v[10:11], off
	global_load_dwordx2 v[38:39], v[30:31], off
	;; [unrolled: 1-line block ×4, first 2 shown]
	v_add_u32_e32 v10, v23, v8
	v_ashrrev_i32_e32 v11, 31, v10
	v_lshlrev_b64 v[10:11], 3, v[10:11]
	v_add_u32_e32 v30, v24, v9
	v_add_co_u32_e32 v10, vcc, s20, v10
	v_ashrrev_i32_e32 v31, 31, v30
	v_addc_co_u32_e32 v11, vcc, v29, v11, vcc
	v_lshlrev_b64 v[30:31], 3, v[30:31]
	v_add_co_u32_e32 v30, vcc, s20, v30
	v_addc_co_u32_e32 v31, vcc, v29, v31, vcc
	global_load_dwordx2 v[32:33], v[10:11], off
	global_load_dwordx2 v[34:35], v[30:31], off
	s_waitcnt vmcnt(4)
	v_fma_f64 v[10:11], v[36:37], v[38:39], v[6:7]
	s_waitcnt vmcnt(2)
	v_fmac_f64_e32 v[10:11], v[40:41], v[42:43]
	s_waitcnt vmcnt(0)
	v_fmac_f64_e32 v[10:11], v[32:33], v[34:35]
	s_cbranch_execz .LBB23_51
	s_branch .LBB23_52
.LBB23_50:                              ;   in Loop: Header=BB23_19 Depth=1
                                        ; implicit-def: $vgpr10_vgpr11
.LBB23_51:                              ;   in Loop: Header=BB23_19 Depth=1
	s_waitcnt lgkmcnt(0)
	v_add_u32_e32 v10, v8, v1
	v_ashrrev_i32_e32 v11, 31, v10
	v_lshlrev_b64 v[10:11], 3, v[10:11]
	v_add_u32_e32 v8, v9, v15
	v_mov_b32_e32 v29, s21
	v_add_co_u32_e32 v34, vcc, s20, v10
	v_ashrrev_i32_e32 v9, 31, v8
	v_addc_co_u32_e32 v35, vcc, v29, v11, vcc
	v_lshlrev_b64 v[8:9], 3, v[8:9]
	global_load_dwordx4 v[30:33], v[34:35], off
	v_add_co_u32_e32 v36, vcc, s20, v8
	v_addc_co_u32_e32 v37, vcc, v29, v9, vcc
	global_load_dwordx4 v[8:11], v[36:37], off
	global_load_dwordx2 v[38:39], v[34:35], off offset:16
	global_load_dwordx2 v[40:41], v[36:37], off offset:16
	s_waitcnt vmcnt(2)
	v_fmac_f64_e32 v[6:7], v[30:31], v[8:9]
	v_fmac_f64_e32 v[6:7], v[32:33], v[10:11]
	s_waitcnt vmcnt(0)
	v_fmac_f64_e32 v[6:7], v[38:39], v[40:41]
	v_pk_mov_b32 v[10:11], v[6:7], v[6:7] op_sel:[0,1]
.LBB23_52:                              ;   in Loop: Header=BB23_19 Depth=1
	s_waitcnt lgkmcnt(1)
	v_pk_mov_b32 v[6:7], v[10:11], v[10:11] op_sel:[0,1]
.LBB23_53:                              ;   in Loop: Header=BB23_19 Depth=1
	ds_write_b64 v26, v[6:7]
	s_waitcnt lgkmcnt(0)
	ds_read_b64 v[8:9], v0 offset:384
	ds_read_b64 v[6:7], v18
	s_waitcnt lgkmcnt(1)
	v_cmp_neq_f64_e32 vcc, 0, v[8:9]
	s_or_b64 s[22:23], vcc, s[0:1]
	v_cndmask_b32_e32 v9, v28, v9, vcc
	s_xor_b64 s[24:25], s[22:23], -1
	v_cndmask_b32_e32 v8, 0, v8, vcc
	s_and_saveexec_b64 s[22:23], s[24:25]
	s_cbranch_execz .LBB23_57
; %bb.54:                               ;   in Loop: Header=BB23_19 Depth=1
	v_mbcnt_lo_u32_b32 v8, exec_lo, 0
	v_mbcnt_hi_u32_b32 v8, exec_hi, v8
	v_cmp_eq_u32_e32 vcc, 0, v8
	s_and_saveexec_b64 s[24:25], vcc
	s_cbranch_execz .LBB23_56
; %bb.55:                               ;   in Loop: Header=BB23_19 Depth=1
	v_mov_b32_e32 v8, s5
	global_atomic_smin v0, v8, s[14:15]
.LBB23_56:                              ;   in Loop: Header=BB23_19 Depth=1
	s_or_b64 exec, exec, s[24:25]
	v_mov_b32_e32 v8, 0
	v_mov_b32_e32 v9, 0x3ff00000
.LBB23_57:                              ;   in Loop: Header=BB23_19 Depth=1
	s_or_b64 exec, exec, s[22:23]
	ds_read_b64 v[10:11], v25
	s_waitcnt lgkmcnt(0)
	v_add_f64 v[6:7], v[6:7], -v[10:11]
	v_div_scale_f64 v[10:11], s[22:23], v[8:9], v[8:9], v[6:7]
	v_rcp_f64_e32 v[30:31], v[10:11]
	v_div_scale_f64 v[32:33], vcc, v[6:7], v[8:9], v[6:7]
	v_fma_f64 v[34:35], -v[10:11], v[30:31], 1.0
	v_fmac_f64_e32 v[30:31], v[30:31], v[34:35]
	v_fma_f64 v[34:35], -v[10:11], v[30:31], 1.0
	v_fmac_f64_e32 v[30:31], v[30:31], v[34:35]
	v_mul_f64 v[34:35], v[32:33], v[30:31]
	v_fma_f64 v[10:11], -v[10:11], v[34:35], v[32:33]
	v_div_fmas_f64 v[10:11], v[10:11], v[30:31], v[34:35]
	v_div_fixup_f64 v[6:7], v[10:11], v[8:9], v[6:7]
	ds_write_b64 v18, v[6:7]
	s_waitcnt lgkmcnt(0)
	ds_read_b64 v[8:9], v27
	ds_read_b64 v[10:11], v16
	s_waitcnt lgkmcnt(0)
	v_fmac_f64_e32 v[10:11], v[6:7], v[8:9]
	ds_write_b64 v16, v[10:11]
	s_waitcnt lgkmcnt(0)
	ds_read_b64 v[8:9], v0 offset:424
	ds_read_b64 v[6:7], v18 offset:8
	s_waitcnt lgkmcnt(1)
	v_cmp_neq_f64_e32 vcc, 0, v[8:9]
	s_or_b64 s[22:23], vcc, s[0:1]
	v_cndmask_b32_e32 v9, v28, v9, vcc
	s_xor_b64 s[24:25], s[22:23], -1
	v_cndmask_b32_e32 v8, 0, v8, vcc
	s_and_saveexec_b64 s[22:23], s[24:25]
	s_cbranch_execz .LBB23_61
; %bb.58:                               ;   in Loop: Header=BB23_19 Depth=1
	v_mbcnt_lo_u32_b32 v8, exec_lo, 0
	v_mbcnt_hi_u32_b32 v8, exec_hi, v8
	v_cmp_eq_u32_e32 vcc, 0, v8
	s_and_saveexec_b64 s[24:25], vcc
	s_cbranch_execz .LBB23_60
; %bb.59:                               ;   in Loop: Header=BB23_19 Depth=1
	v_mov_b32_e32 v8, s5
	global_atomic_smin v0, v8, s[14:15]
.LBB23_60:                              ;   in Loop: Header=BB23_19 Depth=1
	s_or_b64 exec, exec, s[24:25]
	v_mov_b32_e32 v8, 0
	v_mov_b32_e32 v9, 0x3ff00000
.LBB23_61:                              ;   in Loop: Header=BB23_19 Depth=1
	s_or_b64 exec, exec, s[22:23]
	ds_read_b64 v[10:11], v18
	ds_read_b64 v[30:31], v0 offset:416
	ds_read_b64 v[32:33], v25 offset:8
	s_waitcnt lgkmcnt(0)
	v_fmac_f64_e32 v[32:33], v[30:31], v[10:11]
	v_add_f64 v[6:7], v[6:7], -v[32:33]
	v_div_scale_f64 v[10:11], s[22:23], v[8:9], v[8:9], v[6:7]
	v_rcp_f64_e32 v[30:31], v[10:11]
	v_div_scale_f64 v[32:33], vcc, v[6:7], v[8:9], v[6:7]
	v_fma_f64 v[34:35], -v[10:11], v[30:31], 1.0
	v_fmac_f64_e32 v[30:31], v[30:31], v[34:35]
	v_fma_f64 v[34:35], -v[10:11], v[30:31], 1.0
	v_fmac_f64_e32 v[30:31], v[30:31], v[34:35]
	v_mul_f64 v[34:35], v[32:33], v[30:31]
	v_fma_f64 v[10:11], -v[10:11], v[34:35], v[32:33]
	v_div_fmas_f64 v[10:11], v[10:11], v[30:31], v[34:35]
	v_div_fixup_f64 v[6:7], v[10:11], v[8:9], v[6:7]
	ds_write_b64 v18, v[6:7] offset:8
	s_waitcnt lgkmcnt(0)
	ds_read_b64 v[8:9], v27 offset:8
	ds_read_b64 v[10:11], v16
	s_waitcnt lgkmcnt(0)
	v_fmac_f64_e32 v[10:11], v[6:7], v[8:9]
	ds_write_b64 v16, v[10:11]
	s_waitcnt lgkmcnt(0)
	ds_read_b64 v[8:9], v0 offset:464
	ds_read_b64 v[6:7], v18 offset:16
	s_waitcnt lgkmcnt(1)
	v_cmp_neq_f64_e32 vcc, 0, v[8:9]
	s_or_b64 s[22:23], vcc, s[0:1]
	v_cndmask_b32_e32 v9, v28, v9, vcc
	s_xor_b64 s[24:25], s[22:23], -1
	v_cndmask_b32_e32 v8, 0, v8, vcc
	s_and_saveexec_b64 s[22:23], s[24:25]
	s_cbranch_execz .LBB23_17
; %bb.62:                               ;   in Loop: Header=BB23_19 Depth=1
	v_mbcnt_lo_u32_b32 v8, exec_lo, 0
	v_mbcnt_hi_u32_b32 v8, exec_hi, v8
	v_cmp_eq_u32_e32 vcc, 0, v8
	s_and_saveexec_b64 s[24:25], vcc
	s_cbranch_execz .LBB23_16
; %bb.63:                               ;   in Loop: Header=BB23_19 Depth=1
	v_mov_b32_e32 v8, s5
	global_atomic_smin v0, v8, s[14:15]
	s_branch .LBB23_16
.LBB23_64:
	s_cmp_lg_u32 s33, 0
	s_cselect_b64 s[4:5], -1, 0
	s_cmp_eq_u32 s33, 0
	v_mov_b32_e32 v0, v14
	s_cbranch_scc1 .LBB23_66
; %bb.65:
	v_mad_u32_u24 v0, v12, 3, v13
.LBB23_66:
	s_mul_i32 s30, s30, 9
	v_add_u32_e32 v0, s30, v0
	v_ashrrev_i32_e32 v1, 31, v0
	v_lshlrev_b64 v[0:1], 3, v[0:1]
	v_mov_b32_e32 v2, s21
	v_add_co_u32_e32 v0, vcc, s20, v0
	v_addc_co_u32_e32 v1, vcc, v2, v1, vcc
	global_load_dwordx2 v[0:1], v[0:1], off
	v_cmp_ne_u32_e32 vcc, 0, v13
	v_cmp_eq_u32_e64 s[0:1], 0, v13
	s_waitcnt vmcnt(0)
	ds_write_b64 v17, v[0:1] offset:576
	s_waitcnt lgkmcnt(0)
	s_and_saveexec_b64 s[2:3], s[0:1]
	s_cbranch_execz .LBB23_68
; %bb.67:
	v_mov_b32_e32 v2, 0
	ds_read2_b64 v[4:7], v2 offset0:72 offset1:84
	s_mov_b32 s8, 0
	s_brev_b32 s9, 8
	s_waitcnt lgkmcnt(0)
	v_add_f64 v[0:1], v[4:5], -v[6:7]
	v_xor_b32_e32 v4, 0x80000000, v1
	v_cmp_gt_f64_e64 s[0:1], 0, v[0:1]
	v_cndmask_b32_e64 v1, v1, v4, s[0:1]
	v_cndmask_b32_e64 v0, v0, v0, s[0:1]
	v_cmp_gt_f64_e64 s[0:1], s[8:9], v[0:1]
	v_cndmask_b32_e64 v4, 0, 1, s[0:1]
	v_lshlrev_b32_e32 v4, 8, v4
	v_ldexp_f64 v[0:1], v[0:1], v4
	v_rsq_f64_e32 v[4:5], v[0:1]
	s_and_b64 s[0:1], s[0:1], exec
	s_cselect_b32 s0, 0xffffff80, 0
	v_mul_f64 v[6:7], v[0:1], v[4:5]
	v_mul_f64 v[4:5], v[4:5], 0.5
	v_fma_f64 v[8:9], -v[4:5], v[6:7], 0.5
	v_fmac_f64_e32 v[6:7], v[6:7], v[8:9]
	v_fmac_f64_e32 v[4:5], v[4:5], v[8:9]
	v_fma_f64 v[8:9], -v[6:7], v[6:7], v[0:1]
	v_fmac_f64_e32 v[6:7], v[8:9], v[4:5]
	v_fma_f64 v[8:9], -v[6:7], v[6:7], v[0:1]
	v_fmac_f64_e32 v[6:7], v[8:9], v[4:5]
	v_ldexp_f64 v[4:5], v[6:7], s0
	v_mov_b32_e32 v6, 0x260
	v_cmp_class_f64_e64 s[0:1], v[0:1], v6
	v_cndmask_b32_e64 v1, v5, v1, s[0:1]
	v_cndmask_b32_e64 v0, v4, v0, s[0:1]
	ds_write_b64 v2, v[0:1] offset:576
.LBB23_68:
	s_or_b64 exec, exec, s[2:3]
	v_mov_b32_e32 v0, 0
	s_waitcnt lgkmcnt(0)
	ds_read_b64 v[0:1], v0 offset:576
	v_or_b32_e32 v2, v12, v13
	v_cmp_ne_u32_e64 s[0:1], 0, v2
	v_mov_b32_e32 v4, 0x3ff00000
	s_add_i32 s18, s12, s13
	s_waitcnt lgkmcnt(0)
	v_cmp_neq_f64_e64 s[2:3], 0, v[0:1]
	s_or_b64 s[8:9], s[2:3], s[0:1]
	v_cndmask_b32_e64 v1, v4, v1, s[2:3]
	s_xor_b64 s[16:17], s[8:9], -1
	v_cndmask_b32_e64 v0, 0, v0, s[2:3]
	s_and_saveexec_b64 s[8:9], s[16:17]
	s_cbranch_execz .LBB23_72
; %bb.69:
	v_mbcnt_lo_u32_b32 v0, exec_lo, 0
	v_mbcnt_hi_u32_b32 v0, exec_hi, v0
	v_cmp_eq_u32_e64 s[2:3], 0, v0
	s_and_saveexec_b64 s[16:17], s[2:3]
	s_cbranch_execz .LBB23_71
; %bb.70:
	v_mov_b32_e32 v0, 0
	v_mov_b32_e32 v1, s18
	global_atomic_smin v0, v1, s[14:15]
.LBB23_71:
	s_or_b64 exec, exec, s[16:17]
	v_mov_b32_e32 v0, 0
	v_mov_b32_e32 v1, 0x3ff00000
.LBB23_72:
	s_or_b64 exec, exec, s[8:9]
	s_and_saveexec_b64 s[2:3], vcc
	s_cbranch_execz .LBB23_74
; %bb.73:
	v_lshlrev_b32_e32 v15, 5, v13
	ds_read2_b64 v[4:7], v15 offset0:72 offset1:84
	v_lshlrev_b32_e32 v20, 5, v12
	s_waitcnt lgkmcnt(0)
	v_add_f64 v[4:5], v[4:5], -v[6:7]
	v_div_scale_f64 v[6:7], s[8:9], v[0:1], v[0:1], v[4:5]
	v_rcp_f64_e32 v[8:9], v[6:7]
	v_div_scale_f64 v[10:11], vcc, v[4:5], v[0:1], v[4:5]
	v_fma_f64 v[18:19], -v[6:7], v[8:9], 1.0
	v_fmac_f64_e32 v[8:9], v[8:9], v[18:19]
	v_fma_f64 v[18:19], -v[6:7], v[8:9], 1.0
	v_fmac_f64_e32 v[8:9], v[8:9], v[18:19]
	v_mul_f64 v[18:19], v[10:11], v[8:9]
	v_fma_f64 v[6:7], -v[6:7], v[18:19], v[10:11]
	v_div_fmas_f64 v[6:7], v[6:7], v[8:9], v[18:19]
	v_div_fixup_f64 v[0:1], v[6:7], v[0:1], v[4:5]
	ds_write_b64 v15, v[0:1] offset:576
	s_waitcnt lgkmcnt(0)
	ds_read_b64 v[4:5], v20 offset:576
	ds_read_b64 v[6:7], v16
	s_waitcnt lgkmcnt(0)
	v_fmac_f64_e32 v[6:7], v[0:1], v[4:5]
	ds_write_b64 v16, v[6:7]
.LBB23_74:
	s_or_b64 exec, exec, s[2:3]
	v_cmp_eq_u32_e32 vcc, 1, v13
	s_waitcnt lgkmcnt(0)
	s_and_saveexec_b64 s[2:3], vcc
	s_cbranch_execz .LBB23_76
; %bb.75:
	v_mov_b32_e32 v10, 0
	ds_read2_b64 v[4:7], v10 offset0:77 offset1:89
	s_mov_b32 s8, 0
	s_brev_b32 s9, 8
	s_waitcnt lgkmcnt(0)
	v_add_f64 v[0:1], v[4:5], -v[6:7]
	v_xor_b32_e32 v4, 0x80000000, v1
	v_cmp_gt_f64_e32 vcc, 0, v[0:1]
	v_cndmask_b32_e32 v1, v1, v4, vcc
	v_cndmask_b32_e32 v0, v0, v0, vcc
	v_cmp_gt_f64_e32 vcc, s[8:9], v[0:1]
	v_cndmask_b32_e64 v4, 0, 1, vcc
	v_lshlrev_b32_e32 v4, 8, v4
	v_ldexp_f64 v[0:1], v[0:1], v4
	v_rsq_f64_e32 v[4:5], v[0:1]
	s_and_b64 s[8:9], vcc, exec
	s_cselect_b32 s8, 0xffffff80, 0
	v_mul_f64 v[6:7], v[0:1], v[4:5]
	v_mul_f64 v[4:5], v[4:5], 0.5
	v_fma_f64 v[8:9], -v[4:5], v[6:7], 0.5
	v_fmac_f64_e32 v[6:7], v[6:7], v[8:9]
	v_fmac_f64_e32 v[4:5], v[4:5], v[8:9]
	v_fma_f64 v[8:9], -v[6:7], v[6:7], v[0:1]
	v_fmac_f64_e32 v[6:7], v[8:9], v[4:5]
	v_fma_f64 v[8:9], -v[6:7], v[6:7], v[0:1]
	v_fmac_f64_e32 v[6:7], v[8:9], v[4:5]
	v_ldexp_f64 v[4:5], v[6:7], s8
	v_mov_b32_e32 v6, 0x260
	v_cmp_class_f64_e32 vcc, v[0:1], v6
	v_cndmask_b32_e32 v1, v5, v1, vcc
	v_cndmask_b32_e32 v0, v4, v0, vcc
	ds_write_b64 v10, v[0:1] offset:616
.LBB23_76:
	s_or_b64 exec, exec, s[2:3]
	v_mov_b32_e32 v0, 0
	s_waitcnt lgkmcnt(0)
	ds_read_b64 v[0:1], v0 offset:616
	v_mov_b32_e32 v4, 0x3ff00000
	s_waitcnt lgkmcnt(0)
	v_cmp_neq_f64_e32 vcc, 0, v[0:1]
	s_or_b64 s[2:3], vcc, s[0:1]
	v_cndmask_b32_e32 v1, v4, v1, vcc
	s_xor_b64 s[8:9], s[2:3], -1
	v_cndmask_b32_e32 v0, 0, v0, vcc
	s_and_saveexec_b64 s[2:3], s[8:9]
	s_cbranch_execz .LBB23_80
; %bb.77:
	v_mbcnt_lo_u32_b32 v0, exec_lo, 0
	v_mbcnt_hi_u32_b32 v0, exec_hi, v0
	v_cmp_eq_u32_e32 vcc, 0, v0
	s_and_saveexec_b64 s[8:9], vcc
	s_cbranch_execz .LBB23_79
; %bb.78:
	v_mov_b32_e32 v0, 0
	v_mov_b32_e32 v1, s18
	global_atomic_smin v0, v1, s[14:15]
.LBB23_79:
	s_or_b64 exec, exec, s[8:9]
	v_mov_b32_e32 v0, 0
	v_mov_b32_e32 v1, 0x3ff00000
.LBB23_80:
	s_or_b64 exec, exec, s[2:3]
	v_cmp_lt_u32_e32 vcc, 1, v13
	s_and_saveexec_b64 s[2:3], vcc
	s_cbranch_execz .LBB23_82
; %bb.81:
	v_lshlrev_b32_e32 v15, 5, v13
	ds_read2_b64 v[4:7], v15 offset0:73 offset1:85
	v_lshlrev_b32_e32 v20, 5, v12
	s_waitcnt lgkmcnt(0)
	v_add_f64 v[4:5], v[4:5], -v[6:7]
	v_div_scale_f64 v[6:7], s[8:9], v[0:1], v[0:1], v[4:5]
	v_rcp_f64_e32 v[8:9], v[6:7]
	v_div_scale_f64 v[10:11], vcc, v[4:5], v[0:1], v[4:5]
	v_fma_f64 v[18:19], -v[6:7], v[8:9], 1.0
	v_fmac_f64_e32 v[8:9], v[8:9], v[18:19]
	v_fma_f64 v[18:19], -v[6:7], v[8:9], 1.0
	v_fmac_f64_e32 v[8:9], v[8:9], v[18:19]
	v_mul_f64 v[18:19], v[10:11], v[8:9]
	v_fma_f64 v[6:7], -v[6:7], v[18:19], v[10:11]
	v_div_fmas_f64 v[6:7], v[6:7], v[8:9], v[18:19]
	v_div_fixup_f64 v[0:1], v[6:7], v[0:1], v[4:5]
	ds_write_b64 v15, v[0:1] offset:584
	s_waitcnt lgkmcnt(0)
	ds_read_b64 v[4:5], v20 offset:584
	ds_read_b64 v[6:7], v16
	s_waitcnt lgkmcnt(0)
	v_fmac_f64_e32 v[6:7], v[0:1], v[4:5]
	ds_write_b64 v16, v[6:7]
.LBB23_82:
	s_or_b64 exec, exec, s[2:3]
	v_cmp_eq_u32_e32 vcc, 2, v13
	s_waitcnt lgkmcnt(0)
	s_and_saveexec_b64 s[2:3], vcc
	s_cbranch_execz .LBB23_84
; %bb.83:
	v_mov_b32_e32 v10, 0
	ds_read2_b64 v[4:7], v10 offset0:82 offset1:94
	s_mov_b32 s8, 0
	s_brev_b32 s9, 8
	s_waitcnt lgkmcnt(0)
	v_add_f64 v[0:1], v[4:5], -v[6:7]
	v_xor_b32_e32 v4, 0x80000000, v1
	v_cmp_gt_f64_e32 vcc, 0, v[0:1]
	v_cndmask_b32_e32 v1, v1, v4, vcc
	v_cndmask_b32_e32 v0, v0, v0, vcc
	v_cmp_gt_f64_e32 vcc, s[8:9], v[0:1]
	v_cndmask_b32_e64 v4, 0, 1, vcc
	v_lshlrev_b32_e32 v4, 8, v4
	v_ldexp_f64 v[0:1], v[0:1], v4
	v_rsq_f64_e32 v[4:5], v[0:1]
	s_and_b64 s[8:9], vcc, exec
	s_cselect_b32 s8, 0xffffff80, 0
	v_mul_f64 v[6:7], v[0:1], v[4:5]
	v_mul_f64 v[4:5], v[4:5], 0.5
	v_fma_f64 v[8:9], -v[4:5], v[6:7], 0.5
	v_fmac_f64_e32 v[6:7], v[6:7], v[8:9]
	v_fmac_f64_e32 v[4:5], v[4:5], v[8:9]
	v_fma_f64 v[8:9], -v[6:7], v[6:7], v[0:1]
	v_fmac_f64_e32 v[6:7], v[8:9], v[4:5]
	v_fma_f64 v[8:9], -v[6:7], v[6:7], v[0:1]
	v_fmac_f64_e32 v[6:7], v[8:9], v[4:5]
	v_ldexp_f64 v[4:5], v[6:7], s8
	v_mov_b32_e32 v6, 0x260
	v_cmp_class_f64_e32 vcc, v[0:1], v6
	v_cndmask_b32_e32 v1, v5, v1, vcc
	v_cndmask_b32_e32 v0, v4, v0, vcc
	ds_write_b64 v10, v[0:1] offset:656
.LBB23_84:
	s_or_b64 exec, exec, s[2:3]
	v_mov_b32_e32 v0, 0
	s_waitcnt lgkmcnt(0)
	ds_read_b64 v[0:1], v0 offset:656
	v_mov_b32_e32 v4, 0x3ff00000
	s_waitcnt lgkmcnt(0)
	v_cmp_neq_f64_e32 vcc, 0, v[0:1]
	s_or_b64 s[0:1], vcc, s[0:1]
	v_cndmask_b32_e32 v1, v4, v1, vcc
	s_xor_b64 s[2:3], s[0:1], -1
	v_cndmask_b32_e32 v0, 0, v0, vcc
	s_and_saveexec_b64 s[0:1], s[2:3]
	s_cbranch_execz .LBB23_88
; %bb.85:
	v_mbcnt_lo_u32_b32 v0, exec_lo, 0
	v_mbcnt_hi_u32_b32 v0, exec_hi, v0
	v_cmp_eq_u32_e32 vcc, 0, v0
	s_and_saveexec_b64 s[2:3], vcc
	s_cbranch_execz .LBB23_87
; %bb.86:
	v_mov_b32_e32 v0, 0
	v_mov_b32_e32 v1, s18
	global_atomic_smin v0, v1, s[14:15]
.LBB23_87:
	s_or_b64 exec, exec, s[2:3]
	v_mov_b32_e32 v0, 0
	v_mov_b32_e32 v1, 0x3ff00000
.LBB23_88:
	s_or_b64 exec, exec, s[0:1]
	v_add_u32_e32 v4, 0x240, v17
	v_cmp_lt_u32_e32 vcc, 2, v13
	s_and_saveexec_b64 s[0:1], vcc
	s_cbranch_execz .LBB23_90
; %bb.89:
	v_lshlrev_b32_e32 v5, 5, v13
	ds_read2_b64 v[6:9], v5 offset0:74 offset1:86
	v_lshlrev_b32_e32 v15, 5, v12
	s_waitcnt lgkmcnt(0)
	v_add_f64 v[6:7], v[6:7], -v[8:9]
	v_div_scale_f64 v[8:9], s[2:3], v[0:1], v[0:1], v[6:7]
	v_rcp_f64_e32 v[10:11], v[8:9]
	v_div_scale_f64 v[18:19], vcc, v[6:7], v[0:1], v[6:7]
	v_fma_f64 v[20:21], -v[8:9], v[10:11], 1.0
	v_fmac_f64_e32 v[10:11], v[10:11], v[20:21]
	v_fma_f64 v[20:21], -v[8:9], v[10:11], 1.0
	v_fmac_f64_e32 v[10:11], v[10:11], v[20:21]
	v_mul_f64 v[20:21], v[18:19], v[10:11]
	v_fma_f64 v[8:9], -v[8:9], v[20:21], v[18:19]
	v_div_fmas_f64 v[8:9], v[8:9], v[10:11], v[20:21]
	v_div_fixup_f64 v[0:1], v[8:9], v[0:1], v[6:7]
	ds_write_b64 v5, v[0:1] offset:592
	s_waitcnt lgkmcnt(0)
	ds_read_b64 v[6:7], v15 offset:592
	ds_read_b64 v[8:9], v16
	s_waitcnt lgkmcnt(0)
	v_fmac_f64_e32 v[8:9], v[0:1], v[6:7]
	ds_write_b64 v16, v[8:9]
.LBB23_90:
	s_or_b64 exec, exec, s[0:1]
	s_waitcnt lgkmcnt(0)
	ds_read_b64 v[0:1], v4
	s_andn2_b64 vcc, exec, s[4:5]
	s_cbranch_vccnz .LBB23_92
; %bb.91:
	v_mov_b32_e32 v14, v3
.LBB23_92:
	v_add_u32_e32 v4, s30, v14
	v_ashrrev_i32_e32 v5, 31, v4
	v_lshlrev_b64 v[4:5], 3, v[4:5]
	v_mov_b32_e32 v3, s21
	v_add_co_u32_e32 v4, vcc, s20, v4
	v_addc_co_u32_e32 v5, vcc, v3, v5, vcc
	s_waitcnt lgkmcnt(0)
	global_store_dwordx2 v[4:5], v[0:1], off
	v_cmp_eq_u32_e64 s[0:1], 0, v2
.LBB23_93:
	s_and_saveexec_b64 s[2:3], s[0:1]
	s_cbranch_execnz .LBB23_101
.LBB23_94:
	s_endpgm
.LBB23_95:
	s_mov_b64 s[0:1], 0
	s_cbranch_execz .LBB23_93
; %bb.96:
	v_or_b32_e32 v0, v12, v13
	v_cmp_eq_u32_e32 vcc, 0, v0
	s_and_saveexec_b64 s[2:3], vcc
	s_cbranch_execz .LBB23_100
; %bb.97:
	v_mbcnt_lo_u32_b32 v0, exec_lo, 0
	v_mbcnt_hi_u32_b32 v0, exec_hi, v0
	v_cmp_eq_u32_e32 vcc, 0, v0
	s_and_saveexec_b64 s[4:5], vcc
	s_cbranch_execz .LBB23_99
; %bb.98:
	s_add_i32 s8, s12, s13
	v_mov_b32_e32 v0, 0
	v_mov_b32_e32 v1, s8
	global_atomic_smin v0, v1, s[14:15]
.LBB23_99:
	s_or_b64 exec, exec, s[4:5]
	s_or_b64 s[0:1], s[0:1], exec
.LBB23_100:
	s_or_b64 exec, exec, s[2:3]
	s_and_saveexec_b64 s[2:3], s[0:1]
	s_cbranch_execz .LBB23_94
.LBB23_101:
	s_add_u32 s0, s10, s6
	s_addc_u32 s1, s11, s7
	v_mov_b32_e32 v0, 0
	v_mov_b32_e32 v1, 1
	s_waitcnt vmcnt(0)
	global_store_dword v0, v1, s[0:1]
	s_endpgm
	.section	.rodata,"a",@progbits
	.p2align	6, 0x0
	.amdhsa_kernel _ZN9rocsparseL26bsric0_2_8_unrolled_kernelILi9ELi32ELi3EdEEv20rocsparse_direction_iiPKiS3_PT2_S3_PiS3_S6_21rocsparse_index_base_
		.amdhsa_group_segment_fixed_size 768
		.amdhsa_private_segment_fixed_size 0
		.amdhsa_kernarg_size 76
		.amdhsa_user_sgpr_count 6
		.amdhsa_user_sgpr_private_segment_buffer 1
		.amdhsa_user_sgpr_dispatch_ptr 0
		.amdhsa_user_sgpr_queue_ptr 0
		.amdhsa_user_sgpr_kernarg_segment_ptr 1
		.amdhsa_user_sgpr_dispatch_id 0
		.amdhsa_user_sgpr_flat_scratch_init 0
		.amdhsa_user_sgpr_kernarg_preload_length 0
		.amdhsa_user_sgpr_kernarg_preload_offset 0
		.amdhsa_user_sgpr_private_segment_size 0
		.amdhsa_uses_dynamic_stack 0
		.amdhsa_system_sgpr_private_segment_wavefront_offset 0
		.amdhsa_system_sgpr_workgroup_id_x 1
		.amdhsa_system_sgpr_workgroup_id_y 0
		.amdhsa_system_sgpr_workgroup_id_z 0
		.amdhsa_system_sgpr_workgroup_info 0
		.amdhsa_system_vgpr_workitem_id 1
		.amdhsa_next_free_vgpr 72
		.amdhsa_next_free_sgpr 40
		.amdhsa_accum_offset 72
		.amdhsa_reserve_vcc 1
		.amdhsa_reserve_flat_scratch 0
		.amdhsa_float_round_mode_32 0
		.amdhsa_float_round_mode_16_64 0
		.amdhsa_float_denorm_mode_32 3
		.amdhsa_float_denorm_mode_16_64 3
		.amdhsa_dx10_clamp 1
		.amdhsa_ieee_mode 1
		.amdhsa_fp16_overflow 0
		.amdhsa_tg_split 0
		.amdhsa_exception_fp_ieee_invalid_op 0
		.amdhsa_exception_fp_denorm_src 0
		.amdhsa_exception_fp_ieee_div_zero 0
		.amdhsa_exception_fp_ieee_overflow 0
		.amdhsa_exception_fp_ieee_underflow 0
		.amdhsa_exception_fp_ieee_inexact 0
		.amdhsa_exception_int_div_zero 0
	.end_amdhsa_kernel
	.section	.text._ZN9rocsparseL26bsric0_2_8_unrolled_kernelILi9ELi32ELi3EdEEv20rocsparse_direction_iiPKiS3_PT2_S3_PiS3_S6_21rocsparse_index_base_,"axG",@progbits,_ZN9rocsparseL26bsric0_2_8_unrolled_kernelILi9ELi32ELi3EdEEv20rocsparse_direction_iiPKiS3_PT2_S3_PiS3_S6_21rocsparse_index_base_,comdat
.Lfunc_end23:
	.size	_ZN9rocsparseL26bsric0_2_8_unrolled_kernelILi9ELi32ELi3EdEEv20rocsparse_direction_iiPKiS3_PT2_S3_PiS3_S6_21rocsparse_index_base_, .Lfunc_end23-_ZN9rocsparseL26bsric0_2_8_unrolled_kernelILi9ELi32ELi3EdEEv20rocsparse_direction_iiPKiS3_PT2_S3_PiS3_S6_21rocsparse_index_base_
                                        ; -- End function
	.section	.AMDGPU.csdata,"",@progbits
; Kernel info:
; codeLenInByte = 6228
; NumSgprs: 44
; NumVgprs: 72
; NumAgprs: 0
; TotalNumVgprs: 72
; ScratchSize: 0
; MemoryBound: 1
; FloatMode: 240
; IeeeMode: 1
; LDSByteSize: 768 bytes/workgroup (compile time only)
; SGPRBlocks: 5
; VGPRBlocks: 8
; NumSGPRsForWavesPerEU: 44
; NumVGPRsForWavesPerEU: 72
; AccumOffset: 72
; Occupancy: 7
; WaveLimiterHint : 1
; COMPUTE_PGM_RSRC2:SCRATCH_EN: 0
; COMPUTE_PGM_RSRC2:USER_SGPR: 6
; COMPUTE_PGM_RSRC2:TRAP_HANDLER: 0
; COMPUTE_PGM_RSRC2:TGID_X_EN: 1
; COMPUTE_PGM_RSRC2:TGID_Y_EN: 0
; COMPUTE_PGM_RSRC2:TGID_Z_EN: 0
; COMPUTE_PGM_RSRC2:TIDIG_COMP_CNT: 1
; COMPUTE_PGM_RSRC3_GFX90A:ACCUM_OFFSET: 17
; COMPUTE_PGM_RSRC3_GFX90A:TG_SPLIT: 0
	.section	.text._ZN9rocsparseL26bsric0_2_8_unrolled_kernelILi16ELi32ELi4EdEEv20rocsparse_direction_iiPKiS3_PT2_S3_PiS3_S6_21rocsparse_index_base_,"axG",@progbits,_ZN9rocsparseL26bsric0_2_8_unrolled_kernelILi16ELi32ELi4EdEEv20rocsparse_direction_iiPKiS3_PT2_S3_PiS3_S6_21rocsparse_index_base_,comdat
	.globl	_ZN9rocsparseL26bsric0_2_8_unrolled_kernelILi16ELi32ELi4EdEEv20rocsparse_direction_iiPKiS3_PT2_S3_PiS3_S6_21rocsparse_index_base_ ; -- Begin function _ZN9rocsparseL26bsric0_2_8_unrolled_kernelILi16ELi32ELi4EdEEv20rocsparse_direction_iiPKiS3_PT2_S3_PiS3_S6_21rocsparse_index_base_
	.p2align	8
	.type	_ZN9rocsparseL26bsric0_2_8_unrolled_kernelILi16ELi32ELi4EdEEv20rocsparse_direction_iiPKiS3_PT2_S3_PiS3_S6_21rocsparse_index_base_,@function
_ZN9rocsparseL26bsric0_2_8_unrolled_kernelILi16ELi32ELi4EdEEv20rocsparse_direction_iiPKiS3_PT2_S3_PiS3_S6_21rocsparse_index_base_: ; @_ZN9rocsparseL26bsric0_2_8_unrolled_kernelILi16ELi32ELi4EdEEv20rocsparse_direction_iiPKiS3_PT2_S3_PiS3_S6_21rocsparse_index_base_
; %bb.0:
	s_load_dwordx8 s[8:15], s[4:5], 0x28
	s_mov_b32 s7, 0
	s_lshl_b64 s[0:1], s[6:7], 2
	v_and_b32_e32 v12, 0x3ff, v0
	v_bfe_u32 v13, v0, 10, 10
	s_waitcnt lgkmcnt(0)
	s_add_u32 s0, s12, s0
	s_addc_u32 s1, s13, s1
	s_load_dword s12, s[0:1], 0x0
	s_waitcnt lgkmcnt(0)
	s_ashr_i32 s13, s12, 31
	s_lshl_b64 s[6:7], s[12:13], 2
	s_add_u32 s0, s8, s6
	s_addc_u32 s1, s9, s7
	s_load_dword s30, s[0:1], 0x0
	s_load_dword s13, s[4:5], 0x48
	s_waitcnt lgkmcnt(0)
	s_cmp_lg_u32 s30, -1
	s_cbranch_scc0 .LBB24_16
; %bb.1:
	s_load_dwordx4 s[16:19], s[4:5], 0x10
	v_lshlrev_b32_e32 v15, 2, v13
	v_add_u32_e32 v14, v15, v12
	s_waitcnt lgkmcnt(0)
	s_add_u32 s0, s16, s6
	s_addc_u32 s1, s17, s7
	s_load_dword s24, s[0:1], 0x0
	s_waitcnt lgkmcnt(0)
	s_sub_i32 s31, s24, s13
	v_add_u32_e32 v0, s31, v14
	v_cmp_ge_i32_e32 vcc, s30, v0
	s_and_saveexec_b64 s[0:1], vcc
	s_cbranch_execz .LBB24_14
; %bb.2:
	v_add_u32_e32 v1, s24, v14
	v_subrev_u32_e32 v1, s13, v1
	v_add_u32_e32 v1, 16, v1
	s_add_i32 s2, s30, 1
	v_max_i32_e32 v1, s2, v1
	v_not_b32_e32 v2, v12
	v_add3_u32 v1, v1, s13, v2
	v_add_u32_e32 v2, s24, v15
	v_sub_u32_e32 v1, v1, v2
	v_cmp_lt_u32_e32 vcc, 15, v1
	s_mov_b64 s[20:21], -1
	s_and_saveexec_b64 s[2:3], vcc
	s_cbranch_execz .LBB24_11
; %bb.3:
	v_lshrrev_b32_e32 v16, 4, v1
	v_add_u32_e32 v2, -1, v16
	v_add_u32_e32 v1, 16, v0
	v_lshrrev_b32_e32 v3, 1, v2
	v_add_u32_e32 v17, 1, v3
	v_cmp_lt_u32_e32 vcc, 13, v2
	v_pk_mov_b32 v[2:3], v[0:1], v[0:1] op_sel:[0,1]
	s_and_saveexec_b64 s[20:21], vcc
	s_cbranch_execz .LBB24_7
; %bb.4:
	v_and_b32_e32 v18, -8, v17
	s_mov_b64 s[22:23], 0
	v_mov_b32_e32 v19, s19
	v_pk_mov_b32 v[2:3], v[0:1], v[0:1] op_sel:[0,1]
.LBB24_5:                               ; =>This Inner Loop Header: Depth=1
	v_ashrrev_i32_e32 v23, 31, v2
	v_mov_b32_e32 v22, v2
	v_lshlrev_b64 v[22:23], 2, v[22:23]
	v_ashrrev_i32_e32 v21, 31, v3
	v_mov_b32_e32 v20, v3
	v_add_co_u32_e32 v22, vcc, s18, v22
	v_add_u32_e32 v4, 32, v2
	v_lshlrev_b64 v[20:21], 2, v[20:21]
	v_addc_co_u32_e32 v23, vcc, v19, v23, vcc
	v_ashrrev_i32_e32 v5, 31, v4
	v_add_co_u32_e32 v20, vcc, s18, v20
	v_add_u32_e32 v6, 32, v3
	v_addc_co_u32_e32 v21, vcc, v19, v21, vcc
	v_lshlrev_b64 v[42:43], 2, v[4:5]
	v_ashrrev_i32_e32 v7, 31, v6
	v_add_co_u32_e32 v42, vcc, s18, v42
	v_add_u32_e32 v8, 64, v2
	v_lshlrev_b64 v[44:45], 2, v[6:7]
	v_addc_co_u32_e32 v43, vcc, v19, v43, vcc
	v_ashrrev_i32_e32 v9, 31, v8
	v_add_co_u32_e32 v44, vcc, s18, v44
	v_add_u32_e32 v10, 64, v3
	v_lshlrev_b64 v[46:47], 2, v[8:9]
	v_addc_co_u32_e32 v45, vcc, v19, v45, vcc
	;; [unrolled: 5-line block ×11, first 2 shown]
	v_ashrrev_i32_e32 v41, 31, v40
	v_add_co_u32_e32 v64, vcc, s18, v64
	v_addc_co_u32_e32 v65, vcc, v19, v65, vcc
	v_lshlrev_b64 v[66:67], 2, v[40:41]
	v_add_u32_e32 v68, 0xe0, v3
	v_add_co_u32_e32 v66, vcc, s18, v66
	v_ashrrev_i32_e32 v69, 31, v68
	v_addc_co_u32_e32 v67, vcc, v19, v67, vcc
	v_lshlrev_b64 v[70:71], 2, v[68:69]
	v_add_co_u32_e32 v70, vcc, s18, v70
	v_addc_co_u32_e32 v71, vcc, v19, v71, vcc
	global_load_dword v1, v[20:21], off
	global_load_dword v5, v[22:23], off
	;; [unrolled: 1-line block ×15, first 2 shown]
                                        ; kill: killed $vgpr56 killed $vgpr57
                                        ; kill: killed $vgpr58 killed $vgpr59
                                        ; kill: killed $vgpr22 killed $vgpr23
                                        ; kill: killed $vgpr52 killed $vgpr53
                                        ; kill: killed $vgpr54 killed $vgpr55
                                        ; kill: killed $vgpr48 killed $vgpr49
                                        ; kill: killed $vgpr50 killed $vgpr51
                                        ; kill: killed $vgpr44 killed $vgpr45
                                        ; kill: killed $vgpr46 killed $vgpr47
                                        ; kill: killed $vgpr70 killed $vgpr71
                                        ; kill: killed $vgpr42 killed $vgpr43
                                        ; kill: killed $vgpr64 killed $vgpr65
                                        ; kill: killed $vgpr62 killed $vgpr63
                                        ; kill: killed $vgpr60 killed $vgpr61
                                        ; kill: killed $vgpr20 killed $vgpr21
	global_load_dword v20, v[66:67], off
	v_subrev_u32_e32 v22, s31, v2
	v_add_u32_e32 v18, -8, v18
	v_subrev_u32_e32 v21, s31, v3
	v_lshlrev_b32_e32 v22, 2, v22
	v_subrev_u32_e32 v4, s31, v4
	v_cmp_eq_u32_e32 vcc, 0, v18
	v_add_u32_e32 v3, 0x100, v3
	v_add_u32_e32 v2, 0x100, v2
	v_lshlrev_b32_e32 v21, 2, v21
	v_subrev_u32_e32 v6, s31, v6
	v_subrev_u32_e32 v10, s31, v10
	;; [unrolled: 1-line block ×13, first 2 shown]
	v_lshlrev_b32_e32 v4, 2, v4
	s_or_b64 s[22:23], vcc, s[22:23]
	v_lshlrev_b32_e32 v6, 2, v6
	v_lshlrev_b32_e32 v8, 2, v8
	;; [unrolled: 1-line block ×13, first 2 shown]
	s_waitcnt vmcnt(15)
	v_subrev_u32_e32 v1, s13, v1
	s_waitcnt vmcnt(14)
	v_subrev_u32_e32 v5, s13, v5
	ds_write_b32 v22, v5 offset:896
	ds_write_b32 v21, v1 offset:896
	s_waitcnt vmcnt(12)
	v_subrev_u32_e32 v5, s13, v9
	v_subrev_u32_e32 v1, s13, v7
	s_waitcnt vmcnt(11)
	v_subrev_u32_e32 v7, s13, v11
	s_waitcnt vmcnt(10)
	;; [unrolled: 2-line block ×12, first 2 shown]
	v_subrev_u32_e32 v20, s13, v20
	ds_write_b32 v4, v5 offset:896
	ds_write_b32 v6, v1 offset:896
	;; [unrolled: 1-line block ×14, first 2 shown]
	s_andn2_b64 exec, exec, s[22:23]
	s_cbranch_execnz .LBB24_5
; %bb.6:
	s_or_b64 exec, exec, s[22:23]
.LBB24_7:
	s_or_b64 exec, exec, s[20:21]
	v_and_b32_e32 v1, 7, v17
	v_cmp_ne_u32_e32 vcc, 0, v1
	s_and_saveexec_b64 s[20:21], vcc
	s_cbranch_execz .LBB24_10
; %bb.8:
	s_mov_b64 s[22:23], 0
	v_mov_b32_e32 v4, s19
.LBB24_9:                               ; =>This Inner Loop Header: Depth=1
	v_ashrrev_i32_e32 v9, 31, v2
	v_mov_b32_e32 v8, v2
	v_lshlrev_b64 v[8:9], 2, v[8:9]
	v_ashrrev_i32_e32 v7, 31, v3
	v_mov_b32_e32 v6, v3
	v_add_co_u32_e32 v8, vcc, s18, v8
	v_lshlrev_b64 v[6:7], 2, v[6:7]
	v_addc_co_u32_e32 v9, vcc, v4, v9, vcc
	v_add_co_u32_e32 v6, vcc, s18, v6
	v_addc_co_u32_e32 v7, vcc, v4, v7, vcc
	global_load_dword v5, v[6:7], off
	global_load_dword v10, v[8:9], off
	v_add_u32_e32 v1, -1, v1
	v_subrev_u32_e32 v7, s31, v2
	v_cmp_eq_u32_e32 vcc, 0, v1
	v_subrev_u32_e32 v6, s31, v3
	v_add_u32_e32 v3, 32, v3
	v_add_u32_e32 v2, 32, v2
	v_lshlrev_b32_e32 v7, 2, v7
	s_or_b64 s[22:23], vcc, s[22:23]
	v_lshlrev_b32_e32 v6, 2, v6
	s_waitcnt vmcnt(1)
	v_subrev_u32_e32 v5, s13, v5
	s_waitcnt vmcnt(0)
	v_subrev_u32_e32 v8, s13, v10
	ds_write_b32 v7, v8 offset:896
	ds_write_b32 v6, v5 offset:896
	s_andn2_b64 exec, exec, s[22:23]
	s_cbranch_execnz .LBB24_9
.LBB24_10:
	s_or_b64 exec, exec, s[20:21]
	v_add_u32_e32 v1, 1, v16
	v_and_b32_e32 v2, 0x1ffffffe, v1
	v_cmp_ne_u32_e32 vcc, v1, v2
	v_lshl_add_u32 v0, v2, 4, v0
	s_orn2_b64 s[20:21], vcc, exec
.LBB24_11:
	s_or_b64 exec, exec, s[2:3]
	s_and_b64 exec, exec, s[20:21]
	s_cbranch_execz .LBB24_14
; %bb.12:
	v_add_u32_e32 v1, s13, v0
	v_subrev_u32_e32 v1, s24, v1
	v_mov_b32_e32 v2, 0x380
	v_lshl_add_u32 v4, v1, 2, v2
	v_ashrrev_i32_e32 v1, 31, v0
	v_lshlrev_b64 v[2:3], 2, v[0:1]
	v_mov_b32_e32 v1, s19
	v_add_co_u32_e32 v2, vcc, s18, v2
	v_addc_co_u32_e32 v3, vcc, v1, v3, vcc
	s_mov_b64 s[2:3], 0
.LBB24_13:                              ; =>This Inner Loop Header: Depth=1
	global_load_dword v1, v[2:3], off
	v_add_co_u32_e32 v2, vcc, 64, v2
	v_add_u32_e32 v0, 16, v0
	v_addc_co_u32_e32 v3, vcc, 0, v3, vcc
	v_cmp_lt_i32_e32 vcc, s30, v0
	s_or_b64 s[2:3], vcc, s[2:3]
	s_waitcnt vmcnt(0)
	v_subrev_u32_e32 v1, s13, v1
	ds_write_b32 v4, v1
	v_add_u32_e32 v4, 64, v4
	s_andn2_b64 exec, exec, s[2:3]
	s_cbranch_execnz .LBB24_13
.LBB24_14:
	s_or_b64 exec, exec, s[0:1]
	s_load_dwordx2 s[2:3], s[4:5], 0x20
	v_lshlrev_b32_e32 v0, 3, v12
	v_mov_b32_e32 v2, 0
	v_mad_u32_u24 v10, v13, 40, v0
	v_mov_b32_e32 v3, v2
	s_cmp_lt_i32 s31, s30
	ds_write_b64 v10, v[2:3] offset:480
	s_waitcnt lgkmcnt(0)
	s_cbranch_scc1 .LBB24_17
; %bb.15:
	v_lshl_add_u32 v11, v12, 2, v13
	v_or_b32_e32 v8, v12, v13
	s_load_dword s33, s[4:5], 0x0
	v_add_u32_e32 v9, 0x1e0, v10
	s_cbranch_execz .LBB24_18
	s_branch .LBB24_71
.LBB24_16:
	s_mov_b64 s[0:1], 0
	s_cbranch_execnz .LBB24_104
	s_branch .LBB24_109
.LBB24_17:
                                        ; implicit-def: $vgpr11
                                        ; implicit-def: $vgpr8
	s_load_dword s33, s[4:5], 0x0
	v_add_u32_e32 v9, 0x1e0, v10
.LBB24_18:
	s_waitcnt lgkmcnt(0)
	s_cmp_eq_u32 s33, 0
	v_lshlrev_b32_e32 v16, 2, v12
	v_mov_b32_e32 v1, 0x140
	v_mov_b32_e32 v2, 0xa0
	v_add_u32_e32 v11, v16, v13
	s_cselect_b64 vcc, -1, 0
	s_cmp_lg_u32 s33, 0
	v_mad_u32_u24 v17, v13, 40, v1
	v_mad_u32_u24 v25, v13, 40, v2
	v_or_b32_e32 v8, v12, v13
	s_cselect_b64 s[4:5], -1, 0
	v_add_u32_e32 v18, v17, v0
	v_add_u32_e32 v19, 4, v12
	;; [unrolled: 1-line block ×8, first 2 shown]
	v_cmp_ne_u32_e64 s[0:1], 0, v8
	v_mad_u32_u24 v27, v12, 40, v1
	v_cndmask_b32_e32 v28, v11, v14, vcc
	v_mov_b32_e32 v29, 0
	v_mov_b32_e32 v30, 0x3ff00000
	s_mov_b32 s20, s31
	s_branch .LBB24_22
.LBB24_19:                              ;   in Loop: Header=BB24_22 Depth=1
	s_or_b64 exec, exec, s[24:25]
	v_mov_b32_e32 v4, 0
	v_mov_b32_e32 v5, 0x3ff00000
.LBB24_20:                              ;   in Loop: Header=BB24_22 Depth=1
	s_or_b64 exec, exec, s[22:23]
	ds_read2_b64 v[32:35], v17 offset1:1
	ds_read2_b64 v[36:39], v29 offset0:15 offset1:16
	ds_read_b64 v[6:7], v25 offset:24
	ds_read_b64 v[40:41], v17 offset:16
	;; [unrolled: 1-line block ×3, first 2 shown]
	s_add_i32 s20, s20, 1
	s_cmp_ge_i32 s20, s30
	s_waitcnt lgkmcnt(2)
	v_fmac_f64_e32 v[6:7], v[36:37], v[32:33]
	v_fmac_f64_e32 v[6:7], v[38:39], v[34:35]
	s_waitcnt lgkmcnt(0)
	v_fmac_f64_e32 v[6:7], v[42:43], v[40:41]
	v_add_f64 v[2:3], v[2:3], -v[6:7]
	v_div_scale_f64 v[6:7], s[22:23], v[4:5], v[4:5], v[2:3]
	v_rcp_f64_e32 v[32:33], v[6:7]
	v_div_scale_f64 v[34:35], vcc, v[2:3], v[4:5], v[2:3]
	s_cselect_b64 s[26:27], -1, 0
	v_fma_f64 v[36:37], -v[6:7], v[32:33], 1.0
	v_fmac_f64_e32 v[32:33], v[32:33], v[36:37]
	v_fma_f64 v[36:37], -v[6:7], v[32:33], 1.0
	v_fmac_f64_e32 v[32:33], v[32:33], v[36:37]
	v_mul_f64 v[36:37], v[34:35], v[32:33]
	v_fma_f64 v[6:7], -v[6:7], v[36:37], v[34:35]
	v_div_fmas_f64 v[6:7], v[6:7], v[32:33], v[36:37]
	v_div_fixup_f64 v[2:3], v[6:7], v[4:5], v[2:3]
	ds_write_b64 v17, v[2:3] offset:24
	s_waitcnt lgkmcnt(0)
	ds_read_b64 v[4:5], v27 offset:24
	ds_read_b64 v[6:7], v9
	s_waitcnt lgkmcnt(0)
	v_fmac_f64_e32 v[6:7], v[2:3], v[4:5]
	ds_write_b64 v9, v[6:7]
	s_waitcnt lgkmcnt(0)
	ds_read_b64 v[2:3], v18
	s_waitcnt lgkmcnt(0)
	global_store_dwordx2 v[0:1], v[2:3], off
	s_waitcnt vmcnt(0)
	buffer_wbinvl1_vol
.LBB24_21:                              ;   in Loop: Header=BB24_22 Depth=1
	s_and_b64 vcc, exec, s[26:27]
	s_cbranch_vccnz .LBB24_71
.LBB24_22:                              ; =>This Loop Header: Depth=1
                                        ;     Child Loop BB24_25 Depth 2
                                        ;     Child Loop BB24_36 Depth 2
	;; [unrolled: 1-line block ×3, first 2 shown]
	s_ashr_i32 s21, s20, 31
	s_lshl_b64 s[22:23], s[20:21], 2
	s_add_u32 s22, s18, s22
	s_addc_u32 s23, s19, s23
	s_load_dword s21, s[22:23], 0x0
	s_waitcnt lgkmcnt(0)
	s_sub_i32 s24, s21, s13
	s_ashr_i32 s25, s24, 31
	s_lshl_b64 s[22:23], s[24:25], 2
	s_add_u32 s26, s8, s22
	s_addc_u32 s27, s9, s23
	s_load_dword s25, s[26:27], 0x0
	s_mov_b64 s[26:27], -1
	s_waitcnt lgkmcnt(0)
	s_cmp_eq_u32 s25, -1
	s_cbranch_scc1 .LBB24_21
; %bb.23:                               ;   in Loop: Header=BB24_22 Depth=1
	v_lshl_add_u32 v0, s20, 4, v28
	v_ashrrev_i32_e32 v1, 31, v0
	v_lshlrev_b64 v[0:1], 3, v[0:1]
	v_mov_b32_e32 v2, s3
	v_add_co_u32_e32 v0, vcc, s2, v0
	v_addc_co_u32_e32 v1, vcc, v2, v1, vcc
	global_load_dwordx2 v[2:3], v[0:1], off
	s_add_u32 s26, s16, s22
	s_addc_u32 s27, s17, s23
	s_load_dword s26, s[26:27], 0x0
	ds_read_b32 v4, v29 offset:896
	s_mov_b32 s27, 0
	s_waitcnt lgkmcnt(0)
	s_sub_i32 s26, s26, s13
	s_cmp_le_i32 s26, s25
	v_cmp_ge_i32_e32 vcc, s24, v4
	s_cselect_b64 s[28:29], -1, 0
	s_and_b64 s[28:29], s[28:29], vcc
	s_andn2_b64 vcc, exec, s[28:29]
	s_waitcnt vmcnt(0)
	ds_write_b64 v18, v[2:3]
	s_cbranch_vccnz .LBB24_35
; %bb.24:                               ;   in Loop: Header=BB24_22 Depth=1
	s_mov_b32 s34, 0
	s_mov_b32 s35, 0
.LBB24_25:                              ;   Parent Loop BB24_22 Depth=1
                                        ; =>  This Inner Loop Header: Depth=2
	s_ashr_i32 s27, s26, 31
	s_lshl_b64 s[28:29], s[26:27], 2
	s_add_u32 s28, s18, s28
	s_addc_u32 s29, s19, s29
	s_load_dword s27, s[28:29], 0x0
	s_lshl_b32 s28, s35, 2
	v_mov_b32_e32 v2, s28
	ds_read_b32 v2, v2 offset:896
	s_mov_b64 s[28:29], -1
	s_waitcnt lgkmcnt(0)
	s_sub_i32 s39, s27, s13
                                        ; implicit-def: $sgpr27
                                        ; implicit-def: $sgpr38
                                        ; implicit-def: $sgpr37
	v_cmp_ge_i32_e32 vcc, s39, v2
	v_readfirstlane_b32 s36, v2
	s_cbranch_vccz .LBB24_31
; %bb.26:                               ;   in Loop: Header=BB24_25 Depth=2
	s_cmp_le_i32 s39, s36
                                        ; implicit-def: $sgpr27
                                        ; implicit-def: $sgpr38
                                        ; implicit-def: $sgpr37
	s_cbranch_scc0 .LBB24_28
; %bb.27:                               ;   in Loop: Header=BB24_25 Depth=2
	s_add_i32 s27, s35, s31
	s_lshl_b32 s27, s27, 4
	s_lshl_b32 s28, s34, 2
	v_mov_b32_e32 v3, s27
	s_lshl_b32 s27, s26, 4
	v_mov_b32_e32 v2, s28
	v_mov_b32_e32 v4, s27
	ds_write2_b32 v2, v4, v3 offset0:160 offset1:192
	s_add_i32 s37, s35, 1
	s_add_i32 s38, s26, 1
	;; [unrolled: 1-line block ×3, first 2 shown]
	s_mov_b64 s[28:29], 0
.LBB24_28:                              ;   in Loop: Header=BB24_25 Depth=2
	s_andn2_b64 vcc, exec, s[28:29]
	s_cbranch_vccnz .LBB24_30
; %bb.29:                               ;   in Loop: Header=BB24_25 Depth=2
	s_add_i32 s37, s35, 1
	s_mov_b32 s27, s34
	s_mov_b32 s38, s26
.LBB24_30:                              ;   in Loop: Header=BB24_25 Depth=2
	s_mov_b64 s[28:29], 0
.LBB24_31:                              ;   in Loop: Header=BB24_25 Depth=2
	s_andn2_b64 vcc, exec, s[28:29]
	s_cbranch_vccnz .LBB24_33
; %bb.32:                               ;   in Loop: Header=BB24_25 Depth=2
	s_add_i32 s38, s26, 1
	s_mov_b32 s37, s35
	s_mov_b32 s27, s34
.LBB24_33:                              ;   in Loop: Header=BB24_25 Depth=2
	s_cmp_le_i32 s38, s25
	s_cselect_b64 s[28:29], -1, 0
	s_cmp_le_i32 s36, s24
	s_cselect_b64 s[34:35], -1, 0
	s_and_b64 s[28:29], s[28:29], s[34:35]
	s_and_b64 vcc, exec, s[28:29]
	s_cbranch_vccz .LBB24_35
; %bb.34:                               ;   in Loop: Header=BB24_25 Depth=2
	s_mov_b32 s34, s27
	s_mov_b32 s26, s38
	;; [unrolled: 1-line block ×3, first 2 shown]
	s_branch .LBB24_25
.LBB24_35:                              ;   in Loop: Header=BB24_22 Depth=1
	s_add_u32 s22, s10, s22
	s_addc_u32 s23, s11, s23
	s_waitcnt lgkmcnt(0)
.LBB24_36:                              ;   Parent Loop BB24_22 Depth=1
                                        ; =>  This Inner Loop Header: Depth=2
	global_load_dword v2, v29, s[22:23] glc
	s_waitcnt vmcnt(0)
	v_cmp_eq_u32_e32 vcc, 0, v2
	s_cbranch_vccnz .LBB24_36
; %bb.37:                               ;   in Loop: Header=BB24_22 Depth=1
	v_lshl_add_u32 v2, s25, 4, v28
	v_ashrrev_i32_e32 v3, 31, v2
	v_lshlrev_b64 v[2:3], 3, v[2:3]
	v_mov_b32_e32 v4, s3
	v_add_co_u32_e32 v2, vcc, s2, v2
	v_addc_co_u32_e32 v3, vcc, v4, v3, vcc
	buffer_wbinvl1_vol
	global_load_dwordx2 v[2:3], v[2:3], off
	s_cmp_lt_i32 s27, 2
	s_waitcnt vmcnt(0)
	ds_write_b64 v10, v[2:3]
	v_pk_mov_b32 v[2:3], 0, 0
	s_waitcnt lgkmcnt(0)
	s_cbranch_scc1 .LBB24_56
; %bb.38:                               ;   in Loop: Header=BB24_22 Depth=1
	s_add_i32 s24, s27, -1
	s_cmp_eq_u32 s27, 2
	s_cbranch_scc1 .LBB24_49
; %bb.39:                               ;   in Loop: Header=BB24_22 Depth=1
	s_and_b32 s25, s24, -2
	s_mov_b32 s26, 0
	s_movk_i32 s27, 0x280
	v_pk_mov_b32 v[2:3], 0, 0
	s_branch .LBB24_41
.LBB24_40:                              ;   in Loop: Header=BB24_41 Depth=2
	s_add_i32 s26, s26, 2
	s_add_i32 s27, s27, 8
	s_cmp_eq_u32 s25, s26
	s_cbranch_scc1 .LBB24_50
.LBB24_41:                              ;   Parent Loop BB24_22 Depth=1
                                        ; =>  This Inner Loop Header: Depth=2
	v_mov_b32_e32 v4, s27
	s_waitcnt lgkmcnt(0)
	ds_read2_b32 v[6:7], v4 offset1:32
	s_and_b64 vcc, exec, s[4:5]
	s_cbranch_vccz .LBB24_43
; %bb.42:                               ;   in Loop: Header=BB24_41 Depth=2
	s_waitcnt lgkmcnt(0)
	v_add_u32_e32 v4, v6, v12
	v_ashrrev_i32_e32 v5, 31, v4
	v_lshlrev_b64 v[4:5], 3, v[4:5]
	v_add_u32_e32 v32, v7, v13
	v_mov_b32_e32 v31, s3
	v_add_co_u32_e32 v4, vcc, s2, v4
	v_ashrrev_i32_e32 v33, 31, v32
	v_addc_co_u32_e32 v5, vcc, v31, v5, vcc
	v_lshlrev_b64 v[32:33], 3, v[32:33]
	v_add_u32_e32 v34, v19, v6
	v_add_co_u32_e32 v32, vcc, s2, v32
	v_ashrrev_i32_e32 v35, 31, v34
	v_addc_co_u32_e32 v33, vcc, v31, v33, vcc
	v_lshlrev_b64 v[34:35], 3, v[34:35]
	v_add_u32_e32 v36, v20, v7
	v_add_co_u32_e32 v34, vcc, s2, v34
	v_ashrrev_i32_e32 v37, 31, v36
	v_addc_co_u32_e32 v35, vcc, v31, v35, vcc
	v_lshlrev_b64 v[36:37], 3, v[36:37]
	v_add_co_u32_e32 v36, vcc, s2, v36
	v_addc_co_u32_e32 v37, vcc, v31, v37, vcc
	global_load_dwordx2 v[38:39], v[4:5], off
	global_load_dwordx2 v[40:41], v[32:33], off
	;; [unrolled: 1-line block ×4, first 2 shown]
	v_add_u32_e32 v4, v21, v6
	v_ashrrev_i32_e32 v5, 31, v4
	v_lshlrev_b64 v[4:5], 3, v[4:5]
	v_add_u32_e32 v32, v22, v7
	v_add_co_u32_e32 v4, vcc, s2, v4
	v_ashrrev_i32_e32 v33, 31, v32
	v_addc_co_u32_e32 v5, vcc, v31, v5, vcc
	v_lshlrev_b64 v[32:33], 3, v[32:33]
	v_add_u32_e32 v34, v23, v6
	v_add_co_u32_e32 v32, vcc, s2, v32
	v_ashrrev_i32_e32 v35, 31, v34
	v_addc_co_u32_e32 v33, vcc, v31, v33, vcc
	;; [unrolled: 5-line block ×3, first 2 shown]
	v_lshlrev_b64 v[36:37], 3, v[36:37]
	v_add_co_u32_e32 v36, vcc, s2, v36
	v_addc_co_u32_e32 v37, vcc, v31, v37, vcc
	global_load_dwordx2 v[46:47], v[4:5], off
	global_load_dwordx2 v[48:49], v[32:33], off
	;; [unrolled: 1-line block ×4, first 2 shown]
	s_waitcnt vmcnt(6)
	v_fma_f64 v[4:5], v[38:39], v[40:41], v[2:3]
	s_waitcnt vmcnt(4)
	v_fmac_f64_e32 v[4:5], v[42:43], v[44:45]
	s_waitcnt vmcnt(2)
	v_fmac_f64_e32 v[4:5], v[46:47], v[48:49]
	;; [unrolled: 2-line block ×3, first 2 shown]
	s_cbranch_execz .LBB24_44
	s_branch .LBB24_45
.LBB24_43:                              ;   in Loop: Header=BB24_41 Depth=2
                                        ; implicit-def: $vgpr4_vgpr5
.LBB24_44:                              ;   in Loop: Header=BB24_41 Depth=2
	s_waitcnt lgkmcnt(0)
	v_add_u32_e32 v4, v6, v16
	v_ashrrev_i32_e32 v5, 31, v4
	v_lshlrev_b64 v[4:5], 3, v[4:5]
	v_mov_b32_e32 v6, s3
	v_add_co_u32_e32 v44, vcc, s2, v4
	v_add_u32_e32 v4, v7, v15
	v_addc_co_u32_e32 v45, vcc, v6, v5, vcc
	v_ashrrev_i32_e32 v5, 31, v4
	v_lshlrev_b64 v[4:5], 3, v[4:5]
	global_load_dwordx4 v[32:35], v[44:45], off
	v_add_co_u32_e32 v46, vcc, s2, v4
	v_addc_co_u32_e32 v47, vcc, v6, v5, vcc
	global_load_dwordx4 v[4:7], v[46:47], off
	global_load_dwordx4 v[36:39], v[44:45], off offset:16
	global_load_dwordx4 v[40:43], v[46:47], off offset:16
	s_waitcnt vmcnt(2)
	v_fmac_f64_e32 v[2:3], v[32:33], v[4:5]
	v_fmac_f64_e32 v[2:3], v[34:35], v[6:7]
	s_waitcnt vmcnt(0)
	v_fmac_f64_e32 v[2:3], v[36:37], v[40:41]
	v_fmac_f64_e32 v[2:3], v[38:39], v[42:43]
	v_pk_mov_b32 v[4:5], v[2:3], v[2:3] op_sel:[0,1]
.LBB24_45:                              ;   in Loop: Header=BB24_41 Depth=2
	v_mov_b32_e32 v2, s27
	s_waitcnt lgkmcnt(0)
	ds_read2_b32 v[6:7], v2 offset0:1 offset1:33
	s_andn2_b64 vcc, exec, s[4:5]
	s_cbranch_vccnz .LBB24_47
; %bb.46:                               ;   in Loop: Header=BB24_41 Depth=2
	s_waitcnt lgkmcnt(0)
	v_add_u32_e32 v2, v6, v12
	v_ashrrev_i32_e32 v3, 31, v2
	v_lshlrev_b64 v[2:3], 3, v[2:3]
	v_add_u32_e32 v32, v7, v13
	v_mov_b32_e32 v31, s3
	v_add_co_u32_e32 v2, vcc, s2, v2
	v_ashrrev_i32_e32 v33, 31, v32
	v_addc_co_u32_e32 v3, vcc, v31, v3, vcc
	v_lshlrev_b64 v[32:33], 3, v[32:33]
	v_add_u32_e32 v34, v19, v6
	v_add_co_u32_e32 v32, vcc, s2, v32
	v_ashrrev_i32_e32 v35, 31, v34
	v_addc_co_u32_e32 v33, vcc, v31, v33, vcc
	v_lshlrev_b64 v[34:35], 3, v[34:35]
	v_add_u32_e32 v36, v20, v7
	v_add_co_u32_e32 v34, vcc, s2, v34
	v_ashrrev_i32_e32 v37, 31, v36
	v_addc_co_u32_e32 v35, vcc, v31, v35, vcc
	v_lshlrev_b64 v[36:37], 3, v[36:37]
	v_add_co_u32_e32 v36, vcc, s2, v36
	v_addc_co_u32_e32 v37, vcc, v31, v37, vcc
	global_load_dwordx2 v[38:39], v[2:3], off
	global_load_dwordx2 v[40:41], v[32:33], off
	;; [unrolled: 1-line block ×4, first 2 shown]
	v_add_u32_e32 v2, v21, v6
	v_ashrrev_i32_e32 v3, 31, v2
	v_lshlrev_b64 v[2:3], 3, v[2:3]
	v_add_u32_e32 v32, v22, v7
	v_add_co_u32_e32 v2, vcc, s2, v2
	v_ashrrev_i32_e32 v33, 31, v32
	v_addc_co_u32_e32 v3, vcc, v31, v3, vcc
	v_lshlrev_b64 v[32:33], 3, v[32:33]
	v_add_u32_e32 v34, v23, v6
	v_add_co_u32_e32 v32, vcc, s2, v32
	v_ashrrev_i32_e32 v35, 31, v34
	v_addc_co_u32_e32 v33, vcc, v31, v33, vcc
	v_lshlrev_b64 v[34:35], 3, v[34:35]
	v_add_u32_e32 v36, v24, v7
	v_add_co_u32_e32 v34, vcc, s2, v34
	v_ashrrev_i32_e32 v37, 31, v36
	v_addc_co_u32_e32 v35, vcc, v31, v35, vcc
	v_lshlrev_b64 v[36:37], 3, v[36:37]
	v_add_co_u32_e32 v36, vcc, s2, v36
	v_addc_co_u32_e32 v37, vcc, v31, v37, vcc
	global_load_dwordx2 v[46:47], v[2:3], off
	global_load_dwordx2 v[48:49], v[32:33], off
	;; [unrolled: 1-line block ×4, first 2 shown]
	s_waitcnt vmcnt(6)
	v_fma_f64 v[2:3], v[38:39], v[40:41], v[4:5]
	s_waitcnt vmcnt(4)
	v_fmac_f64_e32 v[2:3], v[42:43], v[44:45]
	s_waitcnt vmcnt(2)
	v_fmac_f64_e32 v[2:3], v[46:47], v[48:49]
	;; [unrolled: 2-line block ×3, first 2 shown]
	s_cbranch_execnz .LBB24_40
	s_branch .LBB24_48
.LBB24_47:                              ;   in Loop: Header=BB24_41 Depth=2
                                        ; implicit-def: $vgpr2_vgpr3
.LBB24_48:                              ;   in Loop: Header=BB24_41 Depth=2
	s_waitcnt lgkmcnt(0)
	v_add_u32_e32 v2, v6, v16
	v_ashrrev_i32_e32 v3, 31, v2
	v_lshlrev_b64 v[2:3], 3, v[2:3]
	v_add_u32_e32 v6, v7, v15
	v_mov_b32_e32 v31, s3
	v_add_co_u32_e32 v2, vcc, s2, v2
	v_ashrrev_i32_e32 v7, 31, v6
	v_addc_co_u32_e32 v3, vcc, v31, v3, vcc
	v_lshlrev_b64 v[6:7], 3, v[6:7]
	global_load_dwordx4 v[32:35], v[2:3], off
	v_add_co_u32_e32 v6, vcc, s2, v6
	v_addc_co_u32_e32 v7, vcc, v31, v7, vcc
	global_load_dwordx4 v[36:39], v[6:7], off
	global_load_dwordx4 v[40:43], v[2:3], off offset:16
	global_load_dwordx4 v[44:47], v[6:7], off offset:16
	s_waitcnt vmcnt(2)
	v_fmac_f64_e32 v[4:5], v[32:33], v[36:37]
	v_fmac_f64_e32 v[4:5], v[34:35], v[38:39]
	s_waitcnt vmcnt(0)
	v_fmac_f64_e32 v[4:5], v[40:41], v[44:45]
	v_fmac_f64_e32 v[4:5], v[42:43], v[46:47]
	v_pk_mov_b32 v[2:3], v[4:5], v[4:5] op_sel:[0,1]
	s_branch .LBB24_40
.LBB24_49:                              ;   in Loop: Header=BB24_22 Depth=1
	s_mov_b32 s25, 0
	v_pk_mov_b32 v[2:3], 0, 0
.LBB24_50:                              ;   in Loop: Header=BB24_22 Depth=1
	s_bitcmp0_b32 s24, 0
	s_cbranch_scc1 .LBB24_56
; %bb.51:                               ;   in Loop: Header=BB24_22 Depth=1
	s_lshl_b32 s22, s25, 2
	v_mov_b32_e32 v4, s22
	ds_read2_b32 v[4:5], v4 offset0:160 offset1:192
	s_andn2_b64 vcc, exec, s[4:5]
	s_cbranch_vccnz .LBB24_53
; %bb.52:                               ;   in Loop: Header=BB24_22 Depth=1
	s_waitcnt lgkmcnt(0)
	v_add_u32_e32 v6, v4, v12
	v_ashrrev_i32_e32 v7, 31, v6
	v_lshlrev_b64 v[6:7], 3, v[6:7]
	v_add_u32_e32 v32, v5, v13
	v_mov_b32_e32 v31, s3
	v_add_co_u32_e32 v6, vcc, s2, v6
	v_ashrrev_i32_e32 v33, 31, v32
	v_addc_co_u32_e32 v7, vcc, v31, v7, vcc
	v_lshlrev_b64 v[32:33], 3, v[32:33]
	v_add_u32_e32 v34, v19, v4
	v_add_co_u32_e32 v32, vcc, s2, v32
	v_ashrrev_i32_e32 v35, 31, v34
	v_addc_co_u32_e32 v33, vcc, v31, v33, vcc
	v_lshlrev_b64 v[34:35], 3, v[34:35]
	v_add_u32_e32 v36, v20, v5
	v_add_co_u32_e32 v34, vcc, s2, v34
	v_ashrrev_i32_e32 v37, 31, v36
	v_addc_co_u32_e32 v35, vcc, v31, v35, vcc
	v_lshlrev_b64 v[36:37], 3, v[36:37]
	v_add_co_u32_e32 v36, vcc, s2, v36
	v_addc_co_u32_e32 v37, vcc, v31, v37, vcc
	global_load_dwordx2 v[38:39], v[6:7], off
	global_load_dwordx2 v[40:41], v[32:33], off
	;; [unrolled: 1-line block ×4, first 2 shown]
	v_add_u32_e32 v6, v21, v4
	v_ashrrev_i32_e32 v7, 31, v6
	v_lshlrev_b64 v[6:7], 3, v[6:7]
	v_add_u32_e32 v32, v22, v5
	v_add_co_u32_e32 v6, vcc, s2, v6
	v_ashrrev_i32_e32 v33, 31, v32
	v_addc_co_u32_e32 v7, vcc, v31, v7, vcc
	v_lshlrev_b64 v[32:33], 3, v[32:33]
	v_add_u32_e32 v34, v23, v4
	v_add_co_u32_e32 v32, vcc, s2, v32
	v_ashrrev_i32_e32 v35, 31, v34
	v_addc_co_u32_e32 v33, vcc, v31, v33, vcc
	;; [unrolled: 5-line block ×3, first 2 shown]
	v_lshlrev_b64 v[36:37], 3, v[36:37]
	v_add_co_u32_e32 v36, vcc, s2, v36
	v_addc_co_u32_e32 v37, vcc, v31, v37, vcc
	global_load_dwordx2 v[46:47], v[6:7], off
	global_load_dwordx2 v[48:49], v[32:33], off
	;; [unrolled: 1-line block ×4, first 2 shown]
	s_waitcnt vmcnt(6)
	v_fma_f64 v[6:7], v[38:39], v[40:41], v[2:3]
	s_waitcnt vmcnt(4)
	v_fmac_f64_e32 v[6:7], v[42:43], v[44:45]
	s_waitcnt vmcnt(2)
	v_fmac_f64_e32 v[6:7], v[46:47], v[48:49]
	;; [unrolled: 2-line block ×3, first 2 shown]
	s_cbranch_execz .LBB24_54
	s_branch .LBB24_55
.LBB24_53:                              ;   in Loop: Header=BB24_22 Depth=1
                                        ; implicit-def: $vgpr6_vgpr7
.LBB24_54:                              ;   in Loop: Header=BB24_22 Depth=1
	s_waitcnt lgkmcnt(0)
	v_add_u32_e32 v6, v4, v16
	v_ashrrev_i32_e32 v7, 31, v6
	v_lshlrev_b64 v[6:7], 3, v[6:7]
	v_add_u32_e32 v4, v5, v15
	v_mov_b32_e32 v31, s3
	v_add_co_u32_e32 v44, vcc, s2, v6
	v_ashrrev_i32_e32 v5, 31, v4
	v_addc_co_u32_e32 v45, vcc, v31, v7, vcc
	v_lshlrev_b64 v[4:5], 3, v[4:5]
	global_load_dwordx4 v[32:35], v[44:45], off
	v_add_co_u32_e32 v46, vcc, s2, v4
	v_addc_co_u32_e32 v47, vcc, v31, v5, vcc
	global_load_dwordx4 v[4:7], v[46:47], off
	global_load_dwordx4 v[36:39], v[44:45], off offset:16
	global_load_dwordx4 v[40:43], v[46:47], off offset:16
	s_waitcnt vmcnt(2)
	v_fmac_f64_e32 v[2:3], v[32:33], v[4:5]
	v_fmac_f64_e32 v[2:3], v[34:35], v[6:7]
	s_waitcnt vmcnt(0)
	v_fmac_f64_e32 v[2:3], v[36:37], v[40:41]
	v_fmac_f64_e32 v[2:3], v[38:39], v[42:43]
	v_pk_mov_b32 v[6:7], v[2:3], v[2:3] op_sel:[0,1]
.LBB24_55:                              ;   in Loop: Header=BB24_22 Depth=1
	s_waitcnt lgkmcnt(1)
	v_pk_mov_b32 v[2:3], v[6:7], v[6:7] op_sel:[0,1]
.LBB24_56:                              ;   in Loop: Header=BB24_22 Depth=1
	ds_write_b64 v26, v[2:3]
	s_waitcnt lgkmcnt(0)
	ds_read_b64 v[4:5], v29
	ds_read_b64 v[2:3], v17
	s_waitcnt lgkmcnt(1)
	v_cmp_neq_f64_e32 vcc, 0, v[4:5]
	s_or_b64 s[22:23], vcc, s[0:1]
	v_cndmask_b32_e32 v5, v30, v5, vcc
	s_xor_b64 s[24:25], s[22:23], -1
	v_cndmask_b32_e32 v4, 0, v4, vcc
	s_and_saveexec_b64 s[22:23], s[24:25]
	s_cbranch_execz .LBB24_60
; %bb.57:                               ;   in Loop: Header=BB24_22 Depth=1
	v_mbcnt_lo_u32_b32 v4, exec_lo, 0
	v_mbcnt_hi_u32_b32 v4, exec_hi, v4
	v_cmp_eq_u32_e32 vcc, 0, v4
	s_and_saveexec_b64 s[24:25], vcc
	s_cbranch_execz .LBB24_59
; %bb.58:                               ;   in Loop: Header=BB24_22 Depth=1
	v_mov_b32_e32 v4, s21
	global_atomic_smin v29, v4, s[14:15]
.LBB24_59:                              ;   in Loop: Header=BB24_22 Depth=1
	s_or_b64 exec, exec, s[24:25]
	v_mov_b32_e32 v4, 0
	v_mov_b32_e32 v5, 0x3ff00000
.LBB24_60:                              ;   in Loop: Header=BB24_22 Depth=1
	s_or_b64 exec, exec, s[22:23]
	ds_read_b64 v[6:7], v25
	s_waitcnt lgkmcnt(0)
	v_add_f64 v[2:3], v[2:3], -v[6:7]
	v_div_scale_f64 v[6:7], s[22:23], v[4:5], v[4:5], v[2:3]
	v_rcp_f64_e32 v[32:33], v[6:7]
	v_div_scale_f64 v[34:35], vcc, v[2:3], v[4:5], v[2:3]
	v_fma_f64 v[36:37], -v[6:7], v[32:33], 1.0
	v_fmac_f64_e32 v[32:33], v[32:33], v[36:37]
	v_fma_f64 v[36:37], -v[6:7], v[32:33], 1.0
	v_fmac_f64_e32 v[32:33], v[32:33], v[36:37]
	v_mul_f64 v[36:37], v[34:35], v[32:33]
	v_fma_f64 v[6:7], -v[6:7], v[36:37], v[34:35]
	v_div_fmas_f64 v[6:7], v[6:7], v[32:33], v[36:37]
	v_div_fixup_f64 v[2:3], v[6:7], v[4:5], v[2:3]
	ds_write_b64 v17, v[2:3]
	s_waitcnt lgkmcnt(0)
	ds_read_b64 v[4:5], v27
	ds_read_b64 v[6:7], v9
	s_waitcnt lgkmcnt(0)
	v_fmac_f64_e32 v[6:7], v[2:3], v[4:5]
	ds_write_b64 v9, v[6:7]
	s_waitcnt lgkmcnt(0)
	ds_read_b64 v[4:5], v29 offset:48
	ds_read_b64 v[2:3], v17 offset:8
	s_waitcnt lgkmcnt(1)
	v_cmp_neq_f64_e32 vcc, 0, v[4:5]
	s_or_b64 s[22:23], vcc, s[0:1]
	v_cndmask_b32_e32 v5, v30, v5, vcc
	s_xor_b64 s[24:25], s[22:23], -1
	v_cndmask_b32_e32 v4, 0, v4, vcc
	s_and_saveexec_b64 s[22:23], s[24:25]
	s_cbranch_execz .LBB24_64
; %bb.61:                               ;   in Loop: Header=BB24_22 Depth=1
	v_mbcnt_lo_u32_b32 v4, exec_lo, 0
	v_mbcnt_hi_u32_b32 v4, exec_hi, v4
	v_cmp_eq_u32_e32 vcc, 0, v4
	s_and_saveexec_b64 s[24:25], vcc
	s_cbranch_execz .LBB24_63
; %bb.62:                               ;   in Loop: Header=BB24_22 Depth=1
	v_mov_b32_e32 v4, s21
	global_atomic_smin v29, v4, s[14:15]
.LBB24_63:                              ;   in Loop: Header=BB24_22 Depth=1
	s_or_b64 exec, exec, s[24:25]
	v_mov_b32_e32 v4, 0
	v_mov_b32_e32 v5, 0x3ff00000
.LBB24_64:                              ;   in Loop: Header=BB24_22 Depth=1
	s_or_b64 exec, exec, s[22:23]
	ds_read_b64 v[6:7], v17
	ds_read_b64 v[32:33], v29 offset:40
	ds_read_b64 v[34:35], v25 offset:8
	s_waitcnt lgkmcnt(0)
	v_fmac_f64_e32 v[34:35], v[32:33], v[6:7]
	v_add_f64 v[2:3], v[2:3], -v[34:35]
	v_div_scale_f64 v[6:7], s[22:23], v[4:5], v[4:5], v[2:3]
	v_rcp_f64_e32 v[32:33], v[6:7]
	v_div_scale_f64 v[34:35], vcc, v[2:3], v[4:5], v[2:3]
	v_fma_f64 v[36:37], -v[6:7], v[32:33], 1.0
	v_fmac_f64_e32 v[32:33], v[32:33], v[36:37]
	v_fma_f64 v[36:37], -v[6:7], v[32:33], 1.0
	v_fmac_f64_e32 v[32:33], v[32:33], v[36:37]
	v_mul_f64 v[36:37], v[34:35], v[32:33]
	v_fma_f64 v[6:7], -v[6:7], v[36:37], v[34:35]
	v_div_fmas_f64 v[6:7], v[6:7], v[32:33], v[36:37]
	v_div_fixup_f64 v[2:3], v[6:7], v[4:5], v[2:3]
	ds_write_b64 v17, v[2:3] offset:8
	s_waitcnt lgkmcnt(0)
	ds_read_b64 v[4:5], v27 offset:8
	ds_read_b64 v[6:7], v9
	s_waitcnt lgkmcnt(0)
	v_fmac_f64_e32 v[6:7], v[2:3], v[4:5]
	ds_write_b64 v9, v[6:7]
	s_waitcnt lgkmcnt(0)
	ds_read_b64 v[4:5], v29 offset:96
	ds_read_b64 v[2:3], v17 offset:16
	s_waitcnt lgkmcnt(1)
	v_cmp_neq_f64_e32 vcc, 0, v[4:5]
	s_or_b64 s[22:23], vcc, s[0:1]
	v_cndmask_b32_e32 v5, v30, v5, vcc
	s_xor_b64 s[24:25], s[22:23], -1
	v_cndmask_b32_e32 v4, 0, v4, vcc
	s_and_saveexec_b64 s[22:23], s[24:25]
	s_cbranch_execz .LBB24_68
; %bb.65:                               ;   in Loop: Header=BB24_22 Depth=1
	v_mbcnt_lo_u32_b32 v4, exec_lo, 0
	v_mbcnt_hi_u32_b32 v4, exec_hi, v4
	v_cmp_eq_u32_e32 vcc, 0, v4
	s_and_saveexec_b64 s[24:25], vcc
	s_cbranch_execz .LBB24_67
; %bb.66:                               ;   in Loop: Header=BB24_22 Depth=1
	v_mov_b32_e32 v4, s21
	global_atomic_smin v29, v4, s[14:15]
.LBB24_67:                              ;   in Loop: Header=BB24_22 Depth=1
	s_or_b64 exec, exec, s[24:25]
	v_mov_b32_e32 v4, 0
	v_mov_b32_e32 v5, 0x3ff00000
.LBB24_68:                              ;   in Loop: Header=BB24_22 Depth=1
	s_or_b64 exec, exec, s[22:23]
	ds_read_b128 v[32:35], v29 offset:80
	ds_read2_b64 v[36:39], v17 offset1:1
	ds_read_b64 v[6:7], v25 offset:16
	s_waitcnt lgkmcnt(0)
	v_fmac_f64_e32 v[6:7], v[32:33], v[36:37]
	v_fmac_f64_e32 v[6:7], v[34:35], v[38:39]
	v_add_f64 v[2:3], v[2:3], -v[6:7]
	v_div_scale_f64 v[6:7], s[22:23], v[4:5], v[4:5], v[2:3]
	v_rcp_f64_e32 v[32:33], v[6:7]
	v_div_scale_f64 v[34:35], vcc, v[2:3], v[4:5], v[2:3]
	v_fma_f64 v[36:37], -v[6:7], v[32:33], 1.0
	v_fmac_f64_e32 v[32:33], v[32:33], v[36:37]
	v_fma_f64 v[36:37], -v[6:7], v[32:33], 1.0
	v_fmac_f64_e32 v[32:33], v[32:33], v[36:37]
	v_mul_f64 v[36:37], v[34:35], v[32:33]
	v_fma_f64 v[6:7], -v[6:7], v[36:37], v[34:35]
	v_div_fmas_f64 v[6:7], v[6:7], v[32:33], v[36:37]
	v_div_fixup_f64 v[2:3], v[6:7], v[4:5], v[2:3]
	ds_write_b64 v17, v[2:3] offset:16
	s_waitcnt lgkmcnt(0)
	ds_read_b64 v[4:5], v27 offset:16
	ds_read_b64 v[6:7], v9
	s_waitcnt lgkmcnt(0)
	v_fmac_f64_e32 v[6:7], v[2:3], v[4:5]
	ds_write_b64 v9, v[6:7]
	s_waitcnt lgkmcnt(0)
	ds_read_b64 v[4:5], v29 offset:144
	ds_read_b64 v[2:3], v17 offset:24
	s_waitcnt lgkmcnt(1)
	v_cmp_neq_f64_e32 vcc, 0, v[4:5]
	s_or_b64 s[22:23], vcc, s[0:1]
	v_cndmask_b32_e32 v5, v30, v5, vcc
	s_xor_b64 s[24:25], s[22:23], -1
	v_cndmask_b32_e32 v4, 0, v4, vcc
	s_and_saveexec_b64 s[22:23], s[24:25]
	s_cbranch_execz .LBB24_20
; %bb.69:                               ;   in Loop: Header=BB24_22 Depth=1
	v_mbcnt_lo_u32_b32 v4, exec_lo, 0
	v_mbcnt_hi_u32_b32 v4, exec_hi, v4
	v_cmp_eq_u32_e32 vcc, 0, v4
	s_and_saveexec_b64 s[24:25], vcc
	s_cbranch_execz .LBB24_19
; %bb.70:                               ;   in Loop: Header=BB24_22 Depth=1
	v_mov_b32_e32 v4, s21
	global_atomic_smin v29, v4, s[14:15]
	s_branch .LBB24_19
.LBB24_71:
	s_waitcnt lgkmcnt(0)
	s_cmp_eq_u32 s33, 0
	s_cselect_b64 vcc, -1, 0
	v_cndmask_b32_e32 v0, v11, v14, vcc
	v_lshl_add_u32 v0, s30, 4, v0
	v_ashrrev_i32_e32 v1, 31, v0
	v_lshlrev_b64 v[0:1], 3, v[0:1]
	v_mov_b32_e32 v2, s3
	v_add_co_u32_e32 v0, vcc, s2, v0
	v_addc_co_u32_e32 v1, vcc, v2, v1, vcc
	global_load_dwordx2 v[2:3], v[0:1], off
	v_cmp_ne_u32_e32 vcc, 0, v13
	v_cmp_eq_u32_e64 s[0:1], 0, v13
	s_waitcnt vmcnt(0)
	ds_write_b64 v10, v[2:3] offset:320
	s_waitcnt lgkmcnt(0)
	s_and_saveexec_b64 s[2:3], s[0:1]
	s_cbranch_execz .LBB24_73
; %bb.72:
	v_mov_b32_e32 v11, 0
	ds_read2_b64 v[2:5], v11 offset0:40 offset1:60
	s_mov_b32 s4, 0
	s_brev_b32 s5, 8
	s_waitcnt lgkmcnt(0)
	v_add_f64 v[2:3], v[2:3], -v[4:5]
	v_xor_b32_e32 v4, 0x80000000, v3
	v_cmp_gt_f64_e64 s[0:1], 0, v[2:3]
	v_cndmask_b32_e64 v3, v3, v4, s[0:1]
	v_cndmask_b32_e64 v2, v2, v2, s[0:1]
	v_cmp_gt_f64_e64 s[0:1], s[4:5], v[2:3]
	v_cndmask_b32_e64 v4, 0, 1, s[0:1]
	v_lshlrev_b32_e32 v4, 8, v4
	v_ldexp_f64 v[2:3], v[2:3], v4
	v_rsq_f64_e32 v[4:5], v[2:3]
	s_and_b64 s[0:1], s[0:1], exec
	s_cselect_b32 s0, 0xffffff80, 0
	v_mul_f64 v[6:7], v[2:3], v[4:5]
	v_mul_f64 v[4:5], v[4:5], 0.5
	v_fma_f64 v[14:15], -v[4:5], v[6:7], 0.5
	v_fmac_f64_e32 v[6:7], v[6:7], v[14:15]
	v_fmac_f64_e32 v[4:5], v[4:5], v[14:15]
	v_fma_f64 v[14:15], -v[6:7], v[6:7], v[2:3]
	v_fmac_f64_e32 v[6:7], v[14:15], v[4:5]
	v_fma_f64 v[14:15], -v[6:7], v[6:7], v[2:3]
	v_fmac_f64_e32 v[6:7], v[14:15], v[4:5]
	v_ldexp_f64 v[4:5], v[6:7], s0
	v_mov_b32_e32 v6, 0x260
	v_cmp_class_f64_e64 s[0:1], v[2:3], v6
	v_cndmask_b32_e64 v3, v5, v3, s[0:1]
	v_cndmask_b32_e64 v2, v4, v2, s[0:1]
	ds_write_b64 v11, v[2:3] offset:320
.LBB24_73:
	s_or_b64 exec, exec, s[2:3]
	v_mov_b32_e32 v2, 0
	s_waitcnt lgkmcnt(0)
	ds_read_b64 v[2:3], v2 offset:320
	v_cmp_ne_u32_e64 s[0:1], 0, v8
	v_mov_b32_e32 v4, 0x3ff00000
	s_add_i32 s16, s12, s13
	s_waitcnt lgkmcnt(0)
	v_cmp_neq_f64_e64 s[2:3], 0, v[2:3]
	s_or_b64 s[4:5], s[2:3], s[0:1]
	v_cndmask_b32_e64 v3, v4, v3, s[2:3]
	s_xor_b64 s[8:9], s[4:5], -1
	v_cndmask_b32_e64 v2, 0, v2, s[2:3]
	s_and_saveexec_b64 s[4:5], s[8:9]
	s_cbranch_execz .LBB24_77
; %bb.74:
	v_mbcnt_lo_u32_b32 v2, exec_lo, 0
	v_mbcnt_hi_u32_b32 v2, exec_hi, v2
	v_cmp_eq_u32_e64 s[2:3], 0, v2
	s_and_saveexec_b64 s[8:9], s[2:3]
	s_cbranch_execz .LBB24_76
; %bb.75:
	v_mov_b32_e32 v2, 0
	v_mov_b32_e32 v3, s16
	global_atomic_smin v2, v3, s[14:15]
.LBB24_76:
	s_or_b64 exec, exec, s[8:9]
	v_mov_b32_e32 v2, 0
	v_mov_b32_e32 v3, 0x3ff00000
.LBB24_77:
	s_or_b64 exec, exec, s[4:5]
	s_and_saveexec_b64 s[2:3], vcc
	s_cbranch_execz .LBB24_79
; %bb.78:
	v_mul_u32_u24_e32 v11, 40, v13
	ds_read2_b64 v[4:7], v11 offset0:40 offset1:60
	v_mul_u32_u24_e32 v20, 40, v12
	s_waitcnt lgkmcnt(0)
	v_add_f64 v[4:5], v[4:5], -v[6:7]
	v_div_scale_f64 v[6:7], s[4:5], v[2:3], v[2:3], v[4:5]
	v_rcp_f64_e32 v[14:15], v[6:7]
	v_div_scale_f64 v[16:17], vcc, v[4:5], v[2:3], v[4:5]
	v_fma_f64 v[18:19], -v[6:7], v[14:15], 1.0
	v_fmac_f64_e32 v[14:15], v[14:15], v[18:19]
	v_fma_f64 v[18:19], -v[6:7], v[14:15], 1.0
	v_fmac_f64_e32 v[14:15], v[14:15], v[18:19]
	v_mul_f64 v[18:19], v[16:17], v[14:15]
	v_fma_f64 v[6:7], -v[6:7], v[18:19], v[16:17]
	v_div_fmas_f64 v[6:7], v[6:7], v[14:15], v[18:19]
	v_div_fixup_f64 v[2:3], v[6:7], v[2:3], v[4:5]
	ds_write_b64 v11, v[2:3] offset:320
	s_waitcnt lgkmcnt(0)
	ds_read_b64 v[4:5], v20 offset:320
	ds_read_b64 v[6:7], v9
	s_waitcnt lgkmcnt(0)
	v_fmac_f64_e32 v[6:7], v[2:3], v[4:5]
	ds_write_b64 v9, v[6:7]
.LBB24_79:
	s_or_b64 exec, exec, s[2:3]
	v_cmp_eq_u32_e32 vcc, 1, v13
	s_waitcnt lgkmcnt(0)
	s_and_saveexec_b64 s[2:3], vcc
	s_cbranch_execz .LBB24_81
; %bb.80:
	v_mov_b32_e32 v11, 0
	ds_read2_b64 v[2:5], v11 offset0:46 offset1:66
	s_mov_b32 s4, 0
	s_brev_b32 s5, 8
	s_waitcnt lgkmcnt(0)
	v_add_f64 v[2:3], v[2:3], -v[4:5]
	v_xor_b32_e32 v4, 0x80000000, v3
	v_cmp_gt_f64_e32 vcc, 0, v[2:3]
	v_cndmask_b32_e32 v3, v3, v4, vcc
	v_cndmask_b32_e32 v2, v2, v2, vcc
	v_cmp_gt_f64_e32 vcc, s[4:5], v[2:3]
	v_cndmask_b32_e64 v4, 0, 1, vcc
	v_lshlrev_b32_e32 v4, 8, v4
	v_ldexp_f64 v[2:3], v[2:3], v4
	v_rsq_f64_e32 v[4:5], v[2:3]
	s_and_b64 s[4:5], vcc, exec
	s_cselect_b32 s4, 0xffffff80, 0
	v_mul_f64 v[6:7], v[2:3], v[4:5]
	v_mul_f64 v[4:5], v[4:5], 0.5
	v_fma_f64 v[14:15], -v[4:5], v[6:7], 0.5
	v_fmac_f64_e32 v[6:7], v[6:7], v[14:15]
	v_fmac_f64_e32 v[4:5], v[4:5], v[14:15]
	v_fma_f64 v[14:15], -v[6:7], v[6:7], v[2:3]
	v_fmac_f64_e32 v[6:7], v[14:15], v[4:5]
	v_fma_f64 v[14:15], -v[6:7], v[6:7], v[2:3]
	v_fmac_f64_e32 v[6:7], v[14:15], v[4:5]
	v_ldexp_f64 v[4:5], v[6:7], s4
	v_mov_b32_e32 v6, 0x260
	v_cmp_class_f64_e32 vcc, v[2:3], v6
	v_cndmask_b32_e32 v3, v5, v3, vcc
	v_cndmask_b32_e32 v2, v4, v2, vcc
	ds_write_b64 v11, v[2:3] offset:368
.LBB24_81:
	s_or_b64 exec, exec, s[2:3]
	v_mov_b32_e32 v2, 0
	s_waitcnt lgkmcnt(0)
	ds_read_b64 v[2:3], v2 offset:368
	v_mov_b32_e32 v4, 0x3ff00000
	s_waitcnt lgkmcnt(0)
	v_cmp_neq_f64_e32 vcc, 0, v[2:3]
	s_or_b64 s[2:3], vcc, s[0:1]
	v_cndmask_b32_e32 v3, v4, v3, vcc
	s_xor_b64 s[4:5], s[2:3], -1
	v_cndmask_b32_e32 v2, 0, v2, vcc
	s_and_saveexec_b64 s[2:3], s[4:5]
	s_cbranch_execz .LBB24_85
; %bb.82:
	v_mbcnt_lo_u32_b32 v2, exec_lo, 0
	v_mbcnt_hi_u32_b32 v2, exec_hi, v2
	v_cmp_eq_u32_e32 vcc, 0, v2
	s_and_saveexec_b64 s[4:5], vcc
	s_cbranch_execz .LBB24_84
; %bb.83:
	v_mov_b32_e32 v2, 0
	v_mov_b32_e32 v3, s16
	global_atomic_smin v2, v3, s[14:15]
.LBB24_84:
	s_or_b64 exec, exec, s[4:5]
	v_mov_b32_e32 v2, 0
	v_mov_b32_e32 v3, 0x3ff00000
.LBB24_85:
	s_or_b64 exec, exec, s[2:3]
	v_cmp_lt_u32_e32 vcc, 1, v13
	s_and_saveexec_b64 s[2:3], vcc
	s_cbranch_execz .LBB24_87
; %bb.86:
	v_mul_u32_u24_e32 v11, 40, v13
	ds_read2_b64 v[4:7], v11 offset0:41 offset1:61
	v_mul_u32_u24_e32 v20, 40, v12
	s_waitcnt lgkmcnt(0)
	v_add_f64 v[4:5], v[4:5], -v[6:7]
	v_div_scale_f64 v[6:7], s[4:5], v[2:3], v[2:3], v[4:5]
	v_rcp_f64_e32 v[14:15], v[6:7]
	v_div_scale_f64 v[16:17], vcc, v[4:5], v[2:3], v[4:5]
	v_fma_f64 v[18:19], -v[6:7], v[14:15], 1.0
	v_fmac_f64_e32 v[14:15], v[14:15], v[18:19]
	v_fma_f64 v[18:19], -v[6:7], v[14:15], 1.0
	v_fmac_f64_e32 v[14:15], v[14:15], v[18:19]
	v_mul_f64 v[18:19], v[16:17], v[14:15]
	v_fma_f64 v[6:7], -v[6:7], v[18:19], v[16:17]
	v_div_fmas_f64 v[6:7], v[6:7], v[14:15], v[18:19]
	v_div_fixup_f64 v[2:3], v[6:7], v[2:3], v[4:5]
	ds_write_b64 v11, v[2:3] offset:328
	s_waitcnt lgkmcnt(0)
	ds_read_b64 v[4:5], v20 offset:328
	ds_read_b64 v[6:7], v9
	s_waitcnt lgkmcnt(0)
	v_fmac_f64_e32 v[6:7], v[2:3], v[4:5]
	ds_write_b64 v9, v[6:7]
.LBB24_87:
	s_or_b64 exec, exec, s[2:3]
	v_cmp_eq_u32_e32 vcc, 2, v13
	s_waitcnt lgkmcnt(0)
	s_and_saveexec_b64 s[2:3], vcc
	s_cbranch_execz .LBB24_89
; %bb.88:
	v_mov_b32_e32 v11, 0
	ds_read2_b64 v[2:5], v11 offset0:52 offset1:72
	s_mov_b32 s4, 0
	s_brev_b32 s5, 8
	s_waitcnt lgkmcnt(0)
	v_add_f64 v[2:3], v[2:3], -v[4:5]
	v_xor_b32_e32 v4, 0x80000000, v3
	v_cmp_gt_f64_e32 vcc, 0, v[2:3]
	v_cndmask_b32_e32 v3, v3, v4, vcc
	v_cndmask_b32_e32 v2, v2, v2, vcc
	v_cmp_gt_f64_e32 vcc, s[4:5], v[2:3]
	v_cndmask_b32_e64 v4, 0, 1, vcc
	v_lshlrev_b32_e32 v4, 8, v4
	v_ldexp_f64 v[2:3], v[2:3], v4
	v_rsq_f64_e32 v[4:5], v[2:3]
	s_and_b64 s[4:5], vcc, exec
	s_cselect_b32 s4, 0xffffff80, 0
	v_mul_f64 v[6:7], v[2:3], v[4:5]
	v_mul_f64 v[4:5], v[4:5], 0.5
	v_fma_f64 v[14:15], -v[4:5], v[6:7], 0.5
	v_fmac_f64_e32 v[6:7], v[6:7], v[14:15]
	v_fmac_f64_e32 v[4:5], v[4:5], v[14:15]
	v_fma_f64 v[14:15], -v[6:7], v[6:7], v[2:3]
	v_fmac_f64_e32 v[6:7], v[14:15], v[4:5]
	v_fma_f64 v[14:15], -v[6:7], v[6:7], v[2:3]
	v_fmac_f64_e32 v[6:7], v[14:15], v[4:5]
	v_ldexp_f64 v[4:5], v[6:7], s4
	v_mov_b32_e32 v6, 0x260
	v_cmp_class_f64_e32 vcc, v[2:3], v6
	v_cndmask_b32_e32 v3, v5, v3, vcc
	v_cndmask_b32_e32 v2, v4, v2, vcc
	ds_write_b64 v11, v[2:3] offset:416
.LBB24_89:
	s_or_b64 exec, exec, s[2:3]
	v_mov_b32_e32 v2, 0
	s_waitcnt lgkmcnt(0)
	ds_read_b64 v[2:3], v2 offset:416
	v_mov_b32_e32 v4, 0x3ff00000
	s_waitcnt lgkmcnt(0)
	v_cmp_neq_f64_e32 vcc, 0, v[2:3]
	s_or_b64 s[2:3], vcc, s[0:1]
	v_cndmask_b32_e32 v3, v4, v3, vcc
	s_xor_b64 s[4:5], s[2:3], -1
	v_cndmask_b32_e32 v2, 0, v2, vcc
	s_and_saveexec_b64 s[2:3], s[4:5]
	s_cbranch_execz .LBB24_93
; %bb.90:
	v_mbcnt_lo_u32_b32 v2, exec_lo, 0
	v_mbcnt_hi_u32_b32 v2, exec_hi, v2
	v_cmp_eq_u32_e32 vcc, 0, v2
	s_and_saveexec_b64 s[4:5], vcc
	s_cbranch_execz .LBB24_92
; %bb.91:
	v_mov_b32_e32 v2, 0
	v_mov_b32_e32 v3, s16
	global_atomic_smin v2, v3, s[14:15]
.LBB24_92:
	s_or_b64 exec, exec, s[4:5]
	v_mov_b32_e32 v2, 0
	v_mov_b32_e32 v3, 0x3ff00000
.LBB24_93:
	s_or_b64 exec, exec, s[2:3]
	v_cmp_lt_u32_e32 vcc, 2, v13
	s_and_saveexec_b64 s[2:3], vcc
	s_cbranch_execz .LBB24_95
; %bb.94:
	v_mul_u32_u24_e32 v11, 40, v13
	ds_read2_b64 v[4:7], v11 offset0:42 offset1:62
	v_mul_u32_u24_e32 v20, 40, v12
	s_waitcnt lgkmcnt(0)
	v_add_f64 v[4:5], v[4:5], -v[6:7]
	v_div_scale_f64 v[6:7], s[4:5], v[2:3], v[2:3], v[4:5]
	v_rcp_f64_e32 v[14:15], v[6:7]
	v_div_scale_f64 v[16:17], vcc, v[4:5], v[2:3], v[4:5]
	v_fma_f64 v[18:19], -v[6:7], v[14:15], 1.0
	v_fmac_f64_e32 v[14:15], v[14:15], v[18:19]
	v_fma_f64 v[18:19], -v[6:7], v[14:15], 1.0
	v_fmac_f64_e32 v[14:15], v[14:15], v[18:19]
	v_mul_f64 v[18:19], v[16:17], v[14:15]
	v_fma_f64 v[6:7], -v[6:7], v[18:19], v[16:17]
	v_div_fmas_f64 v[6:7], v[6:7], v[14:15], v[18:19]
	v_div_fixup_f64 v[2:3], v[6:7], v[2:3], v[4:5]
	ds_write_b64 v11, v[2:3] offset:336
	s_waitcnt lgkmcnt(0)
	ds_read_b64 v[4:5], v20 offset:336
	ds_read_b64 v[6:7], v9
	s_waitcnt lgkmcnt(0)
	v_fmac_f64_e32 v[6:7], v[2:3], v[4:5]
	ds_write_b64 v9, v[6:7]
.LBB24_95:
	s_or_b64 exec, exec, s[2:3]
	v_cmp_eq_u32_e32 vcc, 3, v13
	s_waitcnt lgkmcnt(0)
	s_and_saveexec_b64 s[2:3], vcc
	s_cbranch_execz .LBB24_97
; %bb.96:
	v_mov_b32_e32 v11, 0
	ds_read2_b64 v[2:5], v11 offset0:58 offset1:78
	s_mov_b32 s4, 0
	s_brev_b32 s5, 8
	s_waitcnt lgkmcnt(0)
	v_add_f64 v[2:3], v[2:3], -v[4:5]
	v_xor_b32_e32 v4, 0x80000000, v3
	v_cmp_gt_f64_e32 vcc, 0, v[2:3]
	v_cndmask_b32_e32 v3, v3, v4, vcc
	v_cndmask_b32_e32 v2, v2, v2, vcc
	v_cmp_gt_f64_e32 vcc, s[4:5], v[2:3]
	v_cndmask_b32_e64 v4, 0, 1, vcc
	v_lshlrev_b32_e32 v4, 8, v4
	v_ldexp_f64 v[2:3], v[2:3], v4
	v_rsq_f64_e32 v[4:5], v[2:3]
	s_and_b64 s[4:5], vcc, exec
	s_cselect_b32 s4, 0xffffff80, 0
	v_mul_f64 v[6:7], v[2:3], v[4:5]
	v_mul_f64 v[4:5], v[4:5], 0.5
	v_fma_f64 v[14:15], -v[4:5], v[6:7], 0.5
	v_fmac_f64_e32 v[6:7], v[6:7], v[14:15]
	v_fmac_f64_e32 v[4:5], v[4:5], v[14:15]
	v_fma_f64 v[14:15], -v[6:7], v[6:7], v[2:3]
	v_fmac_f64_e32 v[6:7], v[14:15], v[4:5]
	v_fma_f64 v[14:15], -v[6:7], v[6:7], v[2:3]
	v_fmac_f64_e32 v[6:7], v[14:15], v[4:5]
	v_ldexp_f64 v[4:5], v[6:7], s4
	v_mov_b32_e32 v6, 0x260
	v_cmp_class_f64_e32 vcc, v[2:3], v6
	v_cndmask_b32_e32 v3, v5, v3, vcc
	v_cndmask_b32_e32 v2, v4, v2, vcc
	ds_write_b64 v11, v[2:3] offset:464
.LBB24_97:
	s_or_b64 exec, exec, s[2:3]
	v_mov_b32_e32 v2, 0
	s_waitcnt lgkmcnt(0)
	ds_read_b64 v[2:3], v2 offset:464
	v_mov_b32_e32 v4, 0x3ff00000
	s_waitcnt lgkmcnt(0)
	v_cmp_neq_f64_e32 vcc, 0, v[2:3]
	s_or_b64 s[0:1], vcc, s[0:1]
	v_cndmask_b32_e32 v3, v4, v3, vcc
	s_xor_b64 s[2:3], s[0:1], -1
	v_cndmask_b32_e32 v2, 0, v2, vcc
	s_and_saveexec_b64 s[0:1], s[2:3]
	s_cbranch_execz .LBB24_101
; %bb.98:
	v_mbcnt_lo_u32_b32 v2, exec_lo, 0
	v_mbcnt_hi_u32_b32 v2, exec_hi, v2
	v_cmp_eq_u32_e32 vcc, 0, v2
	s_and_saveexec_b64 s[2:3], vcc
	s_cbranch_execz .LBB24_100
; %bb.99:
	v_mov_b32_e32 v2, 0
	v_mov_b32_e32 v3, s16
	global_atomic_smin v2, v3, s[14:15]
.LBB24_100:
	s_or_b64 exec, exec, s[2:3]
	v_mov_b32_e32 v2, 0
	v_mov_b32_e32 v3, 0x3ff00000
.LBB24_101:
	s_or_b64 exec, exec, s[0:1]
	v_add_u32_e32 v4, 0x140, v10
	v_cmp_lt_u32_e32 vcc, 3, v13
	s_and_saveexec_b64 s[0:1], vcc
	s_cbranch_execz .LBB24_103
; %bb.102:
	v_mul_u32_u24_e32 v5, 40, v13
	ds_read2_b64 v[14:17], v5 offset0:43 offset1:63
	v_mul_u32_u24_e32 v20, 40, v12
	s_waitcnt lgkmcnt(0)
	v_add_f64 v[6:7], v[14:15], -v[16:17]
	v_div_scale_f64 v[10:11], s[2:3], v[2:3], v[2:3], v[6:7]
	v_rcp_f64_e32 v[14:15], v[10:11]
	v_div_scale_f64 v[16:17], vcc, v[6:7], v[2:3], v[6:7]
	v_fma_f64 v[18:19], -v[10:11], v[14:15], 1.0
	v_fmac_f64_e32 v[14:15], v[14:15], v[18:19]
	v_fma_f64 v[18:19], -v[10:11], v[14:15], 1.0
	v_fmac_f64_e32 v[14:15], v[14:15], v[18:19]
	v_mul_f64 v[18:19], v[16:17], v[14:15]
	v_fma_f64 v[10:11], -v[10:11], v[18:19], v[16:17]
	v_div_fmas_f64 v[10:11], v[10:11], v[14:15], v[18:19]
	v_div_fixup_f64 v[2:3], v[10:11], v[2:3], v[6:7]
	ds_write_b64 v5, v[2:3] offset:344
	s_waitcnt lgkmcnt(0)
	ds_read_b64 v[6:7], v20 offset:344
	ds_read_b64 v[10:11], v9
	s_waitcnt lgkmcnt(0)
	v_fmac_f64_e32 v[10:11], v[2:3], v[6:7]
	ds_write_b64 v9, v[10:11]
.LBB24_103:
	s_or_b64 exec, exec, s[0:1]
	s_waitcnt lgkmcnt(0)
	ds_read_b64 v[2:3], v4
	v_cmp_eq_u32_e64 s[0:1], 0, v8
	s_waitcnt lgkmcnt(0)
	global_store_dwordx2 v[0:1], v[2:3], off
	s_branch .LBB24_109
.LBB24_104:
	v_or_b32_e32 v0, v12, v13
	v_cmp_eq_u32_e32 vcc, 0, v0
	s_and_saveexec_b64 s[2:3], vcc
	s_cbranch_execz .LBB24_108
; %bb.105:
	v_mbcnt_lo_u32_b32 v0, exec_lo, 0
	v_mbcnt_hi_u32_b32 v0, exec_hi, v0
	v_cmp_eq_u32_e32 vcc, 0, v0
	s_and_saveexec_b64 s[4:5], vcc
	s_cbranch_execz .LBB24_107
; %bb.106:
	s_add_i32 s8, s12, s13
	v_mov_b32_e32 v0, 0
	v_mov_b32_e32 v1, s8
	global_atomic_smin v0, v1, s[14:15]
.LBB24_107:
	s_or_b64 exec, exec, s[4:5]
	s_or_b64 s[0:1], s[0:1], exec
.LBB24_108:
	s_or_b64 exec, exec, s[2:3]
.LBB24_109:
	s_and_saveexec_b64 s[2:3], s[0:1]
	s_cbranch_execnz .LBB24_111
; %bb.110:
	s_endpgm
.LBB24_111:
	s_add_u32 s0, s10, s6
	s_addc_u32 s1, s11, s7
	v_mov_b32_e32 v0, 0
	v_mov_b32_e32 v1, 1
	s_waitcnt vmcnt(0)
	global_store_dword v0, v1, s[0:1]
	s_endpgm
	.section	.rodata,"a",@progbits
	.p2align	6, 0x0
	.amdhsa_kernel _ZN9rocsparseL26bsric0_2_8_unrolled_kernelILi16ELi32ELi4EdEEv20rocsparse_direction_iiPKiS3_PT2_S3_PiS3_S6_21rocsparse_index_base_
		.amdhsa_group_segment_fixed_size 1024
		.amdhsa_private_segment_fixed_size 0
		.amdhsa_kernarg_size 76
		.amdhsa_user_sgpr_count 6
		.amdhsa_user_sgpr_private_segment_buffer 1
		.amdhsa_user_sgpr_dispatch_ptr 0
		.amdhsa_user_sgpr_queue_ptr 0
		.amdhsa_user_sgpr_kernarg_segment_ptr 1
		.amdhsa_user_sgpr_dispatch_id 0
		.amdhsa_user_sgpr_flat_scratch_init 0
		.amdhsa_user_sgpr_kernarg_preload_length 0
		.amdhsa_user_sgpr_kernarg_preload_offset 0
		.amdhsa_user_sgpr_private_segment_size 0
		.amdhsa_uses_dynamic_stack 0
		.amdhsa_system_sgpr_private_segment_wavefront_offset 0
		.amdhsa_system_sgpr_workgroup_id_x 1
		.amdhsa_system_sgpr_workgroup_id_y 0
		.amdhsa_system_sgpr_workgroup_id_z 0
		.amdhsa_system_sgpr_workgroup_info 0
		.amdhsa_system_vgpr_workitem_id 1
		.amdhsa_next_free_vgpr 72
		.amdhsa_next_free_sgpr 40
		.amdhsa_accum_offset 72
		.amdhsa_reserve_vcc 1
		.amdhsa_reserve_flat_scratch 0
		.amdhsa_float_round_mode_32 0
		.amdhsa_float_round_mode_16_64 0
		.amdhsa_float_denorm_mode_32 3
		.amdhsa_float_denorm_mode_16_64 3
		.amdhsa_dx10_clamp 1
		.amdhsa_ieee_mode 1
		.amdhsa_fp16_overflow 0
		.amdhsa_tg_split 0
		.amdhsa_exception_fp_ieee_invalid_op 0
		.amdhsa_exception_fp_denorm_src 0
		.amdhsa_exception_fp_ieee_div_zero 0
		.amdhsa_exception_fp_ieee_overflow 0
		.amdhsa_exception_fp_ieee_underflow 0
		.amdhsa_exception_fp_ieee_inexact 0
		.amdhsa_exception_int_div_zero 0
	.end_amdhsa_kernel
	.section	.text._ZN9rocsparseL26bsric0_2_8_unrolled_kernelILi16ELi32ELi4EdEEv20rocsparse_direction_iiPKiS3_PT2_S3_PiS3_S6_21rocsparse_index_base_,"axG",@progbits,_ZN9rocsparseL26bsric0_2_8_unrolled_kernelILi16ELi32ELi4EdEEv20rocsparse_direction_iiPKiS3_PT2_S3_PiS3_S6_21rocsparse_index_base_,comdat
.Lfunc_end24:
	.size	_ZN9rocsparseL26bsric0_2_8_unrolled_kernelILi16ELi32ELi4EdEEv20rocsparse_direction_iiPKiS3_PT2_S3_PiS3_S6_21rocsparse_index_base_, .Lfunc_end24-_ZN9rocsparseL26bsric0_2_8_unrolled_kernelILi16ELi32ELi4EdEEv20rocsparse_direction_iiPKiS3_PT2_S3_PiS3_S6_21rocsparse_index_base_
                                        ; -- End function
	.section	.AMDGPU.csdata,"",@progbits
; Kernel info:
; codeLenInByte = 7192
; NumSgprs: 44
; NumVgprs: 72
; NumAgprs: 0
; TotalNumVgprs: 72
; ScratchSize: 0
; MemoryBound: 1
; FloatMode: 240
; IeeeMode: 1
; LDSByteSize: 1024 bytes/workgroup (compile time only)
; SGPRBlocks: 5
; VGPRBlocks: 8
; NumSGPRsForWavesPerEU: 44
; NumVGPRsForWavesPerEU: 72
; AccumOffset: 72
; Occupancy: 7
; WaveLimiterHint : 1
; COMPUTE_PGM_RSRC2:SCRATCH_EN: 0
; COMPUTE_PGM_RSRC2:USER_SGPR: 6
; COMPUTE_PGM_RSRC2:TRAP_HANDLER: 0
; COMPUTE_PGM_RSRC2:TGID_X_EN: 1
; COMPUTE_PGM_RSRC2:TGID_Y_EN: 0
; COMPUTE_PGM_RSRC2:TGID_Z_EN: 0
; COMPUTE_PGM_RSRC2:TIDIG_COMP_CNT: 1
; COMPUTE_PGM_RSRC3_GFX90A:ACCUM_OFFSET: 17
; COMPUTE_PGM_RSRC3_GFX90A:TG_SPLIT: 0
	.section	.text._ZN9rocsparseL26bsric0_2_8_unrolled_kernelILi25ELi32ELi5EdEEv20rocsparse_direction_iiPKiS3_PT2_S3_PiS3_S6_21rocsparse_index_base_,"axG",@progbits,_ZN9rocsparseL26bsric0_2_8_unrolled_kernelILi25ELi32ELi5EdEEv20rocsparse_direction_iiPKiS3_PT2_S3_PiS3_S6_21rocsparse_index_base_,comdat
	.globl	_ZN9rocsparseL26bsric0_2_8_unrolled_kernelILi25ELi32ELi5EdEEv20rocsparse_direction_iiPKiS3_PT2_S3_PiS3_S6_21rocsparse_index_base_ ; -- Begin function _ZN9rocsparseL26bsric0_2_8_unrolled_kernelILi25ELi32ELi5EdEEv20rocsparse_direction_iiPKiS3_PT2_S3_PiS3_S6_21rocsparse_index_base_
	.p2align	8
	.type	_ZN9rocsparseL26bsric0_2_8_unrolled_kernelILi25ELi32ELi5EdEEv20rocsparse_direction_iiPKiS3_PT2_S3_PiS3_S6_21rocsparse_index_base_,@function
_ZN9rocsparseL26bsric0_2_8_unrolled_kernelILi25ELi32ELi5EdEEv20rocsparse_direction_iiPKiS3_PT2_S3_PiS3_S6_21rocsparse_index_base_: ; @_ZN9rocsparseL26bsric0_2_8_unrolled_kernelILi25ELi32ELi5EdEEv20rocsparse_direction_iiPKiS3_PT2_S3_PiS3_S6_21rocsparse_index_base_
; %bb.0:
	s_load_dwordx8 s[8:15], s[4:5], 0x28
	s_mov_b32 s7, 0
	s_lshl_b64 s[0:1], s[6:7], 2
	v_and_b32_e32 v12, 0x3ff, v0
	v_bfe_u32 v13, v0, 10, 10
	s_waitcnt lgkmcnt(0)
	s_add_u32 s0, s12, s0
	s_addc_u32 s1, s13, s1
	s_load_dword s12, s[0:1], 0x0
	s_waitcnt lgkmcnt(0)
	s_ashr_i32 s13, s12, 31
	s_lshl_b64 s[6:7], s[12:13], 2
	s_add_u32 s0, s8, s6
	s_addc_u32 s1, s9, s7
	s_load_dword s30, s[0:1], 0x0
	s_load_dword s13, s[4:5], 0x48
	s_waitcnt lgkmcnt(0)
	s_cmp_lg_u32 s30, -1
	s_cbranch_scc0 .LBB25_107
; %bb.1:
	s_load_dwordx4 s[16:19], s[4:5], 0x10
	s_load_dwordx2 s[20:21], s[4:5], 0x20
	v_mad_u32_u24 v14, v13, 5, v12
	v_mul_u32_u24_e32 v17, 5, v13
	s_waitcnt lgkmcnt(0)
	s_add_u32 s0, s16, s6
	s_addc_u32 s1, s17, s7
	s_load_dword s26, s[0:1], 0x0
	s_waitcnt lgkmcnt(0)
	s_sub_i32 s31, s26, s13
	v_add_u32_e32 v0, s31, v14
	v_cmp_ge_i32_e32 vcc, s30, v0
	s_and_saveexec_b64 s[2:3], vcc
	s_cbranch_execz .LBB25_14
; %bb.2:
	v_add_u32_e32 v1, s26, v12
	v_add_u32_e32 v2, v1, v17
	v_subrev_u32_e32 v2, s13, v2
	v_add_u32_e32 v2, 25, v2
	s_add_i32 s0, s30, 1
	v_max_i32_e32 v2, s0, v2
	v_add_u32_e32 v2, s13, v2
	v_sub_u32_e32 v1, v2, v1
	v_subrev_u32_e32 v1, 25, v1
	v_cmp_ne_u32_e32 vcc, v1, v17
	v_addc_co_u32_e64 v2, s[0:1], 0, v17, vcc
	v_sub_u32_e32 v1, v1, v2
	s_mov_b32 s0, 0x51eb851f
	v_mul_hi_u32 v1, v1, s0
	v_lshrrev_b32_e32 v1, 3, v1
	v_addc_co_u32_e32 v15, vcc, 0, v1, vcc
	v_cmp_ne_u32_e32 vcc, 0, v15
	s_mov_b64 s[22:23], -1
	s_and_saveexec_b64 s[0:1], vcc
	s_cbranch_execz .LBB25_11
; %bb.3:
	v_add_u32_e32 v2, -1, v15
	v_add_u32_e32 v1, 25, v0
	v_lshrrev_b32_e32 v2, 1, v2
	v_add_u32_e32 v16, 1, v2
	v_cmp_lt_u32_e32 vcc, 14, v15
	v_pk_mov_b32 v[2:3], v[0:1], v[0:1] op_sel:[0,1]
	s_and_saveexec_b64 s[22:23], vcc
	s_cbranch_execz .LBB25_7
; %bb.4:
	v_and_b32_e32 v18, -8, v16
	s_mov_b64 s[24:25], 0
	v_mov_b32_e32 v19, s19
	v_pk_mov_b32 v[2:3], v[0:1], v[0:1] op_sel:[0,1]
.LBB25_5:                               ; =>This Inner Loop Header: Depth=1
	v_ashrrev_i32_e32 v23, 31, v2
	v_mov_b32_e32 v22, v2
	v_lshlrev_b64 v[22:23], 2, v[22:23]
	v_ashrrev_i32_e32 v21, 31, v3
	v_mov_b32_e32 v20, v3
	v_add_co_u32_e32 v22, vcc, s18, v22
	v_add_u32_e32 v4, 50, v2
	v_lshlrev_b64 v[20:21], 2, v[20:21]
	v_addc_co_u32_e32 v23, vcc, v19, v23, vcc
	v_ashrrev_i32_e32 v5, 31, v4
	v_add_co_u32_e32 v20, vcc, s18, v20
	v_add_u32_e32 v6, 50, v3
	v_addc_co_u32_e32 v21, vcc, v19, v21, vcc
	v_lshlrev_b64 v[42:43], 2, v[4:5]
	v_ashrrev_i32_e32 v7, 31, v6
	v_add_co_u32_e32 v42, vcc, s18, v42
	v_add_u32_e32 v8, 0x64, v2
	v_lshlrev_b64 v[44:45], 2, v[6:7]
	v_addc_co_u32_e32 v43, vcc, v19, v43, vcc
	v_ashrrev_i32_e32 v9, 31, v8
	v_add_co_u32_e32 v44, vcc, s18, v44
	v_add_u32_e32 v10, 0x64, v3
	v_lshlrev_b64 v[46:47], 2, v[8:9]
	v_addc_co_u32_e32 v45, vcc, v19, v45, vcc
	;; [unrolled: 5-line block ×11, first 2 shown]
	v_ashrrev_i32_e32 v41, 31, v40
	v_add_co_u32_e32 v64, vcc, s18, v64
	v_addc_co_u32_e32 v65, vcc, v19, v65, vcc
	v_lshlrev_b64 v[66:67], 2, v[40:41]
	v_add_u32_e32 v68, 0x15e, v3
	v_add_co_u32_e32 v66, vcc, s18, v66
	v_ashrrev_i32_e32 v69, 31, v68
	v_addc_co_u32_e32 v67, vcc, v19, v67, vcc
	v_lshlrev_b64 v[70:71], 2, v[68:69]
	v_add_co_u32_e32 v70, vcc, s18, v70
	v_addc_co_u32_e32 v71, vcc, v19, v71, vcc
	global_load_dword v1, v[20:21], off
	global_load_dword v5, v[22:23], off
	;; [unrolled: 1-line block ×15, first 2 shown]
                                        ; kill: killed $vgpr64 killed $vgpr65
                                        ; kill: killed $vgpr62 killed $vgpr63
                                        ; kill: killed $vgpr60 killed $vgpr61
                                        ; kill: killed $vgpr20 killed $vgpr21
                                        ; kill: killed $vgpr56 killed $vgpr57
                                        ; kill: killed $vgpr58 killed $vgpr59
                                        ; kill: killed $vgpr22 killed $vgpr23
                                        ; kill: killed $vgpr52 killed $vgpr53
                                        ; kill: killed $vgpr54 killed $vgpr55
                                        ; kill: killed $vgpr48 killed $vgpr49
                                        ; kill: killed $vgpr50 killed $vgpr51
                                        ; kill: killed $vgpr44 killed $vgpr45
                                        ; kill: killed $vgpr46 killed $vgpr47
                                        ; kill: killed $vgpr70 killed $vgpr71
                                        ; kill: killed $vgpr42 killed $vgpr43
	global_load_dword v20, v[66:67], off
	v_subrev_u32_e32 v22, s31, v2
	v_add_u32_e32 v18, -8, v18
	v_subrev_u32_e32 v21, s31, v3
	v_lshlrev_b32_e32 v22, 2, v22
	v_subrev_u32_e32 v4, s31, v4
	v_cmp_eq_u32_e32 vcc, 0, v18
	v_add_u32_e32 v3, 0x190, v3
	v_add_u32_e32 v2, 0x190, v2
	v_lshlrev_b32_e32 v21, 2, v21
	v_subrev_u32_e32 v6, s31, v6
	v_subrev_u32_e32 v10, s31, v10
	;; [unrolled: 1-line block ×13, first 2 shown]
	v_lshlrev_b32_e32 v4, 2, v4
	s_or_b64 s[24:25], vcc, s[24:25]
	v_lshlrev_b32_e32 v6, 2, v6
	v_lshlrev_b32_e32 v8, 2, v8
	;; [unrolled: 1-line block ×13, first 2 shown]
	s_waitcnt vmcnt(15)
	v_subrev_u32_e32 v1, s13, v1
	s_waitcnt vmcnt(14)
	v_subrev_u32_e32 v5, s13, v5
	ds_write_b32 v22, v5 offset:1216
	ds_write_b32 v21, v1 offset:1216
	s_waitcnt vmcnt(12)
	v_subrev_u32_e32 v5, s13, v9
	v_subrev_u32_e32 v1, s13, v7
	s_waitcnt vmcnt(11)
	v_subrev_u32_e32 v7, s13, v11
	s_waitcnt vmcnt(10)
	;; [unrolled: 2-line block ×12, first 2 shown]
	v_subrev_u32_e32 v20, s13, v20
	ds_write_b32 v4, v5 offset:1216
	ds_write_b32 v6, v1 offset:1216
	;; [unrolled: 1-line block ×14, first 2 shown]
	s_andn2_b64 exec, exec, s[24:25]
	s_cbranch_execnz .LBB25_5
; %bb.6:
	s_or_b64 exec, exec, s[24:25]
.LBB25_7:
	s_or_b64 exec, exec, s[22:23]
	v_and_b32_e32 v1, 7, v16
	v_cmp_ne_u32_e32 vcc, 0, v1
	s_and_saveexec_b64 s[22:23], vcc
	s_cbranch_execz .LBB25_10
; %bb.8:
	v_sub_u32_e32 v1, 0, v1
	s_mov_b64 s[24:25], 0
	v_mov_b32_e32 v4, s19
.LBB25_9:                               ; =>This Inner Loop Header: Depth=1
	v_ashrrev_i32_e32 v9, 31, v2
	v_mov_b32_e32 v8, v2
	v_lshlrev_b64 v[8:9], 2, v[8:9]
	v_ashrrev_i32_e32 v7, 31, v3
	v_mov_b32_e32 v6, v3
	v_add_co_u32_e32 v8, vcc, s18, v8
	v_lshlrev_b64 v[6:7], 2, v[6:7]
	v_addc_co_u32_e32 v9, vcc, v4, v9, vcc
	v_add_co_u32_e32 v6, vcc, s18, v6
	v_addc_co_u32_e32 v7, vcc, v4, v7, vcc
	global_load_dword v5, v[6:7], off
	global_load_dword v10, v[8:9], off
	v_subrev_u32_e32 v7, s31, v2
	v_add_co_u32_e32 v1, vcc, 1, v1
	v_subrev_u32_e32 v6, s31, v3
	v_add_u32_e32 v3, 50, v3
	v_add_u32_e32 v2, 50, v2
	v_lshlrev_b32_e32 v7, 2, v7
	s_or_b64 s[24:25], vcc, s[24:25]
	v_lshlrev_b32_e32 v6, 2, v6
	s_waitcnt vmcnt(1)
	v_subrev_u32_e32 v5, s13, v5
	s_waitcnt vmcnt(0)
	v_subrev_u32_e32 v8, s13, v10
	ds_write_b32 v7, v8 offset:1216
	ds_write_b32 v6, v5 offset:1216
	s_andn2_b64 exec, exec, s[24:25]
	s_cbranch_execnz .LBB25_9
.LBB25_10:
	s_or_b64 exec, exec, s[22:23]
	v_add_u32_e32 v2, 1, v15
	v_and_b32_e32 v3, 0x3ffffffe, v2
	v_mad_u64_u32 v[0:1], s[22:23], v3, 25, v[0:1]
	v_cmp_ne_u32_e32 vcc, v2, v3
	s_orn2_b64 s[22:23], vcc, exec
.LBB25_11:
	s_or_b64 exec, exec, s[0:1]
	s_and_b64 exec, exec, s[22:23]
	s_cbranch_execz .LBB25_14
; %bb.12:
	v_add_u32_e32 v1, s13, v0
	v_subrev_u32_e32 v1, s26, v1
	v_mov_b32_e32 v2, 0x4c0
	v_lshl_add_u32 v4, v1, 2, v2
	v_ashrrev_i32_e32 v1, 31, v0
	v_lshlrev_b64 v[2:3], 2, v[0:1]
	v_mov_b32_e32 v1, s19
	v_add_co_u32_e32 v2, vcc, s18, v2
	v_addc_co_u32_e32 v3, vcc, v1, v3, vcc
	s_mov_b64 s[0:1], 0
.LBB25_13:                              ; =>This Inner Loop Header: Depth=1
	global_load_dword v1, v[2:3], off
	v_add_co_u32_e32 v2, vcc, 0x64, v2
	v_add_u32_e32 v0, 25, v0
	v_addc_co_u32_e32 v3, vcc, 0, v3, vcc
	v_cmp_lt_i32_e32 vcc, s30, v0
	s_or_b64 s[0:1], vcc, s[0:1]
	s_waitcnt vmcnt(0)
	v_subrev_u32_e32 v1, s13, v1
	ds_write_b32 v4, v1
	v_add_u32_e32 v4, 0x64, v4
	s_andn2_b64 exec, exec, s[0:1]
	s_cbranch_execnz .LBB25_13
.LBB25_14:
	s_or_b64 exec, exec, s[2:3]
	s_load_dword s33, s[4:5], 0x0
	v_lshlrev_b32_e32 v2, 3, v12
	v_mad_u32_u24 v16, v13, 48, v2
	v_mov_b32_e32 v0, 0
	v_add_u32_e32 v15, 0x2d0, v16
	v_mov_b32_e32 v1, v0
	s_cmp_ge_i32 s31, s30
	v_mad_u32_u24 v3, v12, 5, v13
	ds_write_b64 v16, v[0:1] offset:720
	s_waitcnt lgkmcnt(0)
	s_cbranch_scc1 .LBB25_60
; %bb.15:
	v_mov_b32_e32 v5, 0x1e0
	v_mov_b32_e32 v6, 0xf0
	s_cmp_eq_u32 s33, 0
	v_mad_u32_u24 v18, v13, 48, v5
	v_mad_u32_u24 v20, v13, 48, v6
	;; [unrolled: 1-line block ×3, first 2 shown]
	s_cselect_b64 vcc, -1, 0
	s_cmp_lg_u32 s33, 0
	v_add_u32_e32 v19, v18, v2
	v_add_u32_e32 v21, v20, v2
	v_or_b32_e32 v2, v12, v13
	s_cselect_b64 s[2:3], -1, 0
	v_mul_u32_u24_e32 v1, 5, v12
	v_cmp_ne_u32_e64 s[0:1], 0, v2
	v_mad_u32_u24 v22, v12, 48, v5
	v_cndmask_b32_e32 v2, v4, v14, vcc
	v_mov_b32_e32 v23, 0x3ff00000
	s_mov_b32 s4, s31
	s_branch .LBB25_19
.LBB25_16:                              ;   in Loop: Header=BB25_19 Depth=1
	s_or_b64 exec, exec, s[24:25]
	v_mov_b32_e32 v8, 0
	v_mov_b32_e32 v9, 0x3ff00000
.LBB25_17:                              ;   in Loop: Header=BB25_19 Depth=1
	s_or_b64 exec, exec, s[22:23]
	ds_read_b128 v[24:27], v0 offset:192
	ds_read_b64 v[10:11], v20 offset:32
	ds_read_b128 v[28:31], v18
	ds_read_b128 v[32:35], v0 offset:208
	ds_read_b128 v[36:39], v18 offset:16
	s_add_i32 s4, s4, 1
	s_cmp_ge_i32 s4, s30
	s_waitcnt lgkmcnt(2)
	v_fmac_f64_e32 v[10:11], v[24:25], v[28:29]
	v_fmac_f64_e32 v[10:11], v[26:27], v[30:31]
	s_waitcnt lgkmcnt(0)
	v_fmac_f64_e32 v[10:11], v[32:33], v[36:37]
	v_fmac_f64_e32 v[10:11], v[34:35], v[38:39]
	v_add_f64 v[6:7], v[6:7], -v[10:11]
	v_div_scale_f64 v[10:11], s[22:23], v[8:9], v[8:9], v[6:7]
	v_rcp_f64_e32 v[24:25], v[10:11]
	v_div_scale_f64 v[26:27], vcc, v[6:7], v[8:9], v[6:7]
	s_cselect_b64 s[26:27], -1, 0
	v_fma_f64 v[28:29], -v[10:11], v[24:25], 1.0
	v_fmac_f64_e32 v[24:25], v[24:25], v[28:29]
	v_fma_f64 v[28:29], -v[10:11], v[24:25], 1.0
	v_fmac_f64_e32 v[24:25], v[24:25], v[28:29]
	v_mul_f64 v[28:29], v[26:27], v[24:25]
	v_fma_f64 v[10:11], -v[10:11], v[28:29], v[26:27]
	v_div_fmas_f64 v[10:11], v[10:11], v[24:25], v[28:29]
	v_div_fixup_f64 v[6:7], v[10:11], v[8:9], v[6:7]
	ds_write_b64 v18, v[6:7] offset:32
	s_waitcnt lgkmcnt(0)
	ds_read_b64 v[8:9], v22 offset:32
	ds_read_b64 v[10:11], v15
	s_waitcnt lgkmcnt(0)
	v_fmac_f64_e32 v[10:11], v[6:7], v[8:9]
	ds_write_b64 v15, v[10:11]
	s_waitcnt lgkmcnt(0)
	ds_read_b64 v[6:7], v19
	s_waitcnt lgkmcnt(0)
	global_store_dwordx2 v[4:5], v[6:7], off
	s_waitcnt vmcnt(0)
	buffer_wbinvl1_vol
.LBB25_18:                              ;   in Loop: Header=BB25_19 Depth=1
	s_and_b64 vcc, exec, s[26:27]
	s_cbranch_vccnz .LBB25_60
.LBB25_19:                              ; =>This Loop Header: Depth=1
                                        ;     Child Loop BB25_22 Depth 2
                                        ;     Child Loop BB25_33 Depth 2
	s_ashr_i32 s5, s4, 31
	s_lshl_b64 s[22:23], s[4:5], 2
	s_add_u32 s22, s18, s22
	s_addc_u32 s23, s19, s23
	s_load_dword s5, s[22:23], 0x0
	s_waitcnt lgkmcnt(0)
	s_sub_i32 s24, s5, s13
	s_ashr_i32 s25, s24, 31
	s_lshl_b64 s[22:23], s[24:25], 2
	s_add_u32 s26, s8, s22
	s_addc_u32 s27, s9, s23
	s_load_dword s25, s[26:27], 0x0
	s_mov_b64 s[26:27], -1
	s_waitcnt lgkmcnt(0)
	s_cmp_eq_u32 s25, -1
	s_cbranch_scc1 .LBB25_18
; %bb.20:                               ;   in Loop: Header=BB25_19 Depth=1
	v_mad_u64_u32 v[4:5], s[26:27], s4, 25, v[2:3]
	v_ashrrev_i32_e32 v5, 31, v4
	v_lshlrev_b64 v[4:5], 3, v[4:5]
	v_mov_b32_e32 v6, s21
	v_add_co_u32_e32 v4, vcc, s20, v4
	v_addc_co_u32_e32 v5, vcc, v6, v5, vcc
	global_load_dwordx2 v[6:7], v[4:5], off
	s_add_u32 s26, s16, s22
	s_addc_u32 s27, s17, s23
	s_load_dword s26, s[26:27], 0x0
	ds_read_b32 v8, v0 offset:1216
	s_mov_b32 s27, 0
	s_waitcnt lgkmcnt(0)
	s_sub_i32 s26, s26, s13
	s_cmp_le_i32 s26, s25
	v_cmp_ge_i32_e32 vcc, s24, v8
	s_cselect_b64 s[28:29], -1, 0
	s_and_b64 s[28:29], s[28:29], vcc
	s_andn2_b64 vcc, exec, s[28:29]
	s_waitcnt vmcnt(0)
	ds_write_b64 v19, v[6:7]
	s_cbranch_vccnz .LBB25_32
; %bb.21:                               ;   in Loop: Header=BB25_19 Depth=1
	s_mov_b32 s34, 0
	s_mov_b32 s35, 0
.LBB25_22:                              ;   Parent Loop BB25_19 Depth=1
                                        ; =>  This Inner Loop Header: Depth=2
	s_ashr_i32 s27, s26, 31
	s_lshl_b64 s[28:29], s[26:27], 2
	s_add_u32 s28, s18, s28
	s_addc_u32 s29, s19, s29
	s_load_dword s27, s[28:29], 0x0
	s_lshl_b32 s28, s35, 2
	v_mov_b32_e32 v6, s28
	ds_read_b32 v6, v6 offset:1216
	s_mov_b64 s[28:29], -1
	s_waitcnt lgkmcnt(0)
	s_sub_i32 s39, s27, s13
                                        ; implicit-def: $sgpr27
                                        ; implicit-def: $sgpr38
                                        ; implicit-def: $sgpr37
	v_cmp_ge_i32_e32 vcc, s39, v6
	v_readfirstlane_b32 s36, v6
	s_cbranch_vccz .LBB25_28
; %bb.23:                               ;   in Loop: Header=BB25_22 Depth=2
	s_cmp_le_i32 s39, s36
                                        ; implicit-def: $sgpr27
                                        ; implicit-def: $sgpr38
                                        ; implicit-def: $sgpr37
	s_cbranch_scc0 .LBB25_25
; %bb.24:                               ;   in Loop: Header=BB25_22 Depth=2
	s_add_i32 s27, s35, s31
	s_mul_i32 s27, s27, 25
	s_lshl_b32 s28, s34, 2
	v_mov_b32_e32 v6, s28
	v_mov_b32_e32 v7, s27
	s_mul_i32 s27, s26, 25
	v_mov_b32_e32 v8, s27
	v_add_u32_e32 v6, 0x200, v6
	ds_write2_b32 v6, v8, v7 offset0:112 offset1:144
	s_add_i32 s37, s35, 1
	s_add_i32 s38, s26, 1
	;; [unrolled: 1-line block ×3, first 2 shown]
	s_mov_b64 s[28:29], 0
.LBB25_25:                              ;   in Loop: Header=BB25_22 Depth=2
	s_andn2_b64 vcc, exec, s[28:29]
	s_cbranch_vccnz .LBB25_27
; %bb.26:                               ;   in Loop: Header=BB25_22 Depth=2
	s_add_i32 s37, s35, 1
	s_mov_b32 s27, s34
	s_mov_b32 s38, s26
.LBB25_27:                              ;   in Loop: Header=BB25_22 Depth=2
	s_mov_b64 s[28:29], 0
.LBB25_28:                              ;   in Loop: Header=BB25_22 Depth=2
	s_andn2_b64 vcc, exec, s[28:29]
	s_cbranch_vccnz .LBB25_30
; %bb.29:                               ;   in Loop: Header=BB25_22 Depth=2
	s_add_i32 s38, s26, 1
	s_mov_b32 s37, s35
	s_mov_b32 s27, s34
.LBB25_30:                              ;   in Loop: Header=BB25_22 Depth=2
	s_cmp_le_i32 s38, s25
	s_cselect_b64 s[28:29], -1, 0
	s_cmp_le_i32 s36, s24
	s_cselect_b64 s[34:35], -1, 0
	s_and_b64 s[28:29], s[28:29], s[34:35]
	s_and_b64 vcc, exec, s[28:29]
	s_cbranch_vccz .LBB25_32
; %bb.31:                               ;   in Loop: Header=BB25_22 Depth=2
	s_mov_b32 s34, s27
	s_mov_b32 s26, s38
	;; [unrolled: 1-line block ×3, first 2 shown]
	s_branch .LBB25_22
.LBB25_32:                              ;   in Loop: Header=BB25_19 Depth=1
	s_add_u32 s22, s10, s22
	s_addc_u32 s23, s11, s23
	s_waitcnt lgkmcnt(0)
.LBB25_33:                              ;   Parent Loop BB25_19 Depth=1
                                        ; =>  This Inner Loop Header: Depth=2
	global_load_dword v6, v0, s[22:23] glc
	s_waitcnt vmcnt(0)
	v_cmp_eq_u32_e32 vcc, 0, v6
	s_cbranch_vccnz .LBB25_33
; %bb.34:                               ;   in Loop: Header=BB25_19 Depth=1
	v_mad_u64_u32 v[6:7], s[22:23], s25, 25, v[2:3]
	v_ashrrev_i32_e32 v7, 31, v6
	v_lshlrev_b64 v[6:7], 3, v[6:7]
	v_mov_b32_e32 v8, s21
	v_add_co_u32_e32 v6, vcc, s20, v6
	v_addc_co_u32_e32 v7, vcc, v8, v7, vcc
	buffer_wbinvl1_vol
	global_load_dwordx2 v[6:7], v[6:7], off
	s_cmp_lt_i32 s27, 2
	v_pk_mov_b32 v[10:11], 0, 0
	s_waitcnt vmcnt(0)
	ds_write_b64 v16, v[6:7]
	s_waitcnt lgkmcnt(0)
	s_cbranch_scc1 .LBB25_41
; %bb.35:                               ;   in Loop: Header=BB25_19 Depth=1
	s_add_i32 s24, s27, -1
	s_movk_i32 s25, 0x3c0
	v_pk_mov_b32 v[6:7], 0, 0
	v_mov_b32_e32 v8, s25
	ds_read2_b32 v[8:9], v8 offset1:32
	s_and_b64 vcc, exec, s[2:3]
	s_cbranch_vccz .LBB25_37
.LBB25_36:                              ;   in Loop: Header=BB25_19 Depth=1
	s_waitcnt lgkmcnt(0)
	v_add_u32_e32 v10, v8, v12
	v_ashrrev_i32_e32 v11, 31, v10
	v_lshlrev_b64 v[24:25], 3, v[10:11]
	v_add_u32_e32 v26, v9, v13
	v_mov_b32_e32 v50, s21
	v_add_co_u32_e32 v24, vcc, s20, v24
	v_ashrrev_i32_e32 v27, 31, v26
	v_addc_co_u32_e32 v25, vcc, v50, v25, vcc
	v_lshlrev_b64 v[28:29], 3, v[26:27]
	v_add_u32_e32 v30, 5, v10
	v_add_co_u32_e32 v28, vcc, s20, v28
	v_ashrrev_i32_e32 v31, 31, v30
	v_addc_co_u32_e32 v29, vcc, v50, v29, vcc
	v_lshlrev_b64 v[30:31], 3, v[30:31]
	v_add_u32_e32 v32, 5, v26
	v_add_co_u32_e32 v30, vcc, s20, v30
	v_ashrrev_i32_e32 v33, 31, v32
	v_addc_co_u32_e32 v31, vcc, v50, v31, vcc
	v_lshlrev_b64 v[32:33], 3, v[32:33]
	v_add_co_u32_e32 v32, vcc, s20, v32
	v_addc_co_u32_e32 v33, vcc, v50, v33, vcc
	global_load_dwordx2 v[34:35], v[24:25], off
	global_load_dwordx2 v[36:37], v[28:29], off
	global_load_dwordx2 v[38:39], v[30:31], off
	global_load_dwordx2 v[40:41], v[32:33], off
	v_add_u32_e32 v24, 10, v10
	v_ashrrev_i32_e32 v25, 31, v24
	v_lshlrev_b64 v[24:25], 3, v[24:25]
	v_add_u32_e32 v28, 10, v26
	v_add_co_u32_e32 v24, vcc, s20, v24
	v_ashrrev_i32_e32 v29, 31, v28
	v_addc_co_u32_e32 v25, vcc, v50, v25, vcc
	v_lshlrev_b64 v[28:29], 3, v[28:29]
	v_add_u32_e32 v30, 15, v10
	v_add_co_u32_e32 v28, vcc, s20, v28
	v_ashrrev_i32_e32 v31, 31, v30
	v_addc_co_u32_e32 v29, vcc, v50, v29, vcc
	;; [unrolled: 5-line block ×4, first 2 shown]
	global_load_dwordx2 v[42:43], v[24:25], off
	global_load_dwordx2 v[44:45], v[28:29], off
	;; [unrolled: 1-line block ×4, first 2 shown]
	v_lshlrev_b64 v[10:11], 3, v[10:11]
	v_add_u32_e32 v24, 20, v26
	v_add_co_u32_e32 v10, vcc, s20, v10
	v_ashrrev_i32_e32 v25, 31, v24
	v_addc_co_u32_e32 v11, vcc, v50, v11, vcc
	v_lshlrev_b64 v[24:25], 3, v[24:25]
	v_add_co_u32_e32 v24, vcc, s20, v24
	v_addc_co_u32_e32 v25, vcc, v50, v25, vcc
	global_load_dwordx2 v[26:27], v[10:11], off
	global_load_dwordx2 v[28:29], v[24:25], off
	s_waitcnt vmcnt(8)
	v_fma_f64 v[10:11], v[34:35], v[36:37], v[6:7]
	s_waitcnt vmcnt(6)
	v_fmac_f64_e32 v[10:11], v[38:39], v[40:41]
	s_waitcnt vmcnt(4)
	v_fmac_f64_e32 v[10:11], v[42:43], v[44:45]
	;; [unrolled: 2-line block ×4, first 2 shown]
	s_cbranch_execz .LBB25_38
	s_branch .LBB25_39
.LBB25_37:                              ;   in Loop: Header=BB25_19 Depth=1
                                        ; implicit-def: $vgpr10_vgpr11
.LBB25_38:                              ;   in Loop: Header=BB25_19 Depth=1
	s_waitcnt lgkmcnt(0)
	v_add_u32_e32 v10, v8, v1
	v_ashrrev_i32_e32 v11, 31, v10
	v_lshlrev_b64 v[10:11], 3, v[10:11]
	v_mov_b32_e32 v28, s21
	v_add_co_u32_e32 v36, vcc, s20, v10
	v_addc_co_u32_e32 v37, vcc, v28, v11, vcc
	v_add_u32_e32 v8, v9, v17
	global_load_dwordx4 v[24:27], v[36:37], off
	v_ashrrev_i32_e32 v9, 31, v8
	v_lshlrev_b64 v[8:9], 3, v[8:9]
	v_add_co_u32_e32 v38, vcc, s20, v8
	v_addc_co_u32_e32 v39, vcc, v28, v9, vcc
	global_load_dwordx4 v[8:11], v[38:39], off
	global_load_dwordx4 v[28:31], v[36:37], off offset:16
	global_load_dwordx4 v[32:35], v[38:39], off offset:16
	global_load_dwordx2 v[40:41], v[36:37], off offset:32
	global_load_dwordx2 v[42:43], v[38:39], off offset:32
	s_waitcnt vmcnt(4)
	v_fmac_f64_e32 v[6:7], v[24:25], v[8:9]
	v_fmac_f64_e32 v[6:7], v[26:27], v[10:11]
	s_waitcnt vmcnt(2)
	v_fmac_f64_e32 v[6:7], v[28:29], v[32:33]
	v_fmac_f64_e32 v[6:7], v[30:31], v[34:35]
	s_waitcnt vmcnt(0)
	v_fmac_f64_e32 v[6:7], v[40:41], v[42:43]
	v_pk_mov_b32 v[10:11], v[6:7], v[6:7] op_sel:[0,1]
.LBB25_39:                              ;   in Loop: Header=BB25_19 Depth=1
	s_add_i32 s24, s24, -1
	s_add_i32 s25, s25, 4
	s_cmp_eq_u32 s24, 0
	s_cbranch_scc1 .LBB25_41
; %bb.40:                               ;   in Loop: Header=BB25_19 Depth=1
	v_pk_mov_b32 v[6:7], v[10:11], v[10:11] op_sel:[0,1]
	s_waitcnt lgkmcnt(0)
	v_mov_b32_e32 v8, s25
	ds_read2_b32 v[8:9], v8 offset1:32
	s_and_b64 vcc, exec, s[2:3]
	s_cbranch_vccz .LBB25_37
	s_branch .LBB25_36
.LBB25_41:                              ;   in Loop: Header=BB25_19 Depth=1
	ds_write_b64 v21, v[10:11]
	s_waitcnt lgkmcnt(0)
	ds_read_b64 v[8:9], v0
	ds_read_b64 v[6:7], v18
	s_waitcnt lgkmcnt(1)
	v_cmp_neq_f64_e32 vcc, 0, v[8:9]
	s_or_b64 s[22:23], vcc, s[0:1]
	v_cndmask_b32_e32 v9, v23, v9, vcc
	s_xor_b64 s[24:25], s[22:23], -1
	v_cndmask_b32_e32 v8, 0, v8, vcc
	s_and_saveexec_b64 s[22:23], s[24:25]
	s_cbranch_execz .LBB25_45
; %bb.42:                               ;   in Loop: Header=BB25_19 Depth=1
	v_mbcnt_lo_u32_b32 v8, exec_lo, 0
	v_mbcnt_hi_u32_b32 v8, exec_hi, v8
	v_cmp_eq_u32_e32 vcc, 0, v8
	s_and_saveexec_b64 s[24:25], vcc
	s_cbranch_execz .LBB25_44
; %bb.43:                               ;   in Loop: Header=BB25_19 Depth=1
	v_mov_b32_e32 v8, s5
	global_atomic_smin v0, v8, s[14:15]
.LBB25_44:                              ;   in Loop: Header=BB25_19 Depth=1
	s_or_b64 exec, exec, s[24:25]
	v_mov_b32_e32 v8, 0
	v_mov_b32_e32 v9, 0x3ff00000
.LBB25_45:                              ;   in Loop: Header=BB25_19 Depth=1
	s_or_b64 exec, exec, s[22:23]
	ds_read_b64 v[10:11], v20
	s_waitcnt lgkmcnt(0)
	v_add_f64 v[6:7], v[6:7], -v[10:11]
	v_div_scale_f64 v[10:11], s[22:23], v[8:9], v[8:9], v[6:7]
	v_rcp_f64_e32 v[24:25], v[10:11]
	v_div_scale_f64 v[26:27], vcc, v[6:7], v[8:9], v[6:7]
	v_fma_f64 v[28:29], -v[10:11], v[24:25], 1.0
	v_fmac_f64_e32 v[24:25], v[24:25], v[28:29]
	v_fma_f64 v[28:29], -v[10:11], v[24:25], 1.0
	v_fmac_f64_e32 v[24:25], v[24:25], v[28:29]
	v_mul_f64 v[28:29], v[26:27], v[24:25]
	v_fma_f64 v[10:11], -v[10:11], v[28:29], v[26:27]
	v_div_fmas_f64 v[10:11], v[10:11], v[24:25], v[28:29]
	v_div_fixup_f64 v[6:7], v[10:11], v[8:9], v[6:7]
	ds_write_b64 v18, v[6:7]
	s_waitcnt lgkmcnt(0)
	ds_read_b64 v[8:9], v22
	ds_read_b64 v[10:11], v15
	s_waitcnt lgkmcnt(0)
	v_fmac_f64_e32 v[10:11], v[6:7], v[8:9]
	ds_write_b64 v15, v[10:11]
	s_waitcnt lgkmcnt(0)
	ds_read_b64 v[8:9], v0 offset:56
	ds_read_b64 v[6:7], v18 offset:8
	s_waitcnt lgkmcnt(1)
	v_cmp_neq_f64_e32 vcc, 0, v[8:9]
	s_or_b64 s[22:23], vcc, s[0:1]
	v_cndmask_b32_e32 v9, v23, v9, vcc
	s_xor_b64 s[24:25], s[22:23], -1
	v_cndmask_b32_e32 v8, 0, v8, vcc
	s_and_saveexec_b64 s[22:23], s[24:25]
	s_cbranch_execz .LBB25_49
; %bb.46:                               ;   in Loop: Header=BB25_19 Depth=1
	v_mbcnt_lo_u32_b32 v8, exec_lo, 0
	v_mbcnt_hi_u32_b32 v8, exec_hi, v8
	v_cmp_eq_u32_e32 vcc, 0, v8
	s_and_saveexec_b64 s[24:25], vcc
	s_cbranch_execz .LBB25_48
; %bb.47:                               ;   in Loop: Header=BB25_19 Depth=1
	v_mov_b32_e32 v8, s5
	global_atomic_smin v0, v8, s[14:15]
.LBB25_48:                              ;   in Loop: Header=BB25_19 Depth=1
	s_or_b64 exec, exec, s[24:25]
	v_mov_b32_e32 v8, 0
	v_mov_b32_e32 v9, 0x3ff00000
.LBB25_49:                              ;   in Loop: Header=BB25_19 Depth=1
	s_or_b64 exec, exec, s[22:23]
	ds_read_b64 v[10:11], v18
	ds_read_b64 v[24:25], v0 offset:48
	ds_read_b64 v[26:27], v20 offset:8
	s_waitcnt lgkmcnt(0)
	v_fmac_f64_e32 v[26:27], v[24:25], v[10:11]
	v_add_f64 v[6:7], v[6:7], -v[26:27]
	v_div_scale_f64 v[10:11], s[22:23], v[8:9], v[8:9], v[6:7]
	v_rcp_f64_e32 v[24:25], v[10:11]
	v_div_scale_f64 v[26:27], vcc, v[6:7], v[8:9], v[6:7]
	v_fma_f64 v[28:29], -v[10:11], v[24:25], 1.0
	v_fmac_f64_e32 v[24:25], v[24:25], v[28:29]
	v_fma_f64 v[28:29], -v[10:11], v[24:25], 1.0
	v_fmac_f64_e32 v[24:25], v[24:25], v[28:29]
	v_mul_f64 v[28:29], v[26:27], v[24:25]
	v_fma_f64 v[10:11], -v[10:11], v[28:29], v[26:27]
	v_div_fmas_f64 v[10:11], v[10:11], v[24:25], v[28:29]
	v_div_fixup_f64 v[6:7], v[10:11], v[8:9], v[6:7]
	ds_write_b64 v18, v[6:7] offset:8
	s_waitcnt lgkmcnt(0)
	ds_read_b64 v[8:9], v22 offset:8
	ds_read_b64 v[10:11], v15
	s_waitcnt lgkmcnt(0)
	v_fmac_f64_e32 v[10:11], v[6:7], v[8:9]
	ds_write_b64 v15, v[10:11]
	s_waitcnt lgkmcnt(0)
	ds_read_b64 v[8:9], v0 offset:112
	ds_read_b64 v[6:7], v18 offset:16
	s_waitcnt lgkmcnt(1)
	v_cmp_neq_f64_e32 vcc, 0, v[8:9]
	s_or_b64 s[22:23], vcc, s[0:1]
	v_cndmask_b32_e32 v9, v23, v9, vcc
	s_xor_b64 s[24:25], s[22:23], -1
	v_cndmask_b32_e32 v8, 0, v8, vcc
	s_and_saveexec_b64 s[22:23], s[24:25]
	s_cbranch_execz .LBB25_53
; %bb.50:                               ;   in Loop: Header=BB25_19 Depth=1
	v_mbcnt_lo_u32_b32 v8, exec_lo, 0
	v_mbcnt_hi_u32_b32 v8, exec_hi, v8
	v_cmp_eq_u32_e32 vcc, 0, v8
	s_and_saveexec_b64 s[24:25], vcc
	s_cbranch_execz .LBB25_52
; %bb.51:                               ;   in Loop: Header=BB25_19 Depth=1
	v_mov_b32_e32 v8, s5
	global_atomic_smin v0, v8, s[14:15]
.LBB25_52:                              ;   in Loop: Header=BB25_19 Depth=1
	s_or_b64 exec, exec, s[24:25]
	v_mov_b32_e32 v8, 0
	v_mov_b32_e32 v9, 0x3ff00000
.LBB25_53:                              ;   in Loop: Header=BB25_19 Depth=1
	s_or_b64 exec, exec, s[22:23]
	ds_read_b128 v[24:27], v0 offset:96
	ds_read_b128 v[28:31], v18
	ds_read_b64 v[10:11], v20 offset:16
	s_waitcnt lgkmcnt(0)
	v_fmac_f64_e32 v[10:11], v[24:25], v[28:29]
	v_fmac_f64_e32 v[10:11], v[26:27], v[30:31]
	v_add_f64 v[6:7], v[6:7], -v[10:11]
	v_div_scale_f64 v[10:11], s[22:23], v[8:9], v[8:9], v[6:7]
	v_rcp_f64_e32 v[24:25], v[10:11]
	v_div_scale_f64 v[26:27], vcc, v[6:7], v[8:9], v[6:7]
	v_fma_f64 v[28:29], -v[10:11], v[24:25], 1.0
	v_fmac_f64_e32 v[24:25], v[24:25], v[28:29]
	v_fma_f64 v[28:29], -v[10:11], v[24:25], 1.0
	v_fmac_f64_e32 v[24:25], v[24:25], v[28:29]
	v_mul_f64 v[28:29], v[26:27], v[24:25]
	v_fma_f64 v[10:11], -v[10:11], v[28:29], v[26:27]
	v_div_fmas_f64 v[10:11], v[10:11], v[24:25], v[28:29]
	v_div_fixup_f64 v[6:7], v[10:11], v[8:9], v[6:7]
	ds_write_b64 v18, v[6:7] offset:16
	s_waitcnt lgkmcnt(0)
	ds_read_b64 v[8:9], v22 offset:16
	ds_read_b64 v[10:11], v15
	s_waitcnt lgkmcnt(0)
	v_fmac_f64_e32 v[10:11], v[6:7], v[8:9]
	ds_write_b64 v15, v[10:11]
	s_waitcnt lgkmcnt(0)
	ds_read_b64 v[8:9], v0 offset:168
	ds_read_b64 v[6:7], v18 offset:24
	s_waitcnt lgkmcnt(1)
	v_cmp_neq_f64_e32 vcc, 0, v[8:9]
	s_or_b64 s[22:23], vcc, s[0:1]
	v_cndmask_b32_e32 v9, v23, v9, vcc
	s_xor_b64 s[24:25], s[22:23], -1
	v_cndmask_b32_e32 v8, 0, v8, vcc
	s_and_saveexec_b64 s[22:23], s[24:25]
	s_cbranch_execz .LBB25_57
; %bb.54:                               ;   in Loop: Header=BB25_19 Depth=1
	v_mbcnt_lo_u32_b32 v8, exec_lo, 0
	v_mbcnt_hi_u32_b32 v8, exec_hi, v8
	v_cmp_eq_u32_e32 vcc, 0, v8
	s_and_saveexec_b64 s[24:25], vcc
	s_cbranch_execz .LBB25_56
; %bb.55:                               ;   in Loop: Header=BB25_19 Depth=1
	v_mov_b32_e32 v8, s5
	global_atomic_smin v0, v8, s[14:15]
.LBB25_56:                              ;   in Loop: Header=BB25_19 Depth=1
	s_or_b64 exec, exec, s[24:25]
	v_mov_b32_e32 v8, 0
	v_mov_b32_e32 v9, 0x3ff00000
.LBB25_57:                              ;   in Loop: Header=BB25_19 Depth=1
	s_or_b64 exec, exec, s[22:23]
	ds_read_b128 v[24:27], v0 offset:144
	ds_read_b64 v[10:11], v20 offset:24
	ds_read_b128 v[28:31], v18
	ds_read_b64 v[32:33], v0 offset:160
	ds_read_b64 v[34:35], v18 offset:16
	s_waitcnt lgkmcnt(2)
	v_fmac_f64_e32 v[10:11], v[24:25], v[28:29]
	v_fmac_f64_e32 v[10:11], v[26:27], v[30:31]
	s_waitcnt lgkmcnt(0)
	v_fmac_f64_e32 v[10:11], v[32:33], v[34:35]
	v_add_f64 v[6:7], v[6:7], -v[10:11]
	v_div_scale_f64 v[10:11], s[22:23], v[8:9], v[8:9], v[6:7]
	v_rcp_f64_e32 v[24:25], v[10:11]
	v_div_scale_f64 v[26:27], vcc, v[6:7], v[8:9], v[6:7]
	v_fma_f64 v[28:29], -v[10:11], v[24:25], 1.0
	v_fmac_f64_e32 v[24:25], v[24:25], v[28:29]
	v_fma_f64 v[28:29], -v[10:11], v[24:25], 1.0
	v_fmac_f64_e32 v[24:25], v[24:25], v[28:29]
	v_mul_f64 v[28:29], v[26:27], v[24:25]
	v_fma_f64 v[10:11], -v[10:11], v[28:29], v[26:27]
	v_div_fmas_f64 v[10:11], v[10:11], v[24:25], v[28:29]
	v_div_fixup_f64 v[6:7], v[10:11], v[8:9], v[6:7]
	ds_write_b64 v18, v[6:7] offset:24
	s_waitcnt lgkmcnt(0)
	ds_read_b64 v[8:9], v22 offset:24
	ds_read_b64 v[10:11], v15
	s_waitcnt lgkmcnt(0)
	v_fmac_f64_e32 v[10:11], v[6:7], v[8:9]
	ds_write_b64 v15, v[10:11]
	s_waitcnt lgkmcnt(0)
	ds_read_b64 v[8:9], v0 offset:224
	ds_read_b64 v[6:7], v18 offset:32
	s_waitcnt lgkmcnt(1)
	v_cmp_neq_f64_e32 vcc, 0, v[8:9]
	s_or_b64 s[22:23], vcc, s[0:1]
	v_cndmask_b32_e32 v9, v23, v9, vcc
	s_xor_b64 s[24:25], s[22:23], -1
	v_cndmask_b32_e32 v8, 0, v8, vcc
	s_and_saveexec_b64 s[22:23], s[24:25]
	s_cbranch_execz .LBB25_17
; %bb.58:                               ;   in Loop: Header=BB25_19 Depth=1
	v_mbcnt_lo_u32_b32 v8, exec_lo, 0
	v_mbcnt_hi_u32_b32 v8, exec_hi, v8
	v_cmp_eq_u32_e32 vcc, 0, v8
	s_and_saveexec_b64 s[24:25], vcc
	s_cbranch_execz .LBB25_16
; %bb.59:                               ;   in Loop: Header=BB25_19 Depth=1
	v_mov_b32_e32 v8, s5
	global_atomic_smin v0, v8, s[14:15]
	s_branch .LBB25_16
.LBB25_60:
	s_cmp_lg_u32 s33, 0
	s_cselect_b64 s[4:5], -1, 0
	s_cmp_eq_u32 s33, 0
	v_mov_b32_e32 v0, v14
	s_cbranch_scc1 .LBB25_62
; %bb.61:
	v_mad_u32_u24 v0, v12, 5, v13
.LBB25_62:
	s_mul_i32 s30, s30, 25
	v_add_u32_e32 v0, s30, v0
	v_ashrrev_i32_e32 v1, 31, v0
	v_lshlrev_b64 v[0:1], 3, v[0:1]
	v_mov_b32_e32 v2, s21
	v_add_co_u32_e32 v0, vcc, s20, v0
	v_addc_co_u32_e32 v1, vcc, v2, v1, vcc
	global_load_dwordx2 v[0:1], v[0:1], off
	v_cmp_ne_u32_e32 vcc, 0, v13
	v_cmp_eq_u32_e64 s[0:1], 0, v13
	s_waitcnt vmcnt(0)
	ds_write_b64 v16, v[0:1] offset:480
	s_waitcnt lgkmcnt(0)
	s_and_saveexec_b64 s[2:3], s[0:1]
	s_cbranch_execz .LBB25_64
; %bb.63:
	v_mov_b32_e32 v2, 0
	ds_read2_b64 v[4:7], v2 offset0:60 offset1:90
	s_mov_b32 s8, 0
	s_brev_b32 s9, 8
	s_waitcnt lgkmcnt(0)
	v_add_f64 v[0:1], v[4:5], -v[6:7]
	v_xor_b32_e32 v4, 0x80000000, v1
	v_cmp_gt_f64_e64 s[0:1], 0, v[0:1]
	v_cndmask_b32_e64 v1, v1, v4, s[0:1]
	v_cndmask_b32_e64 v0, v0, v0, s[0:1]
	v_cmp_gt_f64_e64 s[0:1], s[8:9], v[0:1]
	v_cndmask_b32_e64 v4, 0, 1, s[0:1]
	v_lshlrev_b32_e32 v4, 8, v4
	v_ldexp_f64 v[0:1], v[0:1], v4
	v_rsq_f64_e32 v[4:5], v[0:1]
	s_and_b64 s[0:1], s[0:1], exec
	s_cselect_b32 s0, 0xffffff80, 0
	v_mul_f64 v[6:7], v[0:1], v[4:5]
	v_mul_f64 v[4:5], v[4:5], 0.5
	v_fma_f64 v[8:9], -v[4:5], v[6:7], 0.5
	v_fmac_f64_e32 v[6:7], v[6:7], v[8:9]
	v_fmac_f64_e32 v[4:5], v[4:5], v[8:9]
	v_fma_f64 v[8:9], -v[6:7], v[6:7], v[0:1]
	v_fmac_f64_e32 v[6:7], v[8:9], v[4:5]
	v_fma_f64 v[8:9], -v[6:7], v[6:7], v[0:1]
	v_fmac_f64_e32 v[6:7], v[8:9], v[4:5]
	v_ldexp_f64 v[4:5], v[6:7], s0
	v_mov_b32_e32 v6, 0x260
	v_cmp_class_f64_e64 s[0:1], v[0:1], v6
	v_cndmask_b32_e64 v1, v5, v1, s[0:1]
	v_cndmask_b32_e64 v0, v4, v0, s[0:1]
	ds_write_b64 v2, v[0:1] offset:480
.LBB25_64:
	s_or_b64 exec, exec, s[2:3]
	v_mov_b32_e32 v0, 0
	s_waitcnt lgkmcnt(0)
	ds_read_b64 v[0:1], v0 offset:480
	v_or_b32_e32 v2, v12, v13
	v_cmp_ne_u32_e64 s[0:1], 0, v2
	v_mov_b32_e32 v4, 0x3ff00000
	s_add_i32 s18, s12, s13
	s_waitcnt lgkmcnt(0)
	v_cmp_neq_f64_e64 s[2:3], 0, v[0:1]
	s_or_b64 s[8:9], s[2:3], s[0:1]
	v_cndmask_b32_e64 v1, v4, v1, s[2:3]
	s_xor_b64 s[16:17], s[8:9], -1
	v_cndmask_b32_e64 v0, 0, v0, s[2:3]
	s_and_saveexec_b64 s[8:9], s[16:17]
	s_cbranch_execz .LBB25_68
; %bb.65:
	v_mbcnt_lo_u32_b32 v0, exec_lo, 0
	v_mbcnt_hi_u32_b32 v0, exec_hi, v0
	v_cmp_eq_u32_e64 s[2:3], 0, v0
	s_and_saveexec_b64 s[16:17], s[2:3]
	s_cbranch_execz .LBB25_67
; %bb.66:
	v_mov_b32_e32 v0, 0
	v_mov_b32_e32 v1, s18
	global_atomic_smin v0, v1, s[14:15]
.LBB25_67:
	s_or_b64 exec, exec, s[16:17]
	v_mov_b32_e32 v0, 0
	v_mov_b32_e32 v1, 0x3ff00000
.LBB25_68:
	s_or_b64 exec, exec, s[8:9]
	s_and_saveexec_b64 s[2:3], vcc
	s_cbranch_execz .LBB25_70
; %bb.69:
	v_mul_u32_u24_e32 v17, 48, v13
	ds_read2_b64 v[4:7], v17 offset0:60 offset1:90
	v_mul_u32_u24_e32 v20, 48, v12
	s_waitcnt lgkmcnt(0)
	v_add_f64 v[4:5], v[4:5], -v[6:7]
	v_div_scale_f64 v[6:7], s[8:9], v[0:1], v[0:1], v[4:5]
	v_rcp_f64_e32 v[8:9], v[6:7]
	v_div_scale_f64 v[10:11], vcc, v[4:5], v[0:1], v[4:5]
	v_fma_f64 v[18:19], -v[6:7], v[8:9], 1.0
	v_fmac_f64_e32 v[8:9], v[8:9], v[18:19]
	v_fma_f64 v[18:19], -v[6:7], v[8:9], 1.0
	v_fmac_f64_e32 v[8:9], v[8:9], v[18:19]
	v_mul_f64 v[18:19], v[10:11], v[8:9]
	v_fma_f64 v[6:7], -v[6:7], v[18:19], v[10:11]
	v_div_fmas_f64 v[6:7], v[6:7], v[8:9], v[18:19]
	v_div_fixup_f64 v[0:1], v[6:7], v[0:1], v[4:5]
	ds_write_b64 v17, v[0:1] offset:480
	s_waitcnt lgkmcnt(0)
	ds_read_b64 v[4:5], v20 offset:480
	ds_read_b64 v[6:7], v15
	s_waitcnt lgkmcnt(0)
	v_fmac_f64_e32 v[6:7], v[0:1], v[4:5]
	ds_write_b64 v15, v[6:7]
.LBB25_70:
	s_or_b64 exec, exec, s[2:3]
	v_cmp_eq_u32_e32 vcc, 1, v13
	s_waitcnt lgkmcnt(0)
	s_and_saveexec_b64 s[2:3], vcc
	s_cbranch_execz .LBB25_72
; %bb.71:
	v_mov_b32_e32 v10, 0
	ds_read2_b64 v[4:7], v10 offset0:67 offset1:97
	s_mov_b32 s8, 0
	s_brev_b32 s9, 8
	s_waitcnt lgkmcnt(0)
	v_add_f64 v[0:1], v[4:5], -v[6:7]
	v_xor_b32_e32 v4, 0x80000000, v1
	v_cmp_gt_f64_e32 vcc, 0, v[0:1]
	v_cndmask_b32_e32 v1, v1, v4, vcc
	v_cndmask_b32_e32 v0, v0, v0, vcc
	v_cmp_gt_f64_e32 vcc, s[8:9], v[0:1]
	v_cndmask_b32_e64 v4, 0, 1, vcc
	v_lshlrev_b32_e32 v4, 8, v4
	v_ldexp_f64 v[0:1], v[0:1], v4
	v_rsq_f64_e32 v[4:5], v[0:1]
	s_and_b64 s[8:9], vcc, exec
	s_cselect_b32 s8, 0xffffff80, 0
	v_mul_f64 v[6:7], v[0:1], v[4:5]
	v_mul_f64 v[4:5], v[4:5], 0.5
	v_fma_f64 v[8:9], -v[4:5], v[6:7], 0.5
	v_fmac_f64_e32 v[6:7], v[6:7], v[8:9]
	v_fmac_f64_e32 v[4:5], v[4:5], v[8:9]
	v_fma_f64 v[8:9], -v[6:7], v[6:7], v[0:1]
	v_fmac_f64_e32 v[6:7], v[8:9], v[4:5]
	v_fma_f64 v[8:9], -v[6:7], v[6:7], v[0:1]
	v_fmac_f64_e32 v[6:7], v[8:9], v[4:5]
	v_ldexp_f64 v[4:5], v[6:7], s8
	v_mov_b32_e32 v6, 0x260
	v_cmp_class_f64_e32 vcc, v[0:1], v6
	v_cndmask_b32_e32 v1, v5, v1, vcc
	v_cndmask_b32_e32 v0, v4, v0, vcc
	ds_write_b64 v10, v[0:1] offset:536
.LBB25_72:
	s_or_b64 exec, exec, s[2:3]
	v_mov_b32_e32 v0, 0
	s_waitcnt lgkmcnt(0)
	ds_read_b64 v[0:1], v0 offset:536
	v_mov_b32_e32 v4, 0x3ff00000
	s_waitcnt lgkmcnt(0)
	v_cmp_neq_f64_e32 vcc, 0, v[0:1]
	s_or_b64 s[2:3], vcc, s[0:1]
	v_cndmask_b32_e32 v1, v4, v1, vcc
	s_xor_b64 s[8:9], s[2:3], -1
	v_cndmask_b32_e32 v0, 0, v0, vcc
	s_and_saveexec_b64 s[2:3], s[8:9]
	s_cbranch_execz .LBB25_76
; %bb.73:
	v_mbcnt_lo_u32_b32 v0, exec_lo, 0
	v_mbcnt_hi_u32_b32 v0, exec_hi, v0
	v_cmp_eq_u32_e32 vcc, 0, v0
	s_and_saveexec_b64 s[8:9], vcc
	s_cbranch_execz .LBB25_75
; %bb.74:
	v_mov_b32_e32 v0, 0
	v_mov_b32_e32 v1, s18
	global_atomic_smin v0, v1, s[14:15]
.LBB25_75:
	s_or_b64 exec, exec, s[8:9]
	v_mov_b32_e32 v0, 0
	v_mov_b32_e32 v1, 0x3ff00000
.LBB25_76:
	s_or_b64 exec, exec, s[2:3]
	v_cmp_lt_u32_e32 vcc, 1, v13
	s_and_saveexec_b64 s[2:3], vcc
	s_cbranch_execz .LBB25_78
; %bb.77:
	v_mul_u32_u24_e32 v17, 48, v13
	ds_read2_b64 v[4:7], v17 offset0:61 offset1:91
	v_mul_u32_u24_e32 v20, 48, v12
	s_waitcnt lgkmcnt(0)
	v_add_f64 v[4:5], v[4:5], -v[6:7]
	v_div_scale_f64 v[6:7], s[8:9], v[0:1], v[0:1], v[4:5]
	v_rcp_f64_e32 v[8:9], v[6:7]
	v_div_scale_f64 v[10:11], vcc, v[4:5], v[0:1], v[4:5]
	v_fma_f64 v[18:19], -v[6:7], v[8:9], 1.0
	v_fmac_f64_e32 v[8:9], v[8:9], v[18:19]
	v_fma_f64 v[18:19], -v[6:7], v[8:9], 1.0
	v_fmac_f64_e32 v[8:9], v[8:9], v[18:19]
	v_mul_f64 v[18:19], v[10:11], v[8:9]
	v_fma_f64 v[6:7], -v[6:7], v[18:19], v[10:11]
	v_div_fmas_f64 v[6:7], v[6:7], v[8:9], v[18:19]
	v_div_fixup_f64 v[0:1], v[6:7], v[0:1], v[4:5]
	ds_write_b64 v17, v[0:1] offset:488
	s_waitcnt lgkmcnt(0)
	ds_read_b64 v[4:5], v20 offset:488
	ds_read_b64 v[6:7], v15
	s_waitcnt lgkmcnt(0)
	v_fmac_f64_e32 v[6:7], v[0:1], v[4:5]
	ds_write_b64 v15, v[6:7]
.LBB25_78:
	s_or_b64 exec, exec, s[2:3]
	v_cmp_eq_u32_e32 vcc, 2, v13
	s_waitcnt lgkmcnt(0)
	s_and_saveexec_b64 s[2:3], vcc
	s_cbranch_execz .LBB25_80
; %bb.79:
	v_mov_b32_e32 v10, 0
	ds_read2_b64 v[4:7], v10 offset0:74 offset1:104
	s_mov_b32 s8, 0
	s_brev_b32 s9, 8
	s_waitcnt lgkmcnt(0)
	v_add_f64 v[0:1], v[4:5], -v[6:7]
	v_xor_b32_e32 v4, 0x80000000, v1
	v_cmp_gt_f64_e32 vcc, 0, v[0:1]
	v_cndmask_b32_e32 v1, v1, v4, vcc
	v_cndmask_b32_e32 v0, v0, v0, vcc
	v_cmp_gt_f64_e32 vcc, s[8:9], v[0:1]
	v_cndmask_b32_e64 v4, 0, 1, vcc
	v_lshlrev_b32_e32 v4, 8, v4
	v_ldexp_f64 v[0:1], v[0:1], v4
	v_rsq_f64_e32 v[4:5], v[0:1]
	s_and_b64 s[8:9], vcc, exec
	s_cselect_b32 s8, 0xffffff80, 0
	v_mul_f64 v[6:7], v[0:1], v[4:5]
	v_mul_f64 v[4:5], v[4:5], 0.5
	v_fma_f64 v[8:9], -v[4:5], v[6:7], 0.5
	v_fmac_f64_e32 v[6:7], v[6:7], v[8:9]
	v_fmac_f64_e32 v[4:5], v[4:5], v[8:9]
	v_fma_f64 v[8:9], -v[6:7], v[6:7], v[0:1]
	v_fmac_f64_e32 v[6:7], v[8:9], v[4:5]
	v_fma_f64 v[8:9], -v[6:7], v[6:7], v[0:1]
	v_fmac_f64_e32 v[6:7], v[8:9], v[4:5]
	v_ldexp_f64 v[4:5], v[6:7], s8
	v_mov_b32_e32 v6, 0x260
	v_cmp_class_f64_e32 vcc, v[0:1], v6
	v_cndmask_b32_e32 v1, v5, v1, vcc
	v_cndmask_b32_e32 v0, v4, v0, vcc
	ds_write_b64 v10, v[0:1] offset:592
.LBB25_80:
	s_or_b64 exec, exec, s[2:3]
	v_mov_b32_e32 v0, 0
	s_waitcnt lgkmcnt(0)
	ds_read_b64 v[0:1], v0 offset:592
	v_mov_b32_e32 v4, 0x3ff00000
	s_waitcnt lgkmcnt(0)
	v_cmp_neq_f64_e32 vcc, 0, v[0:1]
	s_or_b64 s[2:3], vcc, s[0:1]
	v_cndmask_b32_e32 v1, v4, v1, vcc
	s_xor_b64 s[8:9], s[2:3], -1
	v_cndmask_b32_e32 v0, 0, v0, vcc
	s_and_saveexec_b64 s[2:3], s[8:9]
	s_cbranch_execz .LBB25_84
; %bb.81:
	v_mbcnt_lo_u32_b32 v0, exec_lo, 0
	v_mbcnt_hi_u32_b32 v0, exec_hi, v0
	v_cmp_eq_u32_e32 vcc, 0, v0
	s_and_saveexec_b64 s[8:9], vcc
	s_cbranch_execz .LBB25_83
; %bb.82:
	v_mov_b32_e32 v0, 0
	v_mov_b32_e32 v1, s18
	global_atomic_smin v0, v1, s[14:15]
.LBB25_83:
	s_or_b64 exec, exec, s[8:9]
	v_mov_b32_e32 v0, 0
	v_mov_b32_e32 v1, 0x3ff00000
.LBB25_84:
	s_or_b64 exec, exec, s[2:3]
	v_cmp_lt_u32_e32 vcc, 2, v13
	s_and_saveexec_b64 s[2:3], vcc
	s_cbranch_execz .LBB25_86
; %bb.85:
	v_mul_u32_u24_e32 v17, 48, v13
	ds_read2_b64 v[4:7], v17 offset0:62 offset1:92
	v_mul_u32_u24_e32 v20, 48, v12
	s_waitcnt lgkmcnt(0)
	v_add_f64 v[4:5], v[4:5], -v[6:7]
	v_div_scale_f64 v[6:7], s[8:9], v[0:1], v[0:1], v[4:5]
	v_rcp_f64_e32 v[8:9], v[6:7]
	v_div_scale_f64 v[10:11], vcc, v[4:5], v[0:1], v[4:5]
	v_fma_f64 v[18:19], -v[6:7], v[8:9], 1.0
	v_fmac_f64_e32 v[8:9], v[8:9], v[18:19]
	v_fma_f64 v[18:19], -v[6:7], v[8:9], 1.0
	v_fmac_f64_e32 v[8:9], v[8:9], v[18:19]
	v_mul_f64 v[18:19], v[10:11], v[8:9]
	v_fma_f64 v[6:7], -v[6:7], v[18:19], v[10:11]
	v_div_fmas_f64 v[6:7], v[6:7], v[8:9], v[18:19]
	v_div_fixup_f64 v[0:1], v[6:7], v[0:1], v[4:5]
	ds_write_b64 v17, v[0:1] offset:496
	s_waitcnt lgkmcnt(0)
	ds_read_b64 v[4:5], v20 offset:496
	ds_read_b64 v[6:7], v15
	s_waitcnt lgkmcnt(0)
	v_fmac_f64_e32 v[6:7], v[0:1], v[4:5]
	ds_write_b64 v15, v[6:7]
.LBB25_86:
	s_or_b64 exec, exec, s[2:3]
	v_cmp_eq_u32_e32 vcc, 3, v13
	s_waitcnt lgkmcnt(0)
	s_and_saveexec_b64 s[2:3], vcc
	s_cbranch_execz .LBB25_88
; %bb.87:
	v_mov_b32_e32 v10, 0
	ds_read2_b64 v[4:7], v10 offset0:81 offset1:111
	s_mov_b32 s8, 0
	s_brev_b32 s9, 8
	s_waitcnt lgkmcnt(0)
	v_add_f64 v[0:1], v[4:5], -v[6:7]
	v_xor_b32_e32 v4, 0x80000000, v1
	v_cmp_gt_f64_e32 vcc, 0, v[0:1]
	v_cndmask_b32_e32 v1, v1, v4, vcc
	v_cndmask_b32_e32 v0, v0, v0, vcc
	v_cmp_gt_f64_e32 vcc, s[8:9], v[0:1]
	v_cndmask_b32_e64 v4, 0, 1, vcc
	v_lshlrev_b32_e32 v4, 8, v4
	v_ldexp_f64 v[0:1], v[0:1], v4
	v_rsq_f64_e32 v[4:5], v[0:1]
	s_and_b64 s[8:9], vcc, exec
	s_cselect_b32 s8, 0xffffff80, 0
	v_mul_f64 v[6:7], v[0:1], v[4:5]
	v_mul_f64 v[4:5], v[4:5], 0.5
	v_fma_f64 v[8:9], -v[4:5], v[6:7], 0.5
	v_fmac_f64_e32 v[6:7], v[6:7], v[8:9]
	v_fmac_f64_e32 v[4:5], v[4:5], v[8:9]
	v_fma_f64 v[8:9], -v[6:7], v[6:7], v[0:1]
	v_fmac_f64_e32 v[6:7], v[8:9], v[4:5]
	v_fma_f64 v[8:9], -v[6:7], v[6:7], v[0:1]
	v_fmac_f64_e32 v[6:7], v[8:9], v[4:5]
	v_ldexp_f64 v[4:5], v[6:7], s8
	v_mov_b32_e32 v6, 0x260
	v_cmp_class_f64_e32 vcc, v[0:1], v6
	v_cndmask_b32_e32 v1, v5, v1, vcc
	v_cndmask_b32_e32 v0, v4, v0, vcc
	ds_write_b64 v10, v[0:1] offset:648
.LBB25_88:
	s_or_b64 exec, exec, s[2:3]
	v_mov_b32_e32 v0, 0
	s_waitcnt lgkmcnt(0)
	ds_read_b64 v[0:1], v0 offset:648
	v_mov_b32_e32 v4, 0x3ff00000
	s_waitcnt lgkmcnt(0)
	v_cmp_neq_f64_e32 vcc, 0, v[0:1]
	s_or_b64 s[2:3], vcc, s[0:1]
	v_cndmask_b32_e32 v1, v4, v1, vcc
	s_xor_b64 s[8:9], s[2:3], -1
	v_cndmask_b32_e32 v0, 0, v0, vcc
	s_and_saveexec_b64 s[2:3], s[8:9]
	s_cbranch_execz .LBB25_92
; %bb.89:
	v_mbcnt_lo_u32_b32 v0, exec_lo, 0
	v_mbcnt_hi_u32_b32 v0, exec_hi, v0
	v_cmp_eq_u32_e32 vcc, 0, v0
	s_and_saveexec_b64 s[8:9], vcc
	s_cbranch_execz .LBB25_91
; %bb.90:
	v_mov_b32_e32 v0, 0
	v_mov_b32_e32 v1, s18
	global_atomic_smin v0, v1, s[14:15]
.LBB25_91:
	s_or_b64 exec, exec, s[8:9]
	v_mov_b32_e32 v0, 0
	v_mov_b32_e32 v1, 0x3ff00000
.LBB25_92:
	s_or_b64 exec, exec, s[2:3]
	v_cmp_lt_u32_e32 vcc, 3, v13
	s_and_saveexec_b64 s[2:3], vcc
	s_cbranch_execz .LBB25_94
; %bb.93:
	v_mul_u32_u24_e32 v17, 48, v13
	ds_read2_b64 v[4:7], v17 offset0:63 offset1:93
	v_mul_u32_u24_e32 v20, 48, v12
	s_waitcnt lgkmcnt(0)
	v_add_f64 v[4:5], v[4:5], -v[6:7]
	v_div_scale_f64 v[6:7], s[8:9], v[0:1], v[0:1], v[4:5]
	v_rcp_f64_e32 v[8:9], v[6:7]
	v_div_scale_f64 v[10:11], vcc, v[4:5], v[0:1], v[4:5]
	v_fma_f64 v[18:19], -v[6:7], v[8:9], 1.0
	v_fmac_f64_e32 v[8:9], v[8:9], v[18:19]
	v_fma_f64 v[18:19], -v[6:7], v[8:9], 1.0
	v_fmac_f64_e32 v[8:9], v[8:9], v[18:19]
	v_mul_f64 v[18:19], v[10:11], v[8:9]
	v_fma_f64 v[6:7], -v[6:7], v[18:19], v[10:11]
	v_div_fmas_f64 v[6:7], v[6:7], v[8:9], v[18:19]
	v_div_fixup_f64 v[0:1], v[6:7], v[0:1], v[4:5]
	ds_write_b64 v17, v[0:1] offset:504
	s_waitcnt lgkmcnt(0)
	ds_read_b64 v[4:5], v20 offset:504
	ds_read_b64 v[6:7], v15
	s_waitcnt lgkmcnt(0)
	v_fmac_f64_e32 v[6:7], v[0:1], v[4:5]
	ds_write_b64 v15, v[6:7]
.LBB25_94:
	s_or_b64 exec, exec, s[2:3]
	v_cmp_eq_u32_e32 vcc, 4, v13
	s_waitcnt lgkmcnt(0)
	s_and_saveexec_b64 s[2:3], vcc
	s_cbranch_execz .LBB25_96
; %bb.95:
	v_mov_b32_e32 v10, 0
	ds_read2_b64 v[4:7], v10 offset0:88 offset1:118
	s_mov_b32 s8, 0
	s_brev_b32 s9, 8
	s_waitcnt lgkmcnt(0)
	v_add_f64 v[0:1], v[4:5], -v[6:7]
	v_xor_b32_e32 v4, 0x80000000, v1
	v_cmp_gt_f64_e32 vcc, 0, v[0:1]
	v_cndmask_b32_e32 v1, v1, v4, vcc
	v_cndmask_b32_e32 v0, v0, v0, vcc
	v_cmp_gt_f64_e32 vcc, s[8:9], v[0:1]
	v_cndmask_b32_e64 v4, 0, 1, vcc
	v_lshlrev_b32_e32 v4, 8, v4
	v_ldexp_f64 v[0:1], v[0:1], v4
	v_rsq_f64_e32 v[4:5], v[0:1]
	s_and_b64 s[8:9], vcc, exec
	s_cselect_b32 s8, 0xffffff80, 0
	v_mul_f64 v[6:7], v[0:1], v[4:5]
	v_mul_f64 v[4:5], v[4:5], 0.5
	v_fma_f64 v[8:9], -v[4:5], v[6:7], 0.5
	v_fmac_f64_e32 v[6:7], v[6:7], v[8:9]
	v_fmac_f64_e32 v[4:5], v[4:5], v[8:9]
	v_fma_f64 v[8:9], -v[6:7], v[6:7], v[0:1]
	v_fmac_f64_e32 v[6:7], v[8:9], v[4:5]
	v_fma_f64 v[8:9], -v[6:7], v[6:7], v[0:1]
	v_fmac_f64_e32 v[6:7], v[8:9], v[4:5]
	v_ldexp_f64 v[4:5], v[6:7], s8
	v_mov_b32_e32 v6, 0x260
	v_cmp_class_f64_e32 vcc, v[0:1], v6
	v_cndmask_b32_e32 v1, v5, v1, vcc
	v_cndmask_b32_e32 v0, v4, v0, vcc
	ds_write_b64 v10, v[0:1] offset:704
.LBB25_96:
	s_or_b64 exec, exec, s[2:3]
	v_mov_b32_e32 v0, 0
	s_waitcnt lgkmcnt(0)
	ds_read_b64 v[0:1], v0 offset:704
	v_mov_b32_e32 v4, 0x3ff00000
	s_waitcnt lgkmcnt(0)
	v_cmp_neq_f64_e32 vcc, 0, v[0:1]
	s_or_b64 s[0:1], vcc, s[0:1]
	v_cndmask_b32_e32 v1, v4, v1, vcc
	s_xor_b64 s[2:3], s[0:1], -1
	v_cndmask_b32_e32 v0, 0, v0, vcc
	s_and_saveexec_b64 s[0:1], s[2:3]
	s_cbranch_execz .LBB25_100
; %bb.97:
	v_mbcnt_lo_u32_b32 v0, exec_lo, 0
	v_mbcnt_hi_u32_b32 v0, exec_hi, v0
	v_cmp_eq_u32_e32 vcc, 0, v0
	s_and_saveexec_b64 s[2:3], vcc
	s_cbranch_execz .LBB25_99
; %bb.98:
	v_mov_b32_e32 v0, 0
	v_mov_b32_e32 v1, s18
	global_atomic_smin v0, v1, s[14:15]
.LBB25_99:
	s_or_b64 exec, exec, s[2:3]
	v_mov_b32_e32 v0, 0
	v_mov_b32_e32 v1, 0x3ff00000
.LBB25_100:
	s_or_b64 exec, exec, s[0:1]
	v_add_u32_e32 v4, 0x1e0, v16
	v_cmp_lt_u32_e32 vcc, 4, v13
	s_and_saveexec_b64 s[0:1], vcc
	s_cbranch_execz .LBB25_102
; %bb.101:
	v_mul_u32_u24_e32 v5, 48, v13
	ds_read2_b64 v[6:9], v5 offset0:64 offset1:94
	v_mul_u32_u24_e32 v20, 48, v12
	s_waitcnt lgkmcnt(0)
	v_add_f64 v[6:7], v[6:7], -v[8:9]
	v_div_scale_f64 v[8:9], s[2:3], v[0:1], v[0:1], v[6:7]
	v_rcp_f64_e32 v[10:11], v[8:9]
	v_div_scale_f64 v[16:17], vcc, v[6:7], v[0:1], v[6:7]
	v_fma_f64 v[18:19], -v[8:9], v[10:11], 1.0
	v_fmac_f64_e32 v[10:11], v[10:11], v[18:19]
	v_fma_f64 v[18:19], -v[8:9], v[10:11], 1.0
	v_fmac_f64_e32 v[10:11], v[10:11], v[18:19]
	v_mul_f64 v[18:19], v[16:17], v[10:11]
	v_fma_f64 v[8:9], -v[8:9], v[18:19], v[16:17]
	v_div_fmas_f64 v[8:9], v[8:9], v[10:11], v[18:19]
	v_div_fixup_f64 v[0:1], v[8:9], v[0:1], v[6:7]
	ds_write_b64 v5, v[0:1] offset:512
	s_waitcnt lgkmcnt(0)
	ds_read_b64 v[6:7], v20 offset:512
	ds_read_b64 v[8:9], v15
	s_waitcnt lgkmcnt(0)
	v_fmac_f64_e32 v[8:9], v[0:1], v[6:7]
	ds_write_b64 v15, v[8:9]
.LBB25_102:
	s_or_b64 exec, exec, s[0:1]
	s_waitcnt lgkmcnt(0)
	ds_read_b64 v[0:1], v4
	s_andn2_b64 vcc, exec, s[4:5]
	s_cbranch_vccnz .LBB25_104
; %bb.103:
	v_mov_b32_e32 v14, v3
.LBB25_104:
	v_add_u32_e32 v4, s30, v14
	v_ashrrev_i32_e32 v5, 31, v4
	v_lshlrev_b64 v[4:5], 3, v[4:5]
	v_mov_b32_e32 v3, s21
	v_add_co_u32_e32 v4, vcc, s20, v4
	v_addc_co_u32_e32 v5, vcc, v3, v5, vcc
	s_waitcnt lgkmcnt(0)
	global_store_dwordx2 v[4:5], v[0:1], off
	v_cmp_eq_u32_e64 s[0:1], 0, v2
.LBB25_105:
	s_and_saveexec_b64 s[2:3], s[0:1]
	s_cbranch_execnz .LBB25_113
.LBB25_106:
	s_endpgm
.LBB25_107:
	s_mov_b64 s[0:1], 0
	s_cbranch_execz .LBB25_105
; %bb.108:
	v_or_b32_e32 v0, v12, v13
	v_cmp_eq_u32_e32 vcc, 0, v0
	s_and_saveexec_b64 s[2:3], vcc
	s_cbranch_execz .LBB25_112
; %bb.109:
	v_mbcnt_lo_u32_b32 v0, exec_lo, 0
	v_mbcnt_hi_u32_b32 v0, exec_hi, v0
	v_cmp_eq_u32_e32 vcc, 0, v0
	s_and_saveexec_b64 s[4:5], vcc
	s_cbranch_execz .LBB25_111
; %bb.110:
	s_add_i32 s8, s12, s13
	v_mov_b32_e32 v0, 0
	v_mov_b32_e32 v1, s8
	global_atomic_smin v0, v1, s[14:15]
.LBB25_111:
	s_or_b64 exec, exec, s[4:5]
	s_or_b64 s[0:1], s[0:1], exec
.LBB25_112:
	s_or_b64 exec, exec, s[2:3]
	s_and_saveexec_b64 s[2:3], s[0:1]
	s_cbranch_execz .LBB25_106
.LBB25_113:
	s_add_u32 s0, s10, s6
	s_addc_u32 s1, s11, s7
	v_mov_b32_e32 v0, 0
	v_mov_b32_e32 v1, 1
	s_waitcnt vmcnt(0)
	global_store_dword v0, v1, s[0:1]
	s_endpgm
	.section	.rodata,"a",@progbits
	.p2align	6, 0x0
	.amdhsa_kernel _ZN9rocsparseL26bsric0_2_8_unrolled_kernelILi25ELi32ELi5EdEEv20rocsparse_direction_iiPKiS3_PT2_S3_PiS3_S6_21rocsparse_index_base_
		.amdhsa_group_segment_fixed_size 1344
		.amdhsa_private_segment_fixed_size 0
		.amdhsa_kernarg_size 76
		.amdhsa_user_sgpr_count 6
		.amdhsa_user_sgpr_private_segment_buffer 1
		.amdhsa_user_sgpr_dispatch_ptr 0
		.amdhsa_user_sgpr_queue_ptr 0
		.amdhsa_user_sgpr_kernarg_segment_ptr 1
		.amdhsa_user_sgpr_dispatch_id 0
		.amdhsa_user_sgpr_flat_scratch_init 0
		.amdhsa_user_sgpr_kernarg_preload_length 0
		.amdhsa_user_sgpr_kernarg_preload_offset 0
		.amdhsa_user_sgpr_private_segment_size 0
		.amdhsa_uses_dynamic_stack 0
		.amdhsa_system_sgpr_private_segment_wavefront_offset 0
		.amdhsa_system_sgpr_workgroup_id_x 1
		.amdhsa_system_sgpr_workgroup_id_y 0
		.amdhsa_system_sgpr_workgroup_id_z 0
		.amdhsa_system_sgpr_workgroup_info 0
		.amdhsa_system_vgpr_workitem_id 1
		.amdhsa_next_free_vgpr 72
		.amdhsa_next_free_sgpr 40
		.amdhsa_accum_offset 72
		.amdhsa_reserve_vcc 1
		.amdhsa_reserve_flat_scratch 0
		.amdhsa_float_round_mode_32 0
		.amdhsa_float_round_mode_16_64 0
		.amdhsa_float_denorm_mode_32 3
		.amdhsa_float_denorm_mode_16_64 3
		.amdhsa_dx10_clamp 1
		.amdhsa_ieee_mode 1
		.amdhsa_fp16_overflow 0
		.amdhsa_tg_split 0
		.amdhsa_exception_fp_ieee_invalid_op 0
		.amdhsa_exception_fp_denorm_src 0
		.amdhsa_exception_fp_ieee_div_zero 0
		.amdhsa_exception_fp_ieee_overflow 0
		.amdhsa_exception_fp_ieee_underflow 0
		.amdhsa_exception_fp_ieee_inexact 0
		.amdhsa_exception_int_div_zero 0
	.end_amdhsa_kernel
	.section	.text._ZN9rocsparseL26bsric0_2_8_unrolled_kernelILi25ELi32ELi5EdEEv20rocsparse_direction_iiPKiS3_PT2_S3_PiS3_S6_21rocsparse_index_base_,"axG",@progbits,_ZN9rocsparseL26bsric0_2_8_unrolled_kernelILi25ELi32ELi5EdEEv20rocsparse_direction_iiPKiS3_PT2_S3_PiS3_S6_21rocsparse_index_base_,comdat
.Lfunc_end25:
	.size	_ZN9rocsparseL26bsric0_2_8_unrolled_kernelILi25ELi32ELi5EdEEv20rocsparse_direction_iiPKiS3_PT2_S3_PiS3_S6_21rocsparse_index_base_, .Lfunc_end25-_ZN9rocsparseL26bsric0_2_8_unrolled_kernelILi25ELi32ELi5EdEEv20rocsparse_direction_iiPKiS3_PT2_S3_PiS3_S6_21rocsparse_index_base_
                                        ; -- End function
	.section	.AMDGPU.csdata,"",@progbits
; Kernel info:
; codeLenInByte = 7212
; NumSgprs: 44
; NumVgprs: 72
; NumAgprs: 0
; TotalNumVgprs: 72
; ScratchSize: 0
; MemoryBound: 1
; FloatMode: 240
; IeeeMode: 1
; LDSByteSize: 1344 bytes/workgroup (compile time only)
; SGPRBlocks: 5
; VGPRBlocks: 8
; NumSGPRsForWavesPerEU: 44
; NumVGPRsForWavesPerEU: 72
; AccumOffset: 72
; Occupancy: 7
; WaveLimiterHint : 1
; COMPUTE_PGM_RSRC2:SCRATCH_EN: 0
; COMPUTE_PGM_RSRC2:USER_SGPR: 6
; COMPUTE_PGM_RSRC2:TRAP_HANDLER: 0
; COMPUTE_PGM_RSRC2:TGID_X_EN: 1
; COMPUTE_PGM_RSRC2:TGID_Y_EN: 0
; COMPUTE_PGM_RSRC2:TGID_Z_EN: 0
; COMPUTE_PGM_RSRC2:TIDIG_COMP_CNT: 1
; COMPUTE_PGM_RSRC3_GFX90A:ACCUM_OFFSET: 17
; COMPUTE_PGM_RSRC3_GFX90A:TG_SPLIT: 0
	.section	.text._ZN9rocsparseL26bsric0_2_8_unrolled_kernelILi36ELi32ELi6EdEEv20rocsparse_direction_iiPKiS3_PT2_S3_PiS3_S6_21rocsparse_index_base_,"axG",@progbits,_ZN9rocsparseL26bsric0_2_8_unrolled_kernelILi36ELi32ELi6EdEEv20rocsparse_direction_iiPKiS3_PT2_S3_PiS3_S6_21rocsparse_index_base_,comdat
	.globl	_ZN9rocsparseL26bsric0_2_8_unrolled_kernelILi36ELi32ELi6EdEEv20rocsparse_direction_iiPKiS3_PT2_S3_PiS3_S6_21rocsparse_index_base_ ; -- Begin function _ZN9rocsparseL26bsric0_2_8_unrolled_kernelILi36ELi32ELi6EdEEv20rocsparse_direction_iiPKiS3_PT2_S3_PiS3_S6_21rocsparse_index_base_
	.p2align	8
	.type	_ZN9rocsparseL26bsric0_2_8_unrolled_kernelILi36ELi32ELi6EdEEv20rocsparse_direction_iiPKiS3_PT2_S3_PiS3_S6_21rocsparse_index_base_,@function
_ZN9rocsparseL26bsric0_2_8_unrolled_kernelILi36ELi32ELi6EdEEv20rocsparse_direction_iiPKiS3_PT2_S3_PiS3_S6_21rocsparse_index_base_: ; @_ZN9rocsparseL26bsric0_2_8_unrolled_kernelILi36ELi32ELi6EdEEv20rocsparse_direction_iiPKiS3_PT2_S3_PiS3_S6_21rocsparse_index_base_
; %bb.0:
	s_load_dwordx8 s[8:15], s[4:5], 0x28
	s_mov_b32 s7, 0
	s_lshl_b64 s[0:1], s[6:7], 2
	v_and_b32_e32 v12, 0x3ff, v0
	v_bfe_u32 v13, v0, 10, 10
	s_waitcnt lgkmcnt(0)
	s_add_u32 s0, s12, s0
	s_addc_u32 s1, s13, s1
	s_load_dword s12, s[0:1], 0x0
	s_waitcnt lgkmcnt(0)
	s_ashr_i32 s13, s12, 31
	s_lshl_b64 s[6:7], s[12:13], 2
	s_add_u32 s0, s8, s6
	s_addc_u32 s1, s9, s7
	s_load_dword s30, s[0:1], 0x0
	s_load_dword s13, s[4:5], 0x48
	s_waitcnt lgkmcnt(0)
	s_cmp_lg_u32 s30, -1
	s_cbranch_scc0 .LBB26_119
; %bb.1:
	s_load_dwordx4 s[16:19], s[4:5], 0x10
	s_load_dwordx2 s[20:21], s[4:5], 0x20
	v_mad_u32_u24 v14, v13, 6, v12
	v_mul_u32_u24_e32 v17, 6, v13
	s_waitcnt lgkmcnt(0)
	s_add_u32 s0, s16, s6
	s_addc_u32 s1, s17, s7
	s_load_dword s26, s[0:1], 0x0
	s_waitcnt lgkmcnt(0)
	s_sub_i32 s31, s26, s13
	v_add_u32_e32 v0, s31, v14
	v_cmp_ge_i32_e32 vcc, s30, v0
	s_and_saveexec_b64 s[0:1], vcc
	s_cbranch_execz .LBB26_14
; %bb.2:
	v_add_u32_e32 v1, s26, v12
	v_add_u32_e32 v2, v1, v17
	v_subrev_u32_e32 v2, s13, v2
	v_add_u32_e32 v2, 36, v2
	s_add_i32 s2, s30, 1
	v_max_i32_e32 v2, s2, v2
	v_add_u32_e32 v2, s13, v2
	v_sub_u32_e32 v1, v2, v1
	v_subrev_u32_e32 v1, 36, v1
	v_cmp_ne_u32_e32 vcc, v1, v17
	v_cndmask_b32_e64 v2, 0, 1, vcc
	v_or_b32_e32 v2, v17, v2
	v_sub_u32_e32 v1, v1, v2
	s_mov_b32 s2, 0x38e38e39
	v_mul_hi_u32 v1, v1, s2
	v_lshrrev_b32_e32 v1, 3, v1
	v_addc_co_u32_e32 v15, vcc, 0, v1, vcc
	v_cmp_ne_u32_e32 vcc, 0, v15
	s_mov_b64 s[22:23], -1
	s_and_saveexec_b64 s[2:3], vcc
	s_cbranch_execz .LBB26_11
; %bb.3:
	v_add_u32_e32 v2, -1, v15
	v_add_u32_e32 v1, 36, v0
	v_lshrrev_b32_e32 v2, 1, v2
	v_add_u32_e32 v16, 1, v2
	v_cmp_lt_u32_e32 vcc, 14, v15
	v_pk_mov_b32 v[2:3], v[0:1], v[0:1] op_sel:[0,1]
	s_and_saveexec_b64 s[22:23], vcc
	s_cbranch_execz .LBB26_7
; %bb.4:
	v_and_b32_e32 v18, -8, v16
	s_mov_b64 s[24:25], 0
	v_mov_b32_e32 v19, s19
	v_pk_mov_b32 v[2:3], v[0:1], v[0:1] op_sel:[0,1]
.LBB26_5:                               ; =>This Inner Loop Header: Depth=1
	v_ashrrev_i32_e32 v23, 31, v2
	v_mov_b32_e32 v22, v2
	v_lshlrev_b64 v[22:23], 2, v[22:23]
	v_ashrrev_i32_e32 v21, 31, v3
	v_mov_b32_e32 v20, v3
	v_add_co_u32_e32 v22, vcc, s18, v22
	v_add_u32_e32 v4, 0x48, v2
	v_lshlrev_b64 v[20:21], 2, v[20:21]
	v_addc_co_u32_e32 v23, vcc, v19, v23, vcc
	v_ashrrev_i32_e32 v5, 31, v4
	v_add_co_u32_e32 v20, vcc, s18, v20
	v_add_u32_e32 v6, 0x48, v3
	v_addc_co_u32_e32 v21, vcc, v19, v21, vcc
	v_lshlrev_b64 v[42:43], 2, v[4:5]
	v_ashrrev_i32_e32 v7, 31, v6
	v_add_co_u32_e32 v42, vcc, s18, v42
	v_add_u32_e32 v8, 0x90, v2
	v_lshlrev_b64 v[44:45], 2, v[6:7]
	v_addc_co_u32_e32 v43, vcc, v19, v43, vcc
	v_ashrrev_i32_e32 v9, 31, v8
	v_add_co_u32_e32 v44, vcc, s18, v44
	v_add_u32_e32 v10, 0x90, v3
	v_lshlrev_b64 v[46:47], 2, v[8:9]
	v_addc_co_u32_e32 v45, vcc, v19, v45, vcc
	;; [unrolled: 5-line block ×11, first 2 shown]
	v_ashrrev_i32_e32 v41, 31, v40
	v_add_co_u32_e32 v64, vcc, s18, v64
	v_addc_co_u32_e32 v65, vcc, v19, v65, vcc
	v_lshlrev_b64 v[66:67], 2, v[40:41]
	v_add_u32_e32 v68, 0x1f8, v3
	v_add_co_u32_e32 v66, vcc, s18, v66
	v_ashrrev_i32_e32 v69, 31, v68
	v_addc_co_u32_e32 v67, vcc, v19, v67, vcc
	v_lshlrev_b64 v[70:71], 2, v[68:69]
	v_add_co_u32_e32 v70, vcc, s18, v70
	v_addc_co_u32_e32 v71, vcc, v19, v71, vcc
	global_load_dword v1, v[20:21], off
	global_load_dword v5, v[22:23], off
	;; [unrolled: 1-line block ×15, first 2 shown]
                                        ; kill: killed $vgpr46 killed $vgpr47
                                        ; kill: killed $vgpr70 killed $vgpr71
                                        ; kill: killed $vgpr42 killed $vgpr43
                                        ; kill: killed $vgpr64 killed $vgpr65
                                        ; kill: killed $vgpr62 killed $vgpr63
                                        ; kill: killed $vgpr60 killed $vgpr61
                                        ; kill: killed $vgpr20 killed $vgpr21
                                        ; kill: killed $vgpr56 killed $vgpr57
                                        ; kill: killed $vgpr58 killed $vgpr59
                                        ; kill: killed $vgpr22 killed $vgpr23
                                        ; kill: killed $vgpr52 killed $vgpr53
                                        ; kill: killed $vgpr54 killed $vgpr55
                                        ; kill: killed $vgpr48 killed $vgpr49
                                        ; kill: killed $vgpr50 killed $vgpr51
                                        ; kill: killed $vgpr44 killed $vgpr45
	global_load_dword v20, v[66:67], off
	v_subrev_u32_e32 v22, s31, v2
	v_add_u32_e32 v18, -8, v18
	v_subrev_u32_e32 v21, s31, v3
	v_lshlrev_b32_e32 v22, 2, v22
	v_subrev_u32_e32 v4, s31, v4
	v_cmp_eq_u32_e32 vcc, 0, v18
	v_add_u32_e32 v3, 0x240, v3
	v_add_u32_e32 v2, 0x240, v2
	v_lshlrev_b32_e32 v21, 2, v21
	v_subrev_u32_e32 v6, s31, v6
	v_subrev_u32_e32 v10, s31, v10
	;; [unrolled: 1-line block ×13, first 2 shown]
	v_lshlrev_b32_e32 v4, 2, v4
	s_or_b64 s[24:25], vcc, s[24:25]
	v_lshlrev_b32_e32 v6, 2, v6
	v_lshlrev_b32_e32 v8, 2, v8
	;; [unrolled: 1-line block ×13, first 2 shown]
	s_waitcnt vmcnt(15)
	v_subrev_u32_e32 v1, s13, v1
	s_waitcnt vmcnt(14)
	v_subrev_u32_e32 v5, s13, v5
	ds_write_b32 v22, v5 offset:1600
	ds_write_b32 v21, v1 offset:1600
	s_waitcnt vmcnt(12)
	v_subrev_u32_e32 v5, s13, v9
	v_subrev_u32_e32 v1, s13, v7
	s_waitcnt vmcnt(11)
	v_subrev_u32_e32 v7, s13, v11
	s_waitcnt vmcnt(10)
	;; [unrolled: 2-line block ×12, first 2 shown]
	v_subrev_u32_e32 v20, s13, v20
	ds_write_b32 v4, v5 offset:1600
	ds_write_b32 v6, v1 offset:1600
	;; [unrolled: 1-line block ×14, first 2 shown]
	s_andn2_b64 exec, exec, s[24:25]
	s_cbranch_execnz .LBB26_5
; %bb.6:
	s_or_b64 exec, exec, s[24:25]
.LBB26_7:
	s_or_b64 exec, exec, s[22:23]
	v_and_b32_e32 v1, 7, v16
	v_cmp_ne_u32_e32 vcc, 0, v1
	s_and_saveexec_b64 s[22:23], vcc
	s_cbranch_execz .LBB26_10
; %bb.8:
	v_sub_u32_e32 v1, 0, v1
	s_mov_b64 s[24:25], 0
	v_mov_b32_e32 v4, s19
.LBB26_9:                               ; =>This Inner Loop Header: Depth=1
	v_ashrrev_i32_e32 v9, 31, v2
	v_mov_b32_e32 v8, v2
	v_lshlrev_b64 v[8:9], 2, v[8:9]
	v_ashrrev_i32_e32 v7, 31, v3
	v_mov_b32_e32 v6, v3
	v_add_co_u32_e32 v8, vcc, s18, v8
	v_lshlrev_b64 v[6:7], 2, v[6:7]
	v_addc_co_u32_e32 v9, vcc, v4, v9, vcc
	v_add_co_u32_e32 v6, vcc, s18, v6
	v_addc_co_u32_e32 v7, vcc, v4, v7, vcc
	global_load_dword v5, v[6:7], off
	global_load_dword v10, v[8:9], off
	v_subrev_u32_e32 v7, s31, v2
	v_add_co_u32_e32 v1, vcc, 1, v1
	v_subrev_u32_e32 v6, s31, v3
	v_add_u32_e32 v3, 0x48, v3
	v_add_u32_e32 v2, 0x48, v2
	v_lshlrev_b32_e32 v7, 2, v7
	s_or_b64 s[24:25], vcc, s[24:25]
	v_lshlrev_b32_e32 v6, 2, v6
	s_waitcnt vmcnt(1)
	v_subrev_u32_e32 v5, s13, v5
	s_waitcnt vmcnt(0)
	v_subrev_u32_e32 v8, s13, v10
	ds_write_b32 v7, v8 offset:1600
	ds_write_b32 v6, v5 offset:1600
	s_andn2_b64 exec, exec, s[24:25]
	s_cbranch_execnz .LBB26_9
.LBB26_10:
	s_or_b64 exec, exec, s[22:23]
	v_add_u32_e32 v2, 1, v15
	v_and_b32_e32 v3, 0x1ffffffe, v2
	v_mad_u64_u32 v[0:1], s[22:23], v3, 36, v[0:1]
	v_cmp_ne_u32_e32 vcc, v2, v3
	s_orn2_b64 s[22:23], vcc, exec
.LBB26_11:
	s_or_b64 exec, exec, s[2:3]
	s_and_b64 exec, exec, s[22:23]
	s_cbranch_execz .LBB26_14
; %bb.12:
	v_add_u32_e32 v1, s13, v0
	v_subrev_u32_e32 v1, s26, v1
	v_mov_b32_e32 v2, 0x640
	v_lshl_add_u32 v4, v1, 2, v2
	v_ashrrev_i32_e32 v1, 31, v0
	v_lshlrev_b64 v[2:3], 2, v[0:1]
	v_mov_b32_e32 v1, s19
	v_add_co_u32_e32 v2, vcc, s18, v2
	v_addc_co_u32_e32 v3, vcc, v1, v3, vcc
	s_mov_b64 s[2:3], 0
.LBB26_13:                              ; =>This Inner Loop Header: Depth=1
	global_load_dword v1, v[2:3], off
	v_add_co_u32_e32 v2, vcc, 0x90, v2
	v_add_u32_e32 v0, 36, v0
	v_addc_co_u32_e32 v3, vcc, 0, v3, vcc
	v_cmp_lt_i32_e32 vcc, s30, v0
	s_or_b64 s[2:3], vcc, s[2:3]
	s_waitcnt vmcnt(0)
	v_subrev_u32_e32 v1, s13, v1
	ds_write_b32 v4, v1
	v_add_u32_e32 v4, 0x90, v4
	s_andn2_b64 exec, exec, s[2:3]
	s_cbranch_execnz .LBB26_13
.LBB26_14:
	s_or_b64 exec, exec, s[0:1]
	s_load_dword s33, s[4:5], 0x0
	v_lshlrev_b32_e32 v2, 3, v12
	v_mad_u32_u24 v16, v13, 56, v2
	v_mov_b32_e32 v0, 0
	v_add_u32_e32 v15, 0x3f0, v16
	v_mov_b32_e32 v1, v0
	s_cmp_ge_i32 s31, s30
	v_mad_u32_u24 v3, v12, 6, v13
	ds_write_b64 v16, v[0:1] offset:1008
	s_waitcnt lgkmcnt(0)
	s_cbranch_scc1 .LBB26_64
; %bb.15:
	v_mov_b32_e32 v5, 0x2a0
	v_mov_b32_e32 v6, 0x150
	s_cmp_eq_u32 s33, 0
	v_mad_u32_u24 v18, v13, 56, v5
	v_mad_u32_u24 v20, v13, 56, v6
	;; [unrolled: 1-line block ×3, first 2 shown]
	s_cselect_b64 vcc, -1, 0
	s_cmp_lg_u32 s33, 0
	v_add_u32_e32 v19, v18, v2
	v_add_u32_e32 v21, v20, v2
	v_or_b32_e32 v2, v12, v13
	s_cselect_b64 s[2:3], -1, 0
	v_mul_u32_u24_e32 v1, 6, v12
	v_cmp_ne_u32_e64 s[0:1], 0, v2
	v_mad_u32_u24 v22, v12, 56, v5
	v_cndmask_b32_e32 v2, v4, v14, vcc
	v_mov_b32_e32 v23, 0x3ff00000
	s_mov_b32 s4, s31
	s_branch .LBB26_19
.LBB26_16:                              ;   in Loop: Header=BB26_19 Depth=1
	s_or_b64 exec, exec, s[24:25]
	v_mov_b32_e32 v8, 0
	v_mov_b32_e32 v9, 0x3ff00000
.LBB26_17:                              ;   in Loop: Header=BB26_19 Depth=1
	s_or_b64 exec, exec, s[22:23]
	ds_read2_b64 v[24:27], v0 offset0:35 offset1:36
	ds_read2_b64 v[28:31], v18 offset1:1
	ds_read_b64 v[10:11], v20 offset:40
	ds_read2_b64 v[32:35], v0 offset0:37 offset1:38
	ds_read2_b64 v[36:39], v18 offset0:2 offset1:3
	ds_read_b64 v[40:41], v18 offset:32
	ds_read_b64 v[42:43], v0 offset:312
	s_waitcnt lgkmcnt(4)
	v_fmac_f64_e32 v[10:11], v[24:25], v[28:29]
	v_fmac_f64_e32 v[10:11], v[26:27], v[30:31]
	s_waitcnt lgkmcnt(2)
	v_fmac_f64_e32 v[10:11], v[32:33], v[36:37]
	v_fmac_f64_e32 v[10:11], v[34:35], v[38:39]
	s_waitcnt lgkmcnt(0)
	v_fmac_f64_e32 v[10:11], v[42:43], v[40:41]
	v_add_f64 v[6:7], v[6:7], -v[10:11]
	v_div_scale_f64 v[10:11], s[22:23], v[8:9], v[8:9], v[6:7]
	v_rcp_f64_e32 v[24:25], v[10:11]
	s_add_i32 s4, s4, 1
	s_cmp_ge_i32 s4, s30
	s_cselect_b64 s[26:27], -1, 0
	v_fma_f64 v[26:27], -v[10:11], v[24:25], 1.0
	v_fmac_f64_e32 v[24:25], v[24:25], v[26:27]
	v_fma_f64 v[26:27], -v[10:11], v[24:25], 1.0
	v_fmac_f64_e32 v[24:25], v[24:25], v[26:27]
	v_div_scale_f64 v[26:27], vcc, v[6:7], v[8:9], v[6:7]
	v_mul_f64 v[28:29], v[26:27], v[24:25]
	v_fma_f64 v[10:11], -v[10:11], v[28:29], v[26:27]
	s_nop 1
	v_div_fmas_f64 v[10:11], v[10:11], v[24:25], v[28:29]
	v_div_fixup_f64 v[6:7], v[10:11], v[8:9], v[6:7]
	ds_write_b64 v18, v[6:7] offset:40
	s_waitcnt lgkmcnt(0)
	ds_read_b64 v[8:9], v22 offset:40
	ds_read_b64 v[10:11], v15
	s_waitcnt lgkmcnt(0)
	v_fmac_f64_e32 v[10:11], v[6:7], v[8:9]
	ds_write_b64 v15, v[10:11]
	s_waitcnt lgkmcnt(0)
	ds_read_b64 v[6:7], v19
	s_waitcnt lgkmcnt(0)
	global_store_dwordx2 v[4:5], v[6:7], off
	s_waitcnt vmcnt(0)
	buffer_wbinvl1_vol
.LBB26_18:                              ;   in Loop: Header=BB26_19 Depth=1
	s_and_b64 vcc, exec, s[26:27]
	s_cbranch_vccnz .LBB26_64
.LBB26_19:                              ; =>This Loop Header: Depth=1
                                        ;     Child Loop BB26_22 Depth 2
                                        ;     Child Loop BB26_33 Depth 2
	s_ashr_i32 s5, s4, 31
	s_lshl_b64 s[22:23], s[4:5], 2
	s_add_u32 s22, s18, s22
	s_addc_u32 s23, s19, s23
	s_load_dword s5, s[22:23], 0x0
	s_waitcnt lgkmcnt(0)
	s_sub_i32 s24, s5, s13
	s_ashr_i32 s25, s24, 31
	s_lshl_b64 s[22:23], s[24:25], 2
	s_add_u32 s26, s8, s22
	s_addc_u32 s27, s9, s23
	s_load_dword s25, s[26:27], 0x0
	s_mov_b64 s[26:27], -1
	s_waitcnt lgkmcnt(0)
	s_cmp_eq_u32 s25, -1
	s_cbranch_scc1 .LBB26_18
; %bb.20:                               ;   in Loop: Header=BB26_19 Depth=1
	v_mad_u64_u32 v[4:5], s[26:27], s4, 36, v[2:3]
	v_ashrrev_i32_e32 v5, 31, v4
	v_lshlrev_b64 v[4:5], 3, v[4:5]
	v_mov_b32_e32 v6, s21
	v_add_co_u32_e32 v4, vcc, s20, v4
	v_addc_co_u32_e32 v5, vcc, v6, v5, vcc
	global_load_dwordx2 v[6:7], v[4:5], off
	s_add_u32 s26, s16, s22
	s_addc_u32 s27, s17, s23
	s_load_dword s26, s[26:27], 0x0
	ds_read_b32 v8, v0 offset:1600
	s_mov_b32 s27, 0
	s_waitcnt lgkmcnt(0)
	s_sub_i32 s26, s26, s13
	s_cmp_le_i32 s26, s25
	v_cmp_ge_i32_e32 vcc, s24, v8
	s_cselect_b64 s[28:29], -1, 0
	s_and_b64 s[28:29], s[28:29], vcc
	s_andn2_b64 vcc, exec, s[28:29]
	s_waitcnt vmcnt(0)
	ds_write_b64 v19, v[6:7]
	s_cbranch_vccnz .LBB26_32
; %bb.21:                               ;   in Loop: Header=BB26_19 Depth=1
	s_mov_b32 s34, 0
	s_mov_b32 s35, 0
.LBB26_22:                              ;   Parent Loop BB26_19 Depth=1
                                        ; =>  This Inner Loop Header: Depth=2
	s_ashr_i32 s27, s26, 31
	s_lshl_b64 s[28:29], s[26:27], 2
	s_add_u32 s28, s18, s28
	s_addc_u32 s29, s19, s29
	s_load_dword s27, s[28:29], 0x0
	s_lshl_b32 s28, s35, 2
	v_mov_b32_e32 v6, s28
	ds_read_b32 v6, v6 offset:1600
	s_mov_b64 s[28:29], -1
	s_waitcnt lgkmcnt(0)
	s_sub_i32 s39, s27, s13
                                        ; implicit-def: $sgpr27
                                        ; implicit-def: $sgpr38
                                        ; implicit-def: $sgpr37
	v_cmp_ge_i32_e32 vcc, s39, v6
	v_readfirstlane_b32 s36, v6
	s_cbranch_vccz .LBB26_28
; %bb.23:                               ;   in Loop: Header=BB26_22 Depth=2
	s_cmp_le_i32 s39, s36
                                        ; implicit-def: $sgpr27
                                        ; implicit-def: $sgpr38
                                        ; implicit-def: $sgpr37
	s_cbranch_scc0 .LBB26_25
; %bb.24:                               ;   in Loop: Header=BB26_22 Depth=2
	s_add_i32 s27, s35, s31
	s_mul_i32 s27, s27, 36
	s_lshl_b32 s28, s34, 2
	v_mov_b32_e32 v6, s28
	v_mov_b32_e32 v7, s27
	s_mul_i32 s27, s26, 36
	v_mov_b32_e32 v8, s27
	v_add_u32_e32 v6, 0x400, v6
	ds_write2_b32 v6, v8, v7 offset0:80 offset1:112
	s_add_i32 s37, s35, 1
	s_add_i32 s38, s26, 1
	;; [unrolled: 1-line block ×3, first 2 shown]
	s_mov_b64 s[28:29], 0
.LBB26_25:                              ;   in Loop: Header=BB26_22 Depth=2
	s_andn2_b64 vcc, exec, s[28:29]
	s_cbranch_vccnz .LBB26_27
; %bb.26:                               ;   in Loop: Header=BB26_22 Depth=2
	s_add_i32 s37, s35, 1
	s_mov_b32 s27, s34
	s_mov_b32 s38, s26
.LBB26_27:                              ;   in Loop: Header=BB26_22 Depth=2
	s_mov_b64 s[28:29], 0
.LBB26_28:                              ;   in Loop: Header=BB26_22 Depth=2
	s_andn2_b64 vcc, exec, s[28:29]
	s_cbranch_vccnz .LBB26_30
; %bb.29:                               ;   in Loop: Header=BB26_22 Depth=2
	s_add_i32 s38, s26, 1
	s_mov_b32 s37, s35
	s_mov_b32 s27, s34
.LBB26_30:                              ;   in Loop: Header=BB26_22 Depth=2
	s_cmp_le_i32 s38, s25
	s_cselect_b64 s[28:29], -1, 0
	s_cmp_le_i32 s36, s24
	s_cselect_b64 s[34:35], -1, 0
	s_and_b64 s[28:29], s[28:29], s[34:35]
	s_and_b64 vcc, exec, s[28:29]
	s_cbranch_vccz .LBB26_32
; %bb.31:                               ;   in Loop: Header=BB26_22 Depth=2
	s_mov_b32 s34, s27
	s_mov_b32 s26, s38
	;; [unrolled: 1-line block ×3, first 2 shown]
	s_branch .LBB26_22
.LBB26_32:                              ;   in Loop: Header=BB26_19 Depth=1
	s_add_u32 s22, s10, s22
	s_addc_u32 s23, s11, s23
	s_waitcnt lgkmcnt(0)
.LBB26_33:                              ;   Parent Loop BB26_19 Depth=1
                                        ; =>  This Inner Loop Header: Depth=2
	global_load_dword v6, v0, s[22:23] glc
	s_waitcnt vmcnt(0)
	v_cmp_eq_u32_e32 vcc, 0, v6
	s_cbranch_vccnz .LBB26_33
; %bb.34:                               ;   in Loop: Header=BB26_19 Depth=1
	v_mad_u64_u32 v[6:7], s[22:23], s25, 36, v[2:3]
	v_ashrrev_i32_e32 v7, 31, v6
	v_lshlrev_b64 v[6:7], 3, v[6:7]
	v_mov_b32_e32 v8, s21
	v_add_co_u32_e32 v6, vcc, s20, v6
	v_addc_co_u32_e32 v7, vcc, v8, v7, vcc
	buffer_wbinvl1_vol
	global_load_dwordx2 v[6:7], v[6:7], off
	s_cmp_lt_i32 s27, 2
	v_pk_mov_b32 v[10:11], 0, 0
	s_waitcnt vmcnt(0)
	ds_write_b64 v16, v[6:7]
	s_waitcnt lgkmcnt(0)
	s_cbranch_scc1 .LBB26_41
; %bb.35:                               ;   in Loop: Header=BB26_19 Depth=1
	s_add_i32 s24, s27, -1
	s_movk_i32 s25, 0x540
	v_pk_mov_b32 v[6:7], 0, 0
	v_mov_b32_e32 v8, s25
	ds_read2_b32 v[8:9], v8 offset1:32
	s_and_b64 vcc, exec, s[2:3]
	s_cbranch_vccz .LBB26_37
.LBB26_36:                              ;   in Loop: Header=BB26_19 Depth=1
	s_waitcnt lgkmcnt(0)
	v_add_u32_e32 v10, v8, v12
	v_ashrrev_i32_e32 v11, 31, v10
	v_lshlrev_b64 v[24:25], 3, v[10:11]
	v_add_u32_e32 v26, v9, v13
	v_mov_b32_e32 v50, s21
	v_add_co_u32_e32 v24, vcc, s20, v24
	v_ashrrev_i32_e32 v27, 31, v26
	v_addc_co_u32_e32 v25, vcc, v50, v25, vcc
	v_lshlrev_b64 v[28:29], 3, v[26:27]
	v_add_u32_e32 v30, 6, v10
	v_add_co_u32_e32 v28, vcc, s20, v28
	v_ashrrev_i32_e32 v31, 31, v30
	v_addc_co_u32_e32 v29, vcc, v50, v29, vcc
	v_lshlrev_b64 v[30:31], 3, v[30:31]
	v_add_u32_e32 v32, 6, v26
	v_add_co_u32_e32 v30, vcc, s20, v30
	v_ashrrev_i32_e32 v33, 31, v32
	v_addc_co_u32_e32 v31, vcc, v50, v31, vcc
	v_lshlrev_b64 v[32:33], 3, v[32:33]
	v_add_co_u32_e32 v32, vcc, s20, v32
	v_addc_co_u32_e32 v33, vcc, v50, v33, vcc
	global_load_dwordx2 v[34:35], v[24:25], off
	global_load_dwordx2 v[36:37], v[28:29], off
	;; [unrolled: 1-line block ×4, first 2 shown]
	v_add_u32_e32 v24, 12, v10
	v_ashrrev_i32_e32 v25, 31, v24
	v_lshlrev_b64 v[24:25], 3, v[24:25]
	v_add_u32_e32 v28, 12, v26
	v_add_co_u32_e32 v24, vcc, s20, v24
	v_ashrrev_i32_e32 v29, 31, v28
	v_addc_co_u32_e32 v25, vcc, v50, v25, vcc
	v_lshlrev_b64 v[28:29], 3, v[28:29]
	v_add_u32_e32 v30, 18, v10
	v_add_co_u32_e32 v28, vcc, s20, v28
	v_ashrrev_i32_e32 v31, 31, v30
	v_addc_co_u32_e32 v29, vcc, v50, v29, vcc
	;; [unrolled: 5-line block ×3, first 2 shown]
	v_lshlrev_b64 v[32:33], 3, v[32:33]
	v_add_co_u32_e32 v32, vcc, s20, v32
	v_addc_co_u32_e32 v33, vcc, v50, v33, vcc
	global_load_dwordx2 v[42:43], v[24:25], off
	global_load_dwordx2 v[44:45], v[28:29], off
	;; [unrolled: 1-line block ×4, first 2 shown]
	v_add_u32_e32 v24, 24, v10
	v_ashrrev_i32_e32 v25, 31, v24
	v_lshlrev_b64 v[24:25], 3, v[24:25]
	v_add_u32_e32 v28, 24, v26
	v_add_co_u32_e32 v24, vcc, s20, v24
	v_ashrrev_i32_e32 v29, 31, v28
	v_addc_co_u32_e32 v25, vcc, v50, v25, vcc
	v_lshlrev_b64 v[28:29], 3, v[28:29]
	v_add_u32_e32 v10, 30, v10
	v_add_co_u32_e32 v28, vcc, s20, v28
	v_ashrrev_i32_e32 v11, 31, v10
	v_addc_co_u32_e32 v29, vcc, v50, v29, vcc
	;; [unrolled: 5-line block ×3, first 2 shown]
	v_lshlrev_b64 v[26:27], 3, v[26:27]
	v_add_co_u32_e32 v26, vcc, s20, v26
	v_addc_co_u32_e32 v27, vcc, v50, v27, vcc
	global_load_dwordx2 v[30:31], v[24:25], off
	global_load_dwordx2 v[32:33], v[28:29], off
	;; [unrolled: 1-line block ×4, first 2 shown]
	s_waitcnt vmcnt(10)
	v_fma_f64 v[10:11], v[34:35], v[36:37], v[6:7]
	s_waitcnt vmcnt(8)
	v_fmac_f64_e32 v[10:11], v[38:39], v[40:41]
	s_waitcnt vmcnt(6)
	v_fmac_f64_e32 v[10:11], v[42:43], v[44:45]
	;; [unrolled: 2-line block ×5, first 2 shown]
	s_cbranch_execz .LBB26_38
	s_branch .LBB26_39
.LBB26_37:                              ;   in Loop: Header=BB26_19 Depth=1
                                        ; implicit-def: $vgpr10_vgpr11
.LBB26_38:                              ;   in Loop: Header=BB26_19 Depth=1
	s_waitcnt lgkmcnt(0)
	v_add_u32_e32 v10, v8, v1
	v_ashrrev_i32_e32 v11, 31, v10
	v_lshlrev_b64 v[10:11], 3, v[10:11]
	v_mov_b32_e32 v28, s21
	v_add_co_u32_e32 v44, vcc, s20, v10
	v_addc_co_u32_e32 v45, vcc, v28, v11, vcc
	v_add_u32_e32 v8, v9, v17
	global_load_dwordx4 v[24:27], v[44:45], off
	v_ashrrev_i32_e32 v9, 31, v8
	v_lshlrev_b64 v[8:9], 3, v[8:9]
	v_add_co_u32_e32 v46, vcc, s20, v8
	v_addc_co_u32_e32 v47, vcc, v28, v9, vcc
	global_load_dwordx4 v[8:11], v[46:47], off
	global_load_dwordx4 v[28:31], v[44:45], off offset:16
	global_load_dwordx4 v[32:35], v[46:47], off offset:16
	;; [unrolled: 1-line block ×4, first 2 shown]
	s_waitcnt vmcnt(4)
	v_fmac_f64_e32 v[6:7], v[24:25], v[8:9]
	v_fmac_f64_e32 v[6:7], v[26:27], v[10:11]
	s_waitcnt vmcnt(2)
	v_fmac_f64_e32 v[6:7], v[28:29], v[32:33]
	v_fmac_f64_e32 v[6:7], v[30:31], v[34:35]
	s_waitcnt vmcnt(0)
	v_fmac_f64_e32 v[6:7], v[36:37], v[40:41]
	v_fmac_f64_e32 v[6:7], v[38:39], v[42:43]
	v_pk_mov_b32 v[10:11], v[6:7], v[6:7] op_sel:[0,1]
.LBB26_39:                              ;   in Loop: Header=BB26_19 Depth=1
	s_add_i32 s24, s24, -1
	s_add_i32 s25, s25, 4
	s_cmp_eq_u32 s24, 0
	s_cbranch_scc1 .LBB26_41
; %bb.40:                               ;   in Loop: Header=BB26_19 Depth=1
	v_pk_mov_b32 v[6:7], v[10:11], v[10:11] op_sel:[0,1]
	s_waitcnt lgkmcnt(0)
	v_mov_b32_e32 v8, s25
	ds_read2_b32 v[8:9], v8 offset1:32
	s_and_b64 vcc, exec, s[2:3]
	s_cbranch_vccz .LBB26_37
	s_branch .LBB26_36
.LBB26_41:                              ;   in Loop: Header=BB26_19 Depth=1
	ds_write_b64 v21, v[10:11]
	s_waitcnt lgkmcnt(0)
	ds_read_b64 v[8:9], v0
	ds_read_b64 v[6:7], v18
	s_waitcnt lgkmcnt(1)
	v_cmp_neq_f64_e32 vcc, 0, v[8:9]
	s_or_b64 s[22:23], vcc, s[0:1]
	v_cndmask_b32_e32 v9, v23, v9, vcc
	s_xor_b64 s[24:25], s[22:23], -1
	v_cndmask_b32_e32 v8, 0, v8, vcc
	s_and_saveexec_b64 s[22:23], s[24:25]
	s_cbranch_execz .LBB26_45
; %bb.42:                               ;   in Loop: Header=BB26_19 Depth=1
	v_mbcnt_lo_u32_b32 v8, exec_lo, 0
	v_mbcnt_hi_u32_b32 v8, exec_hi, v8
	v_cmp_eq_u32_e32 vcc, 0, v8
	s_and_saveexec_b64 s[24:25], vcc
	s_cbranch_execz .LBB26_44
; %bb.43:                               ;   in Loop: Header=BB26_19 Depth=1
	v_mov_b32_e32 v8, s5
	global_atomic_smin v0, v8, s[14:15]
.LBB26_44:                              ;   in Loop: Header=BB26_19 Depth=1
	s_or_b64 exec, exec, s[24:25]
	v_mov_b32_e32 v8, 0
	v_mov_b32_e32 v9, 0x3ff00000
.LBB26_45:                              ;   in Loop: Header=BB26_19 Depth=1
	s_or_b64 exec, exec, s[22:23]
	ds_read_b64 v[10:11], v20
	s_waitcnt lgkmcnt(0)
	v_add_f64 v[6:7], v[6:7], -v[10:11]
	v_div_scale_f64 v[10:11], s[22:23], v[8:9], v[8:9], v[6:7]
	v_rcp_f64_e32 v[24:25], v[10:11]
	v_div_scale_f64 v[26:27], vcc, v[6:7], v[8:9], v[6:7]
	v_fma_f64 v[28:29], -v[10:11], v[24:25], 1.0
	v_fmac_f64_e32 v[24:25], v[24:25], v[28:29]
	v_fma_f64 v[28:29], -v[10:11], v[24:25], 1.0
	v_fmac_f64_e32 v[24:25], v[24:25], v[28:29]
	v_mul_f64 v[28:29], v[26:27], v[24:25]
	v_fma_f64 v[10:11], -v[10:11], v[28:29], v[26:27]
	v_div_fmas_f64 v[10:11], v[10:11], v[24:25], v[28:29]
	v_div_fixup_f64 v[6:7], v[10:11], v[8:9], v[6:7]
	ds_write_b64 v18, v[6:7]
	s_waitcnt lgkmcnt(0)
	ds_read_b64 v[8:9], v22
	ds_read_b64 v[10:11], v15
	s_waitcnt lgkmcnt(0)
	v_fmac_f64_e32 v[10:11], v[6:7], v[8:9]
	ds_write_b64 v15, v[10:11]
	s_waitcnt lgkmcnt(0)
	ds_read_b64 v[8:9], v0 offset:64
	ds_read_b64 v[6:7], v18 offset:8
	s_waitcnt lgkmcnt(1)
	v_cmp_neq_f64_e32 vcc, 0, v[8:9]
	s_or_b64 s[22:23], vcc, s[0:1]
	v_cndmask_b32_e32 v9, v23, v9, vcc
	s_xor_b64 s[24:25], s[22:23], -1
	v_cndmask_b32_e32 v8, 0, v8, vcc
	s_and_saveexec_b64 s[22:23], s[24:25]
	s_cbranch_execz .LBB26_49
; %bb.46:                               ;   in Loop: Header=BB26_19 Depth=1
	v_mbcnt_lo_u32_b32 v8, exec_lo, 0
	v_mbcnt_hi_u32_b32 v8, exec_hi, v8
	v_cmp_eq_u32_e32 vcc, 0, v8
	s_and_saveexec_b64 s[24:25], vcc
	s_cbranch_execz .LBB26_48
; %bb.47:                               ;   in Loop: Header=BB26_19 Depth=1
	v_mov_b32_e32 v8, s5
	global_atomic_smin v0, v8, s[14:15]
.LBB26_48:                              ;   in Loop: Header=BB26_19 Depth=1
	s_or_b64 exec, exec, s[24:25]
	v_mov_b32_e32 v8, 0
	v_mov_b32_e32 v9, 0x3ff00000
.LBB26_49:                              ;   in Loop: Header=BB26_19 Depth=1
	s_or_b64 exec, exec, s[22:23]
	ds_read_b64 v[10:11], v18
	ds_read_b64 v[24:25], v0 offset:56
	ds_read_b64 v[26:27], v20 offset:8
	s_waitcnt lgkmcnt(0)
	v_fmac_f64_e32 v[26:27], v[24:25], v[10:11]
	v_add_f64 v[6:7], v[6:7], -v[26:27]
	v_div_scale_f64 v[10:11], s[22:23], v[8:9], v[8:9], v[6:7]
	v_rcp_f64_e32 v[24:25], v[10:11]
	v_div_scale_f64 v[26:27], vcc, v[6:7], v[8:9], v[6:7]
	v_fma_f64 v[28:29], -v[10:11], v[24:25], 1.0
	v_fmac_f64_e32 v[24:25], v[24:25], v[28:29]
	v_fma_f64 v[28:29], -v[10:11], v[24:25], 1.0
	v_fmac_f64_e32 v[24:25], v[24:25], v[28:29]
	v_mul_f64 v[28:29], v[26:27], v[24:25]
	v_fma_f64 v[10:11], -v[10:11], v[28:29], v[26:27]
	v_div_fmas_f64 v[10:11], v[10:11], v[24:25], v[28:29]
	v_div_fixup_f64 v[6:7], v[10:11], v[8:9], v[6:7]
	ds_write_b64 v18, v[6:7] offset:8
	s_waitcnt lgkmcnt(0)
	ds_read_b64 v[8:9], v22 offset:8
	ds_read_b64 v[10:11], v15
	s_waitcnt lgkmcnt(0)
	v_fmac_f64_e32 v[10:11], v[6:7], v[8:9]
	ds_write_b64 v15, v[10:11]
	s_waitcnt lgkmcnt(0)
	ds_read_b64 v[8:9], v0 offset:128
	ds_read_b64 v[6:7], v18 offset:16
	s_waitcnt lgkmcnt(1)
	v_cmp_neq_f64_e32 vcc, 0, v[8:9]
	s_or_b64 s[22:23], vcc, s[0:1]
	v_cndmask_b32_e32 v9, v23, v9, vcc
	s_xor_b64 s[24:25], s[22:23], -1
	v_cndmask_b32_e32 v8, 0, v8, vcc
	s_and_saveexec_b64 s[22:23], s[24:25]
	s_cbranch_execz .LBB26_53
; %bb.50:                               ;   in Loop: Header=BB26_19 Depth=1
	v_mbcnt_lo_u32_b32 v8, exec_lo, 0
	v_mbcnt_hi_u32_b32 v8, exec_hi, v8
	v_cmp_eq_u32_e32 vcc, 0, v8
	s_and_saveexec_b64 s[24:25], vcc
	s_cbranch_execz .LBB26_52
; %bb.51:                               ;   in Loop: Header=BB26_19 Depth=1
	v_mov_b32_e32 v8, s5
	global_atomic_smin v0, v8, s[14:15]
.LBB26_52:                              ;   in Loop: Header=BB26_19 Depth=1
	s_or_b64 exec, exec, s[24:25]
	v_mov_b32_e32 v8, 0
	v_mov_b32_e32 v9, 0x3ff00000
.LBB26_53:                              ;   in Loop: Header=BB26_19 Depth=1
	s_or_b64 exec, exec, s[22:23]
	ds_read_b128 v[24:27], v0 offset:112
	ds_read2_b64 v[28:31], v18 offset1:1
	ds_read_b64 v[10:11], v20 offset:16
	s_waitcnt lgkmcnt(0)
	v_fmac_f64_e32 v[10:11], v[24:25], v[28:29]
	v_fmac_f64_e32 v[10:11], v[26:27], v[30:31]
	v_add_f64 v[6:7], v[6:7], -v[10:11]
	v_div_scale_f64 v[10:11], s[22:23], v[8:9], v[8:9], v[6:7]
	v_rcp_f64_e32 v[24:25], v[10:11]
	v_div_scale_f64 v[26:27], vcc, v[6:7], v[8:9], v[6:7]
	v_fma_f64 v[28:29], -v[10:11], v[24:25], 1.0
	v_fmac_f64_e32 v[24:25], v[24:25], v[28:29]
	v_fma_f64 v[28:29], -v[10:11], v[24:25], 1.0
	v_fmac_f64_e32 v[24:25], v[24:25], v[28:29]
	v_mul_f64 v[28:29], v[26:27], v[24:25]
	v_fma_f64 v[10:11], -v[10:11], v[28:29], v[26:27]
	v_div_fmas_f64 v[10:11], v[10:11], v[24:25], v[28:29]
	v_div_fixup_f64 v[6:7], v[10:11], v[8:9], v[6:7]
	ds_write_b64 v18, v[6:7] offset:16
	s_waitcnt lgkmcnt(0)
	ds_read_b64 v[8:9], v22 offset:16
	ds_read_b64 v[10:11], v15
	s_waitcnt lgkmcnt(0)
	v_fmac_f64_e32 v[10:11], v[6:7], v[8:9]
	ds_write_b64 v15, v[10:11]
	s_waitcnt lgkmcnt(0)
	ds_read_b64 v[8:9], v0 offset:192
	ds_read_b64 v[6:7], v18 offset:24
	s_waitcnt lgkmcnt(1)
	v_cmp_neq_f64_e32 vcc, 0, v[8:9]
	s_or_b64 s[22:23], vcc, s[0:1]
	v_cndmask_b32_e32 v9, v23, v9, vcc
	s_xor_b64 s[24:25], s[22:23], -1
	v_cndmask_b32_e32 v8, 0, v8, vcc
	s_and_saveexec_b64 s[22:23], s[24:25]
	s_cbranch_execz .LBB26_57
; %bb.54:                               ;   in Loop: Header=BB26_19 Depth=1
	v_mbcnt_lo_u32_b32 v8, exec_lo, 0
	v_mbcnt_hi_u32_b32 v8, exec_hi, v8
	v_cmp_eq_u32_e32 vcc, 0, v8
	s_and_saveexec_b64 s[24:25], vcc
	s_cbranch_execz .LBB26_56
; %bb.55:                               ;   in Loop: Header=BB26_19 Depth=1
	v_mov_b32_e32 v8, s5
	global_atomic_smin v0, v8, s[14:15]
.LBB26_56:                              ;   in Loop: Header=BB26_19 Depth=1
	s_or_b64 exec, exec, s[24:25]
	v_mov_b32_e32 v8, 0
	v_mov_b32_e32 v9, 0x3ff00000
.LBB26_57:                              ;   in Loop: Header=BB26_19 Depth=1
	s_or_b64 exec, exec, s[22:23]
	ds_read2_b64 v[24:27], v18 offset1:1
	ds_read2_b64 v[28:31], v0 offset0:21 offset1:22
	ds_read_b64 v[10:11], v20 offset:24
	ds_read_b64 v[32:33], v18 offset:16
	;; [unrolled: 1-line block ×3, first 2 shown]
	s_waitcnt lgkmcnt(2)
	v_fmac_f64_e32 v[10:11], v[28:29], v[24:25]
	v_fmac_f64_e32 v[10:11], v[30:31], v[26:27]
	s_waitcnt lgkmcnt(0)
	v_fmac_f64_e32 v[10:11], v[34:35], v[32:33]
	v_add_f64 v[6:7], v[6:7], -v[10:11]
	v_div_scale_f64 v[10:11], s[22:23], v[8:9], v[8:9], v[6:7]
	v_rcp_f64_e32 v[24:25], v[10:11]
	v_div_scale_f64 v[26:27], vcc, v[6:7], v[8:9], v[6:7]
	v_fma_f64 v[28:29], -v[10:11], v[24:25], 1.0
	v_fmac_f64_e32 v[24:25], v[24:25], v[28:29]
	v_fma_f64 v[28:29], -v[10:11], v[24:25], 1.0
	v_fmac_f64_e32 v[24:25], v[24:25], v[28:29]
	v_mul_f64 v[28:29], v[26:27], v[24:25]
	v_fma_f64 v[10:11], -v[10:11], v[28:29], v[26:27]
	v_div_fmas_f64 v[10:11], v[10:11], v[24:25], v[28:29]
	v_div_fixup_f64 v[6:7], v[10:11], v[8:9], v[6:7]
	ds_write_b64 v18, v[6:7] offset:24
	s_waitcnt lgkmcnt(0)
	ds_read_b64 v[8:9], v22 offset:24
	ds_read_b64 v[10:11], v15
	s_waitcnt lgkmcnt(0)
	v_fmac_f64_e32 v[10:11], v[6:7], v[8:9]
	ds_write_b64 v15, v[10:11]
	s_waitcnt lgkmcnt(0)
	ds_read_b64 v[8:9], v0 offset:256
	ds_read_b64 v[6:7], v18 offset:32
	s_waitcnt lgkmcnt(1)
	v_cmp_neq_f64_e32 vcc, 0, v[8:9]
	s_or_b64 s[22:23], vcc, s[0:1]
	v_cndmask_b32_e32 v9, v23, v9, vcc
	s_xor_b64 s[24:25], s[22:23], -1
	v_cndmask_b32_e32 v8, 0, v8, vcc
	s_and_saveexec_b64 s[22:23], s[24:25]
	s_cbranch_execz .LBB26_61
; %bb.58:                               ;   in Loop: Header=BB26_19 Depth=1
	v_mbcnt_lo_u32_b32 v8, exec_lo, 0
	v_mbcnt_hi_u32_b32 v8, exec_hi, v8
	v_cmp_eq_u32_e32 vcc, 0, v8
	s_and_saveexec_b64 s[24:25], vcc
	s_cbranch_execz .LBB26_60
; %bb.59:                               ;   in Loop: Header=BB26_19 Depth=1
	v_mov_b32_e32 v8, s5
	global_atomic_smin v0, v8, s[14:15]
.LBB26_60:                              ;   in Loop: Header=BB26_19 Depth=1
	s_or_b64 exec, exec, s[24:25]
	v_mov_b32_e32 v8, 0
	v_mov_b32_e32 v9, 0x3ff00000
.LBB26_61:                              ;   in Loop: Header=BB26_19 Depth=1
	s_or_b64 exec, exec, s[22:23]
	ds_read2_b64 v[24:27], v18 offset1:1
	ds_read_b128 v[28:31], v0 offset:224
	ds_read_b64 v[10:11], v20 offset:32
	ds_read2_b64 v[32:35], v18 offset0:2 offset1:3
	ds_read_b128 v[36:39], v0 offset:240
	s_waitcnt lgkmcnt(2)
	v_fmac_f64_e32 v[10:11], v[28:29], v[24:25]
	v_fmac_f64_e32 v[10:11], v[30:31], v[26:27]
	s_waitcnt lgkmcnt(0)
	v_fmac_f64_e32 v[10:11], v[36:37], v[32:33]
	v_fmac_f64_e32 v[10:11], v[38:39], v[34:35]
	v_add_f64 v[6:7], v[6:7], -v[10:11]
	v_div_scale_f64 v[10:11], s[22:23], v[8:9], v[8:9], v[6:7]
	v_rcp_f64_e32 v[24:25], v[10:11]
	v_div_scale_f64 v[26:27], vcc, v[6:7], v[8:9], v[6:7]
	v_fma_f64 v[28:29], -v[10:11], v[24:25], 1.0
	v_fmac_f64_e32 v[24:25], v[24:25], v[28:29]
	v_fma_f64 v[28:29], -v[10:11], v[24:25], 1.0
	v_fmac_f64_e32 v[24:25], v[24:25], v[28:29]
	v_mul_f64 v[28:29], v[26:27], v[24:25]
	v_fma_f64 v[10:11], -v[10:11], v[28:29], v[26:27]
	v_div_fmas_f64 v[10:11], v[10:11], v[24:25], v[28:29]
	v_div_fixup_f64 v[6:7], v[10:11], v[8:9], v[6:7]
	ds_write_b64 v18, v[6:7] offset:32
	s_waitcnt lgkmcnt(0)
	ds_read_b64 v[8:9], v22 offset:32
	ds_read_b64 v[10:11], v15
	s_waitcnt lgkmcnt(0)
	v_fmac_f64_e32 v[10:11], v[6:7], v[8:9]
	ds_write_b64 v15, v[10:11]
	s_waitcnt lgkmcnt(0)
	ds_read_b64 v[8:9], v0 offset:320
	ds_read_b64 v[6:7], v18 offset:40
	s_waitcnt lgkmcnt(1)
	v_cmp_neq_f64_e32 vcc, 0, v[8:9]
	s_or_b64 s[22:23], vcc, s[0:1]
	v_cndmask_b32_e32 v9, v23, v9, vcc
	s_xor_b64 s[24:25], s[22:23], -1
	v_cndmask_b32_e32 v8, 0, v8, vcc
	s_and_saveexec_b64 s[22:23], s[24:25]
	s_cbranch_execz .LBB26_17
; %bb.62:                               ;   in Loop: Header=BB26_19 Depth=1
	v_mbcnt_lo_u32_b32 v8, exec_lo, 0
	v_mbcnt_hi_u32_b32 v8, exec_hi, v8
	v_cmp_eq_u32_e32 vcc, 0, v8
	s_and_saveexec_b64 s[24:25], vcc
	s_cbranch_execz .LBB26_16
; %bb.63:                               ;   in Loop: Header=BB26_19 Depth=1
	v_mov_b32_e32 v8, s5
	global_atomic_smin v0, v8, s[14:15]
	s_branch .LBB26_16
.LBB26_64:
	s_cmp_lg_u32 s33, 0
	s_cselect_b64 s[4:5], -1, 0
	s_cmp_eq_u32 s33, 0
	v_mov_b32_e32 v0, v14
	s_cbranch_scc1 .LBB26_66
; %bb.65:
	v_mad_u32_u24 v0, v12, 6, v13
.LBB26_66:
	s_mul_i32 s30, s30, 36
	v_add_u32_e32 v0, s30, v0
	v_ashrrev_i32_e32 v1, 31, v0
	v_lshlrev_b64 v[0:1], 3, v[0:1]
	v_mov_b32_e32 v2, s21
	v_add_co_u32_e32 v0, vcc, s20, v0
	v_addc_co_u32_e32 v1, vcc, v2, v1, vcc
	global_load_dwordx2 v[0:1], v[0:1], off
	v_cmp_ne_u32_e32 vcc, 0, v13
	v_cmp_eq_u32_e64 s[0:1], 0, v13
	s_waitcnt vmcnt(0)
	ds_write_b64 v16, v[0:1] offset:672
	s_waitcnt lgkmcnt(0)
	s_and_saveexec_b64 s[2:3], s[0:1]
	s_cbranch_execz .LBB26_68
; %bb.67:
	v_mov_b32_e32 v2, 0
	ds_read2_b64 v[4:7], v2 offset0:84 offset1:126
	s_mov_b32 s8, 0
	s_brev_b32 s9, 8
	s_waitcnt lgkmcnt(0)
	v_add_f64 v[0:1], v[4:5], -v[6:7]
	v_xor_b32_e32 v4, 0x80000000, v1
	v_cmp_gt_f64_e64 s[0:1], 0, v[0:1]
	v_cndmask_b32_e64 v1, v1, v4, s[0:1]
	v_cndmask_b32_e64 v0, v0, v0, s[0:1]
	v_cmp_gt_f64_e64 s[0:1], s[8:9], v[0:1]
	v_cndmask_b32_e64 v4, 0, 1, s[0:1]
	v_lshlrev_b32_e32 v4, 8, v4
	v_ldexp_f64 v[0:1], v[0:1], v4
	v_rsq_f64_e32 v[4:5], v[0:1]
	s_and_b64 s[0:1], s[0:1], exec
	s_cselect_b32 s0, 0xffffff80, 0
	v_mul_f64 v[6:7], v[0:1], v[4:5]
	v_mul_f64 v[4:5], v[4:5], 0.5
	v_fma_f64 v[8:9], -v[4:5], v[6:7], 0.5
	v_fmac_f64_e32 v[6:7], v[6:7], v[8:9]
	v_fmac_f64_e32 v[4:5], v[4:5], v[8:9]
	v_fma_f64 v[8:9], -v[6:7], v[6:7], v[0:1]
	v_fmac_f64_e32 v[6:7], v[8:9], v[4:5]
	v_fma_f64 v[8:9], -v[6:7], v[6:7], v[0:1]
	v_fmac_f64_e32 v[6:7], v[8:9], v[4:5]
	v_ldexp_f64 v[4:5], v[6:7], s0
	v_mov_b32_e32 v6, 0x260
	v_cmp_class_f64_e64 s[0:1], v[0:1], v6
	v_cndmask_b32_e64 v1, v5, v1, s[0:1]
	v_cndmask_b32_e64 v0, v4, v0, s[0:1]
	ds_write_b64 v2, v[0:1] offset:672
.LBB26_68:
	s_or_b64 exec, exec, s[2:3]
	v_mov_b32_e32 v0, 0
	s_waitcnt lgkmcnt(0)
	ds_read_b64 v[0:1], v0 offset:672
	v_or_b32_e32 v2, v12, v13
	v_cmp_ne_u32_e64 s[0:1], 0, v2
	v_mov_b32_e32 v4, 0x3ff00000
	s_add_i32 s18, s12, s13
	s_waitcnt lgkmcnt(0)
	v_cmp_neq_f64_e64 s[2:3], 0, v[0:1]
	s_or_b64 s[8:9], s[2:3], s[0:1]
	v_cndmask_b32_e64 v1, v4, v1, s[2:3]
	s_xor_b64 s[16:17], s[8:9], -1
	v_cndmask_b32_e64 v0, 0, v0, s[2:3]
	s_and_saveexec_b64 s[8:9], s[16:17]
	s_cbranch_execz .LBB26_72
; %bb.69:
	v_mbcnt_lo_u32_b32 v0, exec_lo, 0
	v_mbcnt_hi_u32_b32 v0, exec_hi, v0
	v_cmp_eq_u32_e64 s[2:3], 0, v0
	s_and_saveexec_b64 s[16:17], s[2:3]
	s_cbranch_execz .LBB26_71
; %bb.70:
	v_mov_b32_e32 v0, 0
	v_mov_b32_e32 v1, s18
	global_atomic_smin v0, v1, s[14:15]
.LBB26_71:
	s_or_b64 exec, exec, s[16:17]
	v_mov_b32_e32 v0, 0
	v_mov_b32_e32 v1, 0x3ff00000
.LBB26_72:
	s_or_b64 exec, exec, s[8:9]
	s_and_saveexec_b64 s[2:3], vcc
	s_cbranch_execz .LBB26_74
; %bb.73:
	v_mul_u32_u24_e32 v17, 56, v13
	ds_read2_b64 v[4:7], v17 offset0:84 offset1:126
	v_mul_u32_u24_e32 v20, 56, v12
	s_waitcnt lgkmcnt(0)
	v_add_f64 v[4:5], v[4:5], -v[6:7]
	v_div_scale_f64 v[6:7], s[8:9], v[0:1], v[0:1], v[4:5]
	v_rcp_f64_e32 v[8:9], v[6:7]
	v_div_scale_f64 v[10:11], vcc, v[4:5], v[0:1], v[4:5]
	v_fma_f64 v[18:19], -v[6:7], v[8:9], 1.0
	v_fmac_f64_e32 v[8:9], v[8:9], v[18:19]
	v_fma_f64 v[18:19], -v[6:7], v[8:9], 1.0
	v_fmac_f64_e32 v[8:9], v[8:9], v[18:19]
	v_mul_f64 v[18:19], v[10:11], v[8:9]
	v_fma_f64 v[6:7], -v[6:7], v[18:19], v[10:11]
	v_div_fmas_f64 v[6:7], v[6:7], v[8:9], v[18:19]
	v_div_fixup_f64 v[0:1], v[6:7], v[0:1], v[4:5]
	ds_write_b64 v17, v[0:1] offset:672
	s_waitcnt lgkmcnt(0)
	ds_read_b64 v[4:5], v20 offset:672
	ds_read_b64 v[6:7], v15
	s_waitcnt lgkmcnt(0)
	v_fmac_f64_e32 v[6:7], v[0:1], v[4:5]
	ds_write_b64 v15, v[6:7]
.LBB26_74:
	s_or_b64 exec, exec, s[2:3]
	v_cmp_eq_u32_e32 vcc, 1, v13
	s_waitcnt lgkmcnt(0)
	s_and_saveexec_b64 s[2:3], vcc
	s_cbranch_execz .LBB26_76
; %bb.75:
	v_mov_b32_e32 v10, 0
	ds_read2_b64 v[4:7], v10 offset0:92 offset1:134
	s_mov_b32 s8, 0
	s_brev_b32 s9, 8
	s_waitcnt lgkmcnt(0)
	v_add_f64 v[0:1], v[4:5], -v[6:7]
	v_xor_b32_e32 v4, 0x80000000, v1
	v_cmp_gt_f64_e32 vcc, 0, v[0:1]
	v_cndmask_b32_e32 v1, v1, v4, vcc
	v_cndmask_b32_e32 v0, v0, v0, vcc
	v_cmp_gt_f64_e32 vcc, s[8:9], v[0:1]
	v_cndmask_b32_e64 v4, 0, 1, vcc
	v_lshlrev_b32_e32 v4, 8, v4
	v_ldexp_f64 v[0:1], v[0:1], v4
	v_rsq_f64_e32 v[4:5], v[0:1]
	s_and_b64 s[8:9], vcc, exec
	s_cselect_b32 s8, 0xffffff80, 0
	v_mul_f64 v[6:7], v[0:1], v[4:5]
	v_mul_f64 v[4:5], v[4:5], 0.5
	v_fma_f64 v[8:9], -v[4:5], v[6:7], 0.5
	v_fmac_f64_e32 v[6:7], v[6:7], v[8:9]
	v_fmac_f64_e32 v[4:5], v[4:5], v[8:9]
	v_fma_f64 v[8:9], -v[6:7], v[6:7], v[0:1]
	v_fmac_f64_e32 v[6:7], v[8:9], v[4:5]
	v_fma_f64 v[8:9], -v[6:7], v[6:7], v[0:1]
	v_fmac_f64_e32 v[6:7], v[8:9], v[4:5]
	v_ldexp_f64 v[4:5], v[6:7], s8
	v_mov_b32_e32 v6, 0x260
	v_cmp_class_f64_e32 vcc, v[0:1], v6
	v_cndmask_b32_e32 v1, v5, v1, vcc
	v_cndmask_b32_e32 v0, v4, v0, vcc
	ds_write_b64 v10, v[0:1] offset:736
.LBB26_76:
	s_or_b64 exec, exec, s[2:3]
	v_mov_b32_e32 v0, 0
	s_waitcnt lgkmcnt(0)
	ds_read_b64 v[0:1], v0 offset:736
	v_mov_b32_e32 v4, 0x3ff00000
	s_waitcnt lgkmcnt(0)
	v_cmp_neq_f64_e32 vcc, 0, v[0:1]
	s_or_b64 s[2:3], vcc, s[0:1]
	v_cndmask_b32_e32 v1, v4, v1, vcc
	s_xor_b64 s[8:9], s[2:3], -1
	v_cndmask_b32_e32 v0, 0, v0, vcc
	s_and_saveexec_b64 s[2:3], s[8:9]
	s_cbranch_execz .LBB26_80
; %bb.77:
	v_mbcnt_lo_u32_b32 v0, exec_lo, 0
	v_mbcnt_hi_u32_b32 v0, exec_hi, v0
	v_cmp_eq_u32_e32 vcc, 0, v0
	s_and_saveexec_b64 s[8:9], vcc
	s_cbranch_execz .LBB26_79
; %bb.78:
	v_mov_b32_e32 v0, 0
	v_mov_b32_e32 v1, s18
	global_atomic_smin v0, v1, s[14:15]
.LBB26_79:
	s_or_b64 exec, exec, s[8:9]
	v_mov_b32_e32 v0, 0
	v_mov_b32_e32 v1, 0x3ff00000
.LBB26_80:
	s_or_b64 exec, exec, s[2:3]
	v_cmp_lt_u32_e32 vcc, 1, v13
	s_and_saveexec_b64 s[2:3], vcc
	s_cbranch_execz .LBB26_82
; %bb.81:
	v_mul_u32_u24_e32 v17, 56, v13
	ds_read2_b64 v[4:7], v17 offset0:85 offset1:127
	v_mul_u32_u24_e32 v20, 56, v12
	s_waitcnt lgkmcnt(0)
	v_add_f64 v[4:5], v[4:5], -v[6:7]
	v_div_scale_f64 v[6:7], s[8:9], v[0:1], v[0:1], v[4:5]
	v_rcp_f64_e32 v[8:9], v[6:7]
	v_div_scale_f64 v[10:11], vcc, v[4:5], v[0:1], v[4:5]
	v_fma_f64 v[18:19], -v[6:7], v[8:9], 1.0
	v_fmac_f64_e32 v[8:9], v[8:9], v[18:19]
	v_fma_f64 v[18:19], -v[6:7], v[8:9], 1.0
	v_fmac_f64_e32 v[8:9], v[8:9], v[18:19]
	v_mul_f64 v[18:19], v[10:11], v[8:9]
	v_fma_f64 v[6:7], -v[6:7], v[18:19], v[10:11]
	v_div_fmas_f64 v[6:7], v[6:7], v[8:9], v[18:19]
	v_div_fixup_f64 v[0:1], v[6:7], v[0:1], v[4:5]
	ds_write_b64 v17, v[0:1] offset:680
	s_waitcnt lgkmcnt(0)
	ds_read_b64 v[4:5], v20 offset:680
	ds_read_b64 v[6:7], v15
	s_waitcnt lgkmcnt(0)
	v_fmac_f64_e32 v[6:7], v[0:1], v[4:5]
	ds_write_b64 v15, v[6:7]
.LBB26_82:
	s_or_b64 exec, exec, s[2:3]
	v_cmp_eq_u32_e32 vcc, 2, v13
	s_waitcnt lgkmcnt(0)
	s_and_saveexec_b64 s[2:3], vcc
	s_cbranch_execz .LBB26_84
; %bb.83:
	v_mov_b32_e32 v10, 0
	ds_read2_b64 v[4:7], v10 offset0:100 offset1:142
	s_mov_b32 s8, 0
	s_brev_b32 s9, 8
	s_waitcnt lgkmcnt(0)
	v_add_f64 v[0:1], v[4:5], -v[6:7]
	v_xor_b32_e32 v4, 0x80000000, v1
	v_cmp_gt_f64_e32 vcc, 0, v[0:1]
	v_cndmask_b32_e32 v1, v1, v4, vcc
	v_cndmask_b32_e32 v0, v0, v0, vcc
	v_cmp_gt_f64_e32 vcc, s[8:9], v[0:1]
	v_cndmask_b32_e64 v4, 0, 1, vcc
	v_lshlrev_b32_e32 v4, 8, v4
	v_ldexp_f64 v[0:1], v[0:1], v4
	v_rsq_f64_e32 v[4:5], v[0:1]
	s_and_b64 s[8:9], vcc, exec
	s_cselect_b32 s8, 0xffffff80, 0
	v_mul_f64 v[6:7], v[0:1], v[4:5]
	v_mul_f64 v[4:5], v[4:5], 0.5
	v_fma_f64 v[8:9], -v[4:5], v[6:7], 0.5
	v_fmac_f64_e32 v[6:7], v[6:7], v[8:9]
	v_fmac_f64_e32 v[4:5], v[4:5], v[8:9]
	v_fma_f64 v[8:9], -v[6:7], v[6:7], v[0:1]
	v_fmac_f64_e32 v[6:7], v[8:9], v[4:5]
	v_fma_f64 v[8:9], -v[6:7], v[6:7], v[0:1]
	v_fmac_f64_e32 v[6:7], v[8:9], v[4:5]
	v_ldexp_f64 v[4:5], v[6:7], s8
	v_mov_b32_e32 v6, 0x260
	v_cmp_class_f64_e32 vcc, v[0:1], v6
	v_cndmask_b32_e32 v1, v5, v1, vcc
	v_cndmask_b32_e32 v0, v4, v0, vcc
	ds_write_b64 v10, v[0:1] offset:800
.LBB26_84:
	s_or_b64 exec, exec, s[2:3]
	v_mov_b32_e32 v0, 0
	s_waitcnt lgkmcnt(0)
	ds_read_b64 v[0:1], v0 offset:800
	v_mov_b32_e32 v4, 0x3ff00000
	s_waitcnt lgkmcnt(0)
	v_cmp_neq_f64_e32 vcc, 0, v[0:1]
	s_or_b64 s[2:3], vcc, s[0:1]
	v_cndmask_b32_e32 v1, v4, v1, vcc
	s_xor_b64 s[8:9], s[2:3], -1
	v_cndmask_b32_e32 v0, 0, v0, vcc
	s_and_saveexec_b64 s[2:3], s[8:9]
	s_cbranch_execz .LBB26_88
; %bb.85:
	v_mbcnt_lo_u32_b32 v0, exec_lo, 0
	v_mbcnt_hi_u32_b32 v0, exec_hi, v0
	v_cmp_eq_u32_e32 vcc, 0, v0
	s_and_saveexec_b64 s[8:9], vcc
	s_cbranch_execz .LBB26_87
; %bb.86:
	v_mov_b32_e32 v0, 0
	v_mov_b32_e32 v1, s18
	global_atomic_smin v0, v1, s[14:15]
.LBB26_87:
	s_or_b64 exec, exec, s[8:9]
	v_mov_b32_e32 v0, 0
	v_mov_b32_e32 v1, 0x3ff00000
.LBB26_88:
	s_or_b64 exec, exec, s[2:3]
	v_cmp_lt_u32_e32 vcc, 2, v13
	s_and_saveexec_b64 s[2:3], vcc
	s_cbranch_execz .LBB26_90
; %bb.89:
	v_mul_u32_u24_e32 v17, 56, v13
	ds_read2_b64 v[4:7], v17 offset0:86 offset1:128
	v_mul_u32_u24_e32 v20, 56, v12
	s_waitcnt lgkmcnt(0)
	v_add_f64 v[4:5], v[4:5], -v[6:7]
	v_div_scale_f64 v[6:7], s[8:9], v[0:1], v[0:1], v[4:5]
	v_rcp_f64_e32 v[8:9], v[6:7]
	v_div_scale_f64 v[10:11], vcc, v[4:5], v[0:1], v[4:5]
	v_fma_f64 v[18:19], -v[6:7], v[8:9], 1.0
	v_fmac_f64_e32 v[8:9], v[8:9], v[18:19]
	v_fma_f64 v[18:19], -v[6:7], v[8:9], 1.0
	v_fmac_f64_e32 v[8:9], v[8:9], v[18:19]
	v_mul_f64 v[18:19], v[10:11], v[8:9]
	v_fma_f64 v[6:7], -v[6:7], v[18:19], v[10:11]
	v_div_fmas_f64 v[6:7], v[6:7], v[8:9], v[18:19]
	v_div_fixup_f64 v[0:1], v[6:7], v[0:1], v[4:5]
	ds_write_b64 v17, v[0:1] offset:688
	s_waitcnt lgkmcnt(0)
	ds_read_b64 v[4:5], v20 offset:688
	ds_read_b64 v[6:7], v15
	s_waitcnt lgkmcnt(0)
	v_fmac_f64_e32 v[6:7], v[0:1], v[4:5]
	ds_write_b64 v15, v[6:7]
.LBB26_90:
	s_or_b64 exec, exec, s[2:3]
	v_cmp_eq_u32_e32 vcc, 3, v13
	s_waitcnt lgkmcnt(0)
	s_and_saveexec_b64 s[2:3], vcc
	s_cbranch_execz .LBB26_92
; %bb.91:
	v_mov_b32_e32 v10, 0
	ds_read2_b64 v[4:7], v10 offset0:108 offset1:150
	s_mov_b32 s8, 0
	s_brev_b32 s9, 8
	s_waitcnt lgkmcnt(0)
	v_add_f64 v[0:1], v[4:5], -v[6:7]
	v_xor_b32_e32 v4, 0x80000000, v1
	v_cmp_gt_f64_e32 vcc, 0, v[0:1]
	v_cndmask_b32_e32 v1, v1, v4, vcc
	v_cndmask_b32_e32 v0, v0, v0, vcc
	v_cmp_gt_f64_e32 vcc, s[8:9], v[0:1]
	v_cndmask_b32_e64 v4, 0, 1, vcc
	v_lshlrev_b32_e32 v4, 8, v4
	v_ldexp_f64 v[0:1], v[0:1], v4
	v_rsq_f64_e32 v[4:5], v[0:1]
	s_and_b64 s[8:9], vcc, exec
	s_cselect_b32 s8, 0xffffff80, 0
	v_mul_f64 v[6:7], v[0:1], v[4:5]
	v_mul_f64 v[4:5], v[4:5], 0.5
	v_fma_f64 v[8:9], -v[4:5], v[6:7], 0.5
	v_fmac_f64_e32 v[6:7], v[6:7], v[8:9]
	v_fmac_f64_e32 v[4:5], v[4:5], v[8:9]
	v_fma_f64 v[8:9], -v[6:7], v[6:7], v[0:1]
	v_fmac_f64_e32 v[6:7], v[8:9], v[4:5]
	v_fma_f64 v[8:9], -v[6:7], v[6:7], v[0:1]
	v_fmac_f64_e32 v[6:7], v[8:9], v[4:5]
	v_ldexp_f64 v[4:5], v[6:7], s8
	v_mov_b32_e32 v6, 0x260
	v_cmp_class_f64_e32 vcc, v[0:1], v6
	v_cndmask_b32_e32 v1, v5, v1, vcc
	v_cndmask_b32_e32 v0, v4, v0, vcc
	ds_write_b64 v10, v[0:1] offset:864
.LBB26_92:
	s_or_b64 exec, exec, s[2:3]
	v_mov_b32_e32 v0, 0
	s_waitcnt lgkmcnt(0)
	ds_read_b64 v[0:1], v0 offset:864
	v_mov_b32_e32 v4, 0x3ff00000
	s_waitcnt lgkmcnt(0)
	v_cmp_neq_f64_e32 vcc, 0, v[0:1]
	s_or_b64 s[2:3], vcc, s[0:1]
	v_cndmask_b32_e32 v1, v4, v1, vcc
	s_xor_b64 s[8:9], s[2:3], -1
	v_cndmask_b32_e32 v0, 0, v0, vcc
	s_and_saveexec_b64 s[2:3], s[8:9]
	s_cbranch_execz .LBB26_96
; %bb.93:
	v_mbcnt_lo_u32_b32 v0, exec_lo, 0
	v_mbcnt_hi_u32_b32 v0, exec_hi, v0
	v_cmp_eq_u32_e32 vcc, 0, v0
	s_and_saveexec_b64 s[8:9], vcc
	s_cbranch_execz .LBB26_95
; %bb.94:
	v_mov_b32_e32 v0, 0
	v_mov_b32_e32 v1, s18
	global_atomic_smin v0, v1, s[14:15]
.LBB26_95:
	s_or_b64 exec, exec, s[8:9]
	v_mov_b32_e32 v0, 0
	v_mov_b32_e32 v1, 0x3ff00000
.LBB26_96:
	s_or_b64 exec, exec, s[2:3]
	v_cmp_lt_u32_e32 vcc, 3, v13
	s_and_saveexec_b64 s[2:3], vcc
	s_cbranch_execz .LBB26_98
; %bb.97:
	v_mul_u32_u24_e32 v17, 56, v13
	ds_read2_b64 v[4:7], v17 offset0:87 offset1:129
	v_mul_u32_u24_e32 v20, 56, v12
	s_waitcnt lgkmcnt(0)
	v_add_f64 v[4:5], v[4:5], -v[6:7]
	v_div_scale_f64 v[6:7], s[8:9], v[0:1], v[0:1], v[4:5]
	v_rcp_f64_e32 v[8:9], v[6:7]
	v_div_scale_f64 v[10:11], vcc, v[4:5], v[0:1], v[4:5]
	v_fma_f64 v[18:19], -v[6:7], v[8:9], 1.0
	v_fmac_f64_e32 v[8:9], v[8:9], v[18:19]
	v_fma_f64 v[18:19], -v[6:7], v[8:9], 1.0
	v_fmac_f64_e32 v[8:9], v[8:9], v[18:19]
	v_mul_f64 v[18:19], v[10:11], v[8:9]
	v_fma_f64 v[6:7], -v[6:7], v[18:19], v[10:11]
	v_div_fmas_f64 v[6:7], v[6:7], v[8:9], v[18:19]
	v_div_fixup_f64 v[0:1], v[6:7], v[0:1], v[4:5]
	ds_write_b64 v17, v[0:1] offset:696
	s_waitcnt lgkmcnt(0)
	ds_read_b64 v[4:5], v20 offset:696
	ds_read_b64 v[6:7], v15
	s_waitcnt lgkmcnt(0)
	v_fmac_f64_e32 v[6:7], v[0:1], v[4:5]
	ds_write_b64 v15, v[6:7]
.LBB26_98:
	s_or_b64 exec, exec, s[2:3]
	v_cmp_eq_u32_e32 vcc, 4, v13
	s_waitcnt lgkmcnt(0)
	s_and_saveexec_b64 s[2:3], vcc
	s_cbranch_execz .LBB26_100
; %bb.99:
	v_mov_b32_e32 v10, 0
	ds_read2_b64 v[4:7], v10 offset0:116 offset1:158
	s_mov_b32 s8, 0
	s_brev_b32 s9, 8
	s_waitcnt lgkmcnt(0)
	v_add_f64 v[0:1], v[4:5], -v[6:7]
	v_xor_b32_e32 v4, 0x80000000, v1
	v_cmp_gt_f64_e32 vcc, 0, v[0:1]
	v_cndmask_b32_e32 v1, v1, v4, vcc
	v_cndmask_b32_e32 v0, v0, v0, vcc
	v_cmp_gt_f64_e32 vcc, s[8:9], v[0:1]
	v_cndmask_b32_e64 v4, 0, 1, vcc
	v_lshlrev_b32_e32 v4, 8, v4
	v_ldexp_f64 v[0:1], v[0:1], v4
	v_rsq_f64_e32 v[4:5], v[0:1]
	s_and_b64 s[8:9], vcc, exec
	s_cselect_b32 s8, 0xffffff80, 0
	v_mul_f64 v[6:7], v[0:1], v[4:5]
	v_mul_f64 v[4:5], v[4:5], 0.5
	v_fma_f64 v[8:9], -v[4:5], v[6:7], 0.5
	v_fmac_f64_e32 v[6:7], v[6:7], v[8:9]
	v_fmac_f64_e32 v[4:5], v[4:5], v[8:9]
	v_fma_f64 v[8:9], -v[6:7], v[6:7], v[0:1]
	v_fmac_f64_e32 v[6:7], v[8:9], v[4:5]
	v_fma_f64 v[8:9], -v[6:7], v[6:7], v[0:1]
	v_fmac_f64_e32 v[6:7], v[8:9], v[4:5]
	v_ldexp_f64 v[4:5], v[6:7], s8
	v_mov_b32_e32 v6, 0x260
	v_cmp_class_f64_e32 vcc, v[0:1], v6
	v_cndmask_b32_e32 v1, v5, v1, vcc
	v_cndmask_b32_e32 v0, v4, v0, vcc
	ds_write_b64 v10, v[0:1] offset:928
.LBB26_100:
	s_or_b64 exec, exec, s[2:3]
	v_mov_b32_e32 v0, 0
	s_waitcnt lgkmcnt(0)
	ds_read_b64 v[0:1], v0 offset:928
	v_mov_b32_e32 v4, 0x3ff00000
	s_waitcnt lgkmcnt(0)
	v_cmp_neq_f64_e32 vcc, 0, v[0:1]
	s_or_b64 s[2:3], vcc, s[0:1]
	v_cndmask_b32_e32 v1, v4, v1, vcc
	s_xor_b64 s[8:9], s[2:3], -1
	v_cndmask_b32_e32 v0, 0, v0, vcc
	s_and_saveexec_b64 s[2:3], s[8:9]
	s_cbranch_execz .LBB26_104
; %bb.101:
	v_mbcnt_lo_u32_b32 v0, exec_lo, 0
	v_mbcnt_hi_u32_b32 v0, exec_hi, v0
	v_cmp_eq_u32_e32 vcc, 0, v0
	s_and_saveexec_b64 s[8:9], vcc
	s_cbranch_execz .LBB26_103
; %bb.102:
	v_mov_b32_e32 v0, 0
	v_mov_b32_e32 v1, s18
	global_atomic_smin v0, v1, s[14:15]
.LBB26_103:
	s_or_b64 exec, exec, s[8:9]
	v_mov_b32_e32 v0, 0
	v_mov_b32_e32 v1, 0x3ff00000
.LBB26_104:
	s_or_b64 exec, exec, s[2:3]
	v_cmp_lt_u32_e32 vcc, 4, v13
	s_and_saveexec_b64 s[2:3], vcc
	s_cbranch_execz .LBB26_106
; %bb.105:
	v_mul_u32_u24_e32 v17, 56, v13
	ds_read2_b64 v[4:7], v17 offset0:88 offset1:130
	v_mul_u32_u24_e32 v20, 56, v12
	s_waitcnt lgkmcnt(0)
	v_add_f64 v[4:5], v[4:5], -v[6:7]
	v_div_scale_f64 v[6:7], s[8:9], v[0:1], v[0:1], v[4:5]
	v_rcp_f64_e32 v[8:9], v[6:7]
	v_div_scale_f64 v[10:11], vcc, v[4:5], v[0:1], v[4:5]
	v_fma_f64 v[18:19], -v[6:7], v[8:9], 1.0
	v_fmac_f64_e32 v[8:9], v[8:9], v[18:19]
	v_fma_f64 v[18:19], -v[6:7], v[8:9], 1.0
	v_fmac_f64_e32 v[8:9], v[8:9], v[18:19]
	v_mul_f64 v[18:19], v[10:11], v[8:9]
	v_fma_f64 v[6:7], -v[6:7], v[18:19], v[10:11]
	v_div_fmas_f64 v[6:7], v[6:7], v[8:9], v[18:19]
	v_div_fixup_f64 v[0:1], v[6:7], v[0:1], v[4:5]
	ds_write_b64 v17, v[0:1] offset:704
	s_waitcnt lgkmcnt(0)
	ds_read_b64 v[4:5], v20 offset:704
	ds_read_b64 v[6:7], v15
	s_waitcnt lgkmcnt(0)
	v_fmac_f64_e32 v[6:7], v[0:1], v[4:5]
	ds_write_b64 v15, v[6:7]
.LBB26_106:
	s_or_b64 exec, exec, s[2:3]
	v_cmp_eq_u32_e32 vcc, 5, v13
	s_waitcnt lgkmcnt(0)
	s_and_saveexec_b64 s[2:3], vcc
	s_cbranch_execz .LBB26_108
; %bb.107:
	v_mov_b32_e32 v10, 0
	ds_read2_b64 v[4:7], v10 offset0:124 offset1:166
	s_mov_b32 s8, 0
	s_brev_b32 s9, 8
	s_waitcnt lgkmcnt(0)
	v_add_f64 v[0:1], v[4:5], -v[6:7]
	v_xor_b32_e32 v4, 0x80000000, v1
	v_cmp_gt_f64_e32 vcc, 0, v[0:1]
	v_cndmask_b32_e32 v1, v1, v4, vcc
	v_cndmask_b32_e32 v0, v0, v0, vcc
	v_cmp_gt_f64_e32 vcc, s[8:9], v[0:1]
	v_cndmask_b32_e64 v4, 0, 1, vcc
	v_lshlrev_b32_e32 v4, 8, v4
	v_ldexp_f64 v[0:1], v[0:1], v4
	v_rsq_f64_e32 v[4:5], v[0:1]
	s_and_b64 s[8:9], vcc, exec
	s_cselect_b32 s8, 0xffffff80, 0
	v_mul_f64 v[6:7], v[0:1], v[4:5]
	v_mul_f64 v[4:5], v[4:5], 0.5
	v_fma_f64 v[8:9], -v[4:5], v[6:7], 0.5
	v_fmac_f64_e32 v[6:7], v[6:7], v[8:9]
	v_fmac_f64_e32 v[4:5], v[4:5], v[8:9]
	v_fma_f64 v[8:9], -v[6:7], v[6:7], v[0:1]
	v_fmac_f64_e32 v[6:7], v[8:9], v[4:5]
	v_fma_f64 v[8:9], -v[6:7], v[6:7], v[0:1]
	v_fmac_f64_e32 v[6:7], v[8:9], v[4:5]
	v_ldexp_f64 v[4:5], v[6:7], s8
	v_mov_b32_e32 v6, 0x260
	v_cmp_class_f64_e32 vcc, v[0:1], v6
	v_cndmask_b32_e32 v1, v5, v1, vcc
	v_cndmask_b32_e32 v0, v4, v0, vcc
	ds_write_b64 v10, v[0:1] offset:992
.LBB26_108:
	s_or_b64 exec, exec, s[2:3]
	v_mov_b32_e32 v0, 0
	s_waitcnt lgkmcnt(0)
	ds_read_b64 v[0:1], v0 offset:992
	v_mov_b32_e32 v4, 0x3ff00000
	s_waitcnt lgkmcnt(0)
	v_cmp_neq_f64_e32 vcc, 0, v[0:1]
	s_or_b64 s[0:1], vcc, s[0:1]
	v_cndmask_b32_e32 v1, v4, v1, vcc
	s_xor_b64 s[2:3], s[0:1], -1
	v_cndmask_b32_e32 v0, 0, v0, vcc
	s_and_saveexec_b64 s[0:1], s[2:3]
	s_cbranch_execz .LBB26_112
; %bb.109:
	v_mbcnt_lo_u32_b32 v0, exec_lo, 0
	v_mbcnt_hi_u32_b32 v0, exec_hi, v0
	v_cmp_eq_u32_e32 vcc, 0, v0
	s_and_saveexec_b64 s[2:3], vcc
	s_cbranch_execz .LBB26_111
; %bb.110:
	v_mov_b32_e32 v0, 0
	v_mov_b32_e32 v1, s18
	global_atomic_smin v0, v1, s[14:15]
.LBB26_111:
	s_or_b64 exec, exec, s[2:3]
	v_mov_b32_e32 v0, 0
	v_mov_b32_e32 v1, 0x3ff00000
.LBB26_112:
	s_or_b64 exec, exec, s[0:1]
	v_add_u32_e32 v4, 0x2a0, v16
	v_cmp_lt_u32_e32 vcc, 5, v13
	s_and_saveexec_b64 s[0:1], vcc
	s_cbranch_execz .LBB26_114
; %bb.113:
	v_mul_u32_u24_e32 v5, 56, v13
	ds_read2_b64 v[6:9], v5 offset0:89 offset1:131
	v_mul_u32_u24_e32 v20, 56, v12
	s_waitcnt lgkmcnt(0)
	v_add_f64 v[6:7], v[6:7], -v[8:9]
	v_div_scale_f64 v[8:9], s[2:3], v[0:1], v[0:1], v[6:7]
	v_rcp_f64_e32 v[10:11], v[8:9]
	v_div_scale_f64 v[16:17], vcc, v[6:7], v[0:1], v[6:7]
	v_fma_f64 v[18:19], -v[8:9], v[10:11], 1.0
	v_fmac_f64_e32 v[10:11], v[10:11], v[18:19]
	v_fma_f64 v[18:19], -v[8:9], v[10:11], 1.0
	v_fmac_f64_e32 v[10:11], v[10:11], v[18:19]
	v_mul_f64 v[18:19], v[16:17], v[10:11]
	v_fma_f64 v[8:9], -v[8:9], v[18:19], v[16:17]
	v_div_fmas_f64 v[8:9], v[8:9], v[10:11], v[18:19]
	v_div_fixup_f64 v[0:1], v[8:9], v[0:1], v[6:7]
	ds_write_b64 v5, v[0:1] offset:712
	s_waitcnt lgkmcnt(0)
	ds_read_b64 v[6:7], v20 offset:712
	ds_read_b64 v[8:9], v15
	s_waitcnt lgkmcnt(0)
	v_fmac_f64_e32 v[8:9], v[0:1], v[6:7]
	ds_write_b64 v15, v[8:9]
.LBB26_114:
	s_or_b64 exec, exec, s[0:1]
	s_waitcnt lgkmcnt(0)
	ds_read_b64 v[0:1], v4
	s_andn2_b64 vcc, exec, s[4:5]
	s_cbranch_vccnz .LBB26_116
; %bb.115:
	v_mov_b32_e32 v14, v3
.LBB26_116:
	v_add_u32_e32 v4, s30, v14
	v_ashrrev_i32_e32 v5, 31, v4
	v_lshlrev_b64 v[4:5], 3, v[4:5]
	v_mov_b32_e32 v3, s21
	v_add_co_u32_e32 v4, vcc, s20, v4
	v_addc_co_u32_e32 v5, vcc, v3, v5, vcc
	s_waitcnt lgkmcnt(0)
	global_store_dwordx2 v[4:5], v[0:1], off
	v_cmp_eq_u32_e64 s[0:1], 0, v2
.LBB26_117:
	s_and_saveexec_b64 s[2:3], s[0:1]
	s_cbranch_execnz .LBB26_125
.LBB26_118:
	s_endpgm
.LBB26_119:
	s_mov_b64 s[0:1], 0
	s_cbranch_execz .LBB26_117
; %bb.120:
	v_or_b32_e32 v0, v12, v13
	v_cmp_eq_u32_e32 vcc, 0, v0
	s_and_saveexec_b64 s[2:3], vcc
	s_cbranch_execz .LBB26_124
; %bb.121:
	v_mbcnt_lo_u32_b32 v0, exec_lo, 0
	v_mbcnt_hi_u32_b32 v0, exec_hi, v0
	v_cmp_eq_u32_e32 vcc, 0, v0
	s_and_saveexec_b64 s[4:5], vcc
	s_cbranch_execz .LBB26_123
; %bb.122:
	s_add_i32 s8, s12, s13
	v_mov_b32_e32 v0, 0
	v_mov_b32_e32 v1, s8
	global_atomic_smin v0, v1, s[14:15]
.LBB26_123:
	s_or_b64 exec, exec, s[4:5]
	s_or_b64 s[0:1], s[0:1], exec
.LBB26_124:
	s_or_b64 exec, exec, s[2:3]
	s_and_saveexec_b64 s[2:3], s[0:1]
	s_cbranch_execz .LBB26_118
.LBB26_125:
	s_add_u32 s0, s10, s6
	s_addc_u32 s1, s11, s7
	v_mov_b32_e32 v0, 0
	v_mov_b32_e32 v1, 1
	s_waitcnt vmcnt(0)
	global_store_dword v0, v1, s[0:1]
	s_endpgm
	.section	.rodata,"a",@progbits
	.p2align	6, 0x0
	.amdhsa_kernel _ZN9rocsparseL26bsric0_2_8_unrolled_kernelILi36ELi32ELi6EdEEv20rocsparse_direction_iiPKiS3_PT2_S3_PiS3_S6_21rocsparse_index_base_
		.amdhsa_group_segment_fixed_size 1728
		.amdhsa_private_segment_fixed_size 0
		.amdhsa_kernarg_size 76
		.amdhsa_user_sgpr_count 6
		.amdhsa_user_sgpr_private_segment_buffer 1
		.amdhsa_user_sgpr_dispatch_ptr 0
		.amdhsa_user_sgpr_queue_ptr 0
		.amdhsa_user_sgpr_kernarg_segment_ptr 1
		.amdhsa_user_sgpr_dispatch_id 0
		.amdhsa_user_sgpr_flat_scratch_init 0
		.amdhsa_user_sgpr_kernarg_preload_length 0
		.amdhsa_user_sgpr_kernarg_preload_offset 0
		.amdhsa_user_sgpr_private_segment_size 0
		.amdhsa_uses_dynamic_stack 0
		.amdhsa_system_sgpr_private_segment_wavefront_offset 0
		.amdhsa_system_sgpr_workgroup_id_x 1
		.amdhsa_system_sgpr_workgroup_id_y 0
		.amdhsa_system_sgpr_workgroup_id_z 0
		.amdhsa_system_sgpr_workgroup_info 0
		.amdhsa_system_vgpr_workitem_id 1
		.amdhsa_next_free_vgpr 72
		.amdhsa_next_free_sgpr 40
		.amdhsa_accum_offset 72
		.amdhsa_reserve_vcc 1
		.amdhsa_reserve_flat_scratch 0
		.amdhsa_float_round_mode_32 0
		.amdhsa_float_round_mode_16_64 0
		.amdhsa_float_denorm_mode_32 3
		.amdhsa_float_denorm_mode_16_64 3
		.amdhsa_dx10_clamp 1
		.amdhsa_ieee_mode 1
		.amdhsa_fp16_overflow 0
		.amdhsa_tg_split 0
		.amdhsa_exception_fp_ieee_invalid_op 0
		.amdhsa_exception_fp_denorm_src 0
		.amdhsa_exception_fp_ieee_div_zero 0
		.amdhsa_exception_fp_ieee_overflow 0
		.amdhsa_exception_fp_ieee_underflow 0
		.amdhsa_exception_fp_ieee_inexact 0
		.amdhsa_exception_int_div_zero 0
	.end_amdhsa_kernel
	.section	.text._ZN9rocsparseL26bsric0_2_8_unrolled_kernelILi36ELi32ELi6EdEEv20rocsparse_direction_iiPKiS3_PT2_S3_PiS3_S6_21rocsparse_index_base_,"axG",@progbits,_ZN9rocsparseL26bsric0_2_8_unrolled_kernelILi36ELi32ELi6EdEEv20rocsparse_direction_iiPKiS3_PT2_S3_PiS3_S6_21rocsparse_index_base_,comdat
.Lfunc_end26:
	.size	_ZN9rocsparseL26bsric0_2_8_unrolled_kernelILi36ELi32ELi6EdEEv20rocsparse_direction_iiPKiS3_PT2_S3_PiS3_S6_21rocsparse_index_base_, .Lfunc_end26-_ZN9rocsparseL26bsric0_2_8_unrolled_kernelILi36ELi32ELi6EdEEv20rocsparse_direction_iiPKiS3_PT2_S3_PiS3_S6_21rocsparse_index_base_
                                        ; -- End function
	.section	.AMDGPU.csdata,"",@progbits
; Kernel info:
; codeLenInByte = 8128
; NumSgprs: 44
; NumVgprs: 72
; NumAgprs: 0
; TotalNumVgprs: 72
; ScratchSize: 0
; MemoryBound: 1
; FloatMode: 240
; IeeeMode: 1
; LDSByteSize: 1728 bytes/workgroup (compile time only)
; SGPRBlocks: 5
; VGPRBlocks: 8
; NumSGPRsForWavesPerEU: 44
; NumVGPRsForWavesPerEU: 72
; AccumOffset: 72
; Occupancy: 7
; WaveLimiterHint : 1
; COMPUTE_PGM_RSRC2:SCRATCH_EN: 0
; COMPUTE_PGM_RSRC2:USER_SGPR: 6
; COMPUTE_PGM_RSRC2:TRAP_HANDLER: 0
; COMPUTE_PGM_RSRC2:TGID_X_EN: 1
; COMPUTE_PGM_RSRC2:TGID_Y_EN: 0
; COMPUTE_PGM_RSRC2:TGID_Z_EN: 0
; COMPUTE_PGM_RSRC2:TIDIG_COMP_CNT: 1
; COMPUTE_PGM_RSRC3_GFX90A:ACCUM_OFFSET: 17
; COMPUTE_PGM_RSRC3_GFX90A:TG_SPLIT: 0
	.section	.text._ZN9rocsparseL26bsric0_2_8_unrolled_kernelILi49ELi32ELi7EdEEv20rocsparse_direction_iiPKiS3_PT2_S3_PiS3_S6_21rocsparse_index_base_,"axG",@progbits,_ZN9rocsparseL26bsric0_2_8_unrolled_kernelILi49ELi32ELi7EdEEv20rocsparse_direction_iiPKiS3_PT2_S3_PiS3_S6_21rocsparse_index_base_,comdat
	.globl	_ZN9rocsparseL26bsric0_2_8_unrolled_kernelILi49ELi32ELi7EdEEv20rocsparse_direction_iiPKiS3_PT2_S3_PiS3_S6_21rocsparse_index_base_ ; -- Begin function _ZN9rocsparseL26bsric0_2_8_unrolled_kernelILi49ELi32ELi7EdEEv20rocsparse_direction_iiPKiS3_PT2_S3_PiS3_S6_21rocsparse_index_base_
	.p2align	8
	.type	_ZN9rocsparseL26bsric0_2_8_unrolled_kernelILi49ELi32ELi7EdEEv20rocsparse_direction_iiPKiS3_PT2_S3_PiS3_S6_21rocsparse_index_base_,@function
_ZN9rocsparseL26bsric0_2_8_unrolled_kernelILi49ELi32ELi7EdEEv20rocsparse_direction_iiPKiS3_PT2_S3_PiS3_S6_21rocsparse_index_base_: ; @_ZN9rocsparseL26bsric0_2_8_unrolled_kernelILi49ELi32ELi7EdEEv20rocsparse_direction_iiPKiS3_PT2_S3_PiS3_S6_21rocsparse_index_base_
; %bb.0:
	s_load_dwordx8 s[8:15], s[4:5], 0x28
	s_mov_b32 s7, 0
	s_lshl_b64 s[0:1], s[6:7], 2
	v_and_b32_e32 v12, 0x3ff, v0
	v_bfe_u32 v13, v0, 10, 10
	s_waitcnt lgkmcnt(0)
	s_add_u32 s0, s12, s0
	s_addc_u32 s1, s13, s1
	s_load_dword s12, s[0:1], 0x0
	s_waitcnt lgkmcnt(0)
	s_ashr_i32 s13, s12, 31
	s_lshl_b64 s[6:7], s[12:13], 2
	s_add_u32 s0, s8, s6
	s_addc_u32 s1, s9, s7
	s_load_dword s30, s[0:1], 0x0
	s_load_dword s13, s[4:5], 0x48
	s_waitcnt lgkmcnt(0)
	s_cmp_lg_u32 s30, -1
	s_cbranch_scc0 .LBB27_131
; %bb.1:
	s_load_dwordx4 s[16:19], s[4:5], 0x10
	s_load_dwordx2 s[20:21], s[4:5], 0x20
	v_mad_u32_u24 v14, v13, 7, v12
	v_mul_u32_u24_e32 v17, 7, v13
	s_waitcnt lgkmcnt(0)
	s_add_u32 s0, s16, s6
	s_addc_u32 s1, s17, s7
	s_load_dword s26, s[0:1], 0x0
	s_waitcnt lgkmcnt(0)
	s_sub_i32 s31, s26, s13
	v_add_u32_e32 v0, s31, v14
	v_cmp_ge_i32_e32 vcc, s30, v0
	s_and_saveexec_b64 s[2:3], vcc
	s_cbranch_execz .LBB27_14
; %bb.2:
	v_add_u32_e32 v1, s26, v12
	v_add_u32_e32 v2, v1, v17
	v_subrev_u32_e32 v2, s13, v2
	v_add_u32_e32 v2, 49, v2
	s_add_i32 s0, s30, 1
	v_max_i32_e32 v2, s0, v2
	v_add_u32_e32 v2, s13, v2
	v_sub_u32_e32 v1, v2, v1
	v_subrev_u32_e32 v1, 49, v1
	v_cmp_ne_u32_e32 vcc, v1, v17
	v_addc_co_u32_e64 v2, s[0:1], 0, v17, vcc
	v_sub_u32_e32 v1, v1, v2
	s_mov_b32 s0, 0x5397829d
	v_mul_hi_u32 v1, v1, s0
	v_lshrrev_b32_e32 v1, 4, v1
	v_addc_co_u32_e32 v15, vcc, 0, v1, vcc
	v_cmp_ne_u32_e32 vcc, 0, v15
	s_mov_b64 s[22:23], -1
	s_and_saveexec_b64 s[0:1], vcc
	s_cbranch_execz .LBB27_11
; %bb.3:
	v_add_u32_e32 v2, -1, v15
	v_add_u32_e32 v1, 49, v0
	v_lshrrev_b32_e32 v2, 1, v2
	v_add_u32_e32 v16, 1, v2
	v_cmp_lt_u32_e32 vcc, 14, v15
	v_pk_mov_b32 v[2:3], v[0:1], v[0:1] op_sel:[0,1]
	s_and_saveexec_b64 s[22:23], vcc
	s_cbranch_execz .LBB27_7
; %bb.4:
	v_and_b32_e32 v18, -8, v16
	s_mov_b64 s[24:25], 0
	v_mov_b32_e32 v19, s19
	v_pk_mov_b32 v[2:3], v[0:1], v[0:1] op_sel:[0,1]
.LBB27_5:                               ; =>This Inner Loop Header: Depth=1
	v_ashrrev_i32_e32 v23, 31, v2
	v_mov_b32_e32 v22, v2
	v_lshlrev_b64 v[22:23], 2, v[22:23]
	v_ashrrev_i32_e32 v21, 31, v3
	v_mov_b32_e32 v20, v3
	v_add_co_u32_e32 v22, vcc, s18, v22
	v_add_u32_e32 v4, 0x62, v2
	v_lshlrev_b64 v[20:21], 2, v[20:21]
	v_addc_co_u32_e32 v23, vcc, v19, v23, vcc
	v_ashrrev_i32_e32 v5, 31, v4
	v_add_co_u32_e32 v20, vcc, s18, v20
	v_add_u32_e32 v6, 0x62, v3
	v_addc_co_u32_e32 v21, vcc, v19, v21, vcc
	v_lshlrev_b64 v[42:43], 2, v[4:5]
	v_ashrrev_i32_e32 v7, 31, v6
	v_add_co_u32_e32 v42, vcc, s18, v42
	v_add_u32_e32 v8, 0xc4, v2
	v_lshlrev_b64 v[44:45], 2, v[6:7]
	v_addc_co_u32_e32 v43, vcc, v19, v43, vcc
	v_ashrrev_i32_e32 v9, 31, v8
	v_add_co_u32_e32 v44, vcc, s18, v44
	v_add_u32_e32 v10, 0xc4, v3
	v_lshlrev_b64 v[46:47], 2, v[8:9]
	v_addc_co_u32_e32 v45, vcc, v19, v45, vcc
	;; [unrolled: 5-line block ×11, first 2 shown]
	v_ashrrev_i32_e32 v41, 31, v40
	v_add_co_u32_e32 v64, vcc, s18, v64
	v_addc_co_u32_e32 v65, vcc, v19, v65, vcc
	v_lshlrev_b64 v[66:67], 2, v[40:41]
	v_add_u32_e32 v68, 0x2ae, v3
	v_add_co_u32_e32 v66, vcc, s18, v66
	v_ashrrev_i32_e32 v69, 31, v68
	v_addc_co_u32_e32 v67, vcc, v19, v67, vcc
	v_lshlrev_b64 v[70:71], 2, v[68:69]
	v_add_co_u32_e32 v70, vcc, s18, v70
	v_addc_co_u32_e32 v71, vcc, v19, v71, vcc
	global_load_dword v1, v[20:21], off
	global_load_dword v5, v[22:23], off
	;; [unrolled: 1-line block ×15, first 2 shown]
                                        ; kill: killed $vgpr44 killed $vgpr45
                                        ; kill: killed $vgpr46 killed $vgpr47
                                        ; kill: killed $vgpr70 killed $vgpr71
                                        ; kill: killed $vgpr42 killed $vgpr43
                                        ; kill: killed $vgpr64 killed $vgpr65
                                        ; kill: killed $vgpr62 killed $vgpr63
                                        ; kill: killed $vgpr60 killed $vgpr61
                                        ; kill: killed $vgpr20 killed $vgpr21
                                        ; kill: killed $vgpr56 killed $vgpr57
                                        ; kill: killed $vgpr58 killed $vgpr59
                                        ; kill: killed $vgpr22 killed $vgpr23
                                        ; kill: killed $vgpr52 killed $vgpr53
                                        ; kill: killed $vgpr54 killed $vgpr55
                                        ; kill: killed $vgpr48 killed $vgpr49
                                        ; kill: killed $vgpr50 killed $vgpr51
	global_load_dword v20, v[66:67], off
	v_subrev_u32_e32 v22, s31, v2
	v_add_u32_e32 v18, -8, v18
	v_subrev_u32_e32 v21, s31, v3
	v_lshlrev_b32_e32 v22, 2, v22
	v_subrev_u32_e32 v4, s31, v4
	v_cmp_eq_u32_e32 vcc, 0, v18
	v_add_u32_e32 v3, 0x310, v3
	v_add_u32_e32 v2, 0x310, v2
	v_lshlrev_b32_e32 v21, 2, v21
	v_subrev_u32_e32 v6, s31, v6
	v_subrev_u32_e32 v10, s31, v10
	;; [unrolled: 1-line block ×13, first 2 shown]
	v_lshlrev_b32_e32 v4, 2, v4
	s_or_b64 s[24:25], vcc, s[24:25]
	v_lshlrev_b32_e32 v6, 2, v6
	v_lshlrev_b32_e32 v8, 2, v8
	;; [unrolled: 1-line block ×13, first 2 shown]
	s_waitcnt vmcnt(15)
	v_subrev_u32_e32 v1, s13, v1
	s_waitcnt vmcnt(14)
	v_subrev_u32_e32 v5, s13, v5
	ds_write_b32 v22, v5 offset:2048
	ds_write_b32 v21, v1 offset:2048
	s_waitcnt vmcnt(12)
	v_subrev_u32_e32 v5, s13, v9
	v_subrev_u32_e32 v1, s13, v7
	s_waitcnt vmcnt(11)
	v_subrev_u32_e32 v7, s13, v11
	s_waitcnt vmcnt(10)
	;; [unrolled: 2-line block ×12, first 2 shown]
	v_subrev_u32_e32 v20, s13, v20
	ds_write_b32 v4, v5 offset:2048
	ds_write_b32 v6, v1 offset:2048
	;; [unrolled: 1-line block ×14, first 2 shown]
	s_andn2_b64 exec, exec, s[24:25]
	s_cbranch_execnz .LBB27_5
; %bb.6:
	s_or_b64 exec, exec, s[24:25]
.LBB27_7:
	s_or_b64 exec, exec, s[22:23]
	v_and_b32_e32 v1, 7, v16
	v_cmp_ne_u32_e32 vcc, 0, v1
	s_and_saveexec_b64 s[22:23], vcc
	s_cbranch_execz .LBB27_10
; %bb.8:
	v_sub_u32_e32 v1, 0, v1
	s_mov_b64 s[24:25], 0
	v_mov_b32_e32 v4, s19
.LBB27_9:                               ; =>This Inner Loop Header: Depth=1
	v_ashrrev_i32_e32 v9, 31, v2
	v_mov_b32_e32 v8, v2
	v_lshlrev_b64 v[8:9], 2, v[8:9]
	v_ashrrev_i32_e32 v7, 31, v3
	v_mov_b32_e32 v6, v3
	v_add_co_u32_e32 v8, vcc, s18, v8
	v_lshlrev_b64 v[6:7], 2, v[6:7]
	v_addc_co_u32_e32 v9, vcc, v4, v9, vcc
	v_add_co_u32_e32 v6, vcc, s18, v6
	v_addc_co_u32_e32 v7, vcc, v4, v7, vcc
	global_load_dword v5, v[6:7], off
	global_load_dword v10, v[8:9], off
	v_subrev_u32_e32 v7, s31, v2
	v_add_co_u32_e32 v1, vcc, 1, v1
	v_subrev_u32_e32 v6, s31, v3
	v_add_u32_e32 v3, 0x62, v3
	v_add_u32_e32 v2, 0x62, v2
	v_lshlrev_b32_e32 v7, 2, v7
	s_or_b64 s[24:25], vcc, s[24:25]
	v_lshlrev_b32_e32 v6, 2, v6
	s_waitcnt vmcnt(1)
	v_subrev_u32_e32 v5, s13, v5
	s_waitcnt vmcnt(0)
	v_subrev_u32_e32 v8, s13, v10
	ds_write_b32 v7, v8 offset:2048
	ds_write_b32 v6, v5 offset:2048
	s_andn2_b64 exec, exec, s[24:25]
	s_cbranch_execnz .LBB27_9
.LBB27_10:
	s_or_b64 exec, exec, s[22:23]
	v_add_u32_e32 v2, 1, v15
	v_and_b32_e32 v3, 0x1ffffffe, v2
	v_mad_u64_u32 v[0:1], s[22:23], v3, 49, v[0:1]
	v_cmp_ne_u32_e32 vcc, v2, v3
	s_orn2_b64 s[22:23], vcc, exec
.LBB27_11:
	s_or_b64 exec, exec, s[0:1]
	s_and_b64 exec, exec, s[22:23]
	s_cbranch_execz .LBB27_14
; %bb.12:
	v_add_u32_e32 v1, s13, v0
	v_subrev_u32_e32 v1, s26, v1
	v_mov_b32_e32 v2, 0x800
	v_lshl_add_u32 v4, v1, 2, v2
	v_ashrrev_i32_e32 v1, 31, v0
	v_lshlrev_b64 v[2:3], 2, v[0:1]
	v_mov_b32_e32 v1, s19
	v_add_co_u32_e32 v2, vcc, s18, v2
	v_addc_co_u32_e32 v3, vcc, v1, v3, vcc
	s_mov_b64 s[0:1], 0
.LBB27_13:                              ; =>This Inner Loop Header: Depth=1
	global_load_dword v1, v[2:3], off
	v_add_co_u32_e32 v2, vcc, 0xc4, v2
	v_add_u32_e32 v0, 49, v0
	v_addc_co_u32_e32 v3, vcc, 0, v3, vcc
	v_cmp_lt_i32_e32 vcc, s30, v0
	s_or_b64 s[0:1], vcc, s[0:1]
	s_waitcnt vmcnt(0)
	v_subrev_u32_e32 v1, s13, v1
	ds_write_b32 v4, v1
	v_add_u32_e32 v4, 0xc4, v4
	s_andn2_b64 exec, exec, s[0:1]
	s_cbranch_execnz .LBB27_13
.LBB27_14:
	s_or_b64 exec, exec, s[2:3]
	s_load_dword s33, s[4:5], 0x0
	v_lshlrev_b32_e32 v2, 3, v12
	v_lshl_add_u32 v16, v13, 6, v2
	v_mov_b32_e32 v0, 0
	v_add_u32_e32 v15, 0x540, v16
	v_mov_b32_e32 v1, v0
	s_cmp_ge_i32 s31, s30
	v_mad_u32_u24 v3, v12, 7, v13
	ds_write_b64 v16, v[0:1] offset:1344
	s_waitcnt lgkmcnt(0)
	s_cbranch_scc1 .LBB27_68
; %bb.15:
	v_lshlrev_b32_e32 v5, 6, v13
	v_add_u32_e32 v18, 0x380, v5
	v_add_u32_e32 v21, 0x1c0, v5
	s_cmp_eq_u32 s33, 0
	v_add_u32_e32 v19, v18, v2
	v_add_u32_e32 v20, v5, v2
	;; [unrolled: 1-line block ×3, first 2 shown]
	v_or_b32_e32 v2, v12, v13
	v_mad_u32_u24 v4, v12, 7, v13
	s_cselect_b64 vcc, -1, 0
	s_cmp_lg_u32 s33, 0
	v_cmp_ne_u32_e64 s[0:1], 0, v2
	v_mov_b32_e32 v2, 0x380
	s_cselect_b64 s[2:3], -1, 0
	v_mul_u32_u24_e32 v1, 7, v12
	v_lshl_add_u32 v23, v12, 6, v2
	v_cndmask_b32_e32 v2, v4, v14, vcc
	v_mov_b32_e32 v24, 0x3ff00000
	s_mov_b32 s4, s31
	s_branch .LBB27_19
.LBB27_16:                              ;   in Loop: Header=BB27_19 Depth=1
	s_or_b64 exec, exec, s[24:25]
	v_mov_b32_e32 v8, 0
	v_mov_b32_e32 v9, 0x3ff00000
.LBB27_17:                              ;   in Loop: Header=BB27_19 Depth=1
	s_or_b64 exec, exec, s[22:23]
	ds_read_b128 v[26:29], v18
	ds_read_b64 v[10:11], v21 offset:48
	ds_read_b128 v[30:33], v0 offset:384
	ds_read_b128 v[34:37], v0 offset:400
	ds_read_b128 v[38:41], v18 offset:16
	ds_read_b128 v[42:45], v18 offset:32
	ds_read_b128 v[46:49], v0 offset:416
	s_waitcnt lgkmcnt(4)
	v_fmac_f64_e32 v[10:11], v[30:31], v[26:27]
	v_fmac_f64_e32 v[10:11], v[32:33], v[28:29]
	s_waitcnt lgkmcnt(2)
	v_fmac_f64_e32 v[10:11], v[34:35], v[38:39]
	v_fmac_f64_e32 v[10:11], v[36:37], v[40:41]
	;; [unrolled: 3-line block ×3, first 2 shown]
	v_add_f64 v[6:7], v[6:7], -v[10:11]
	v_div_scale_f64 v[10:11], s[22:23], v[8:9], v[8:9], v[6:7]
	v_rcp_f64_e32 v[26:27], v[10:11]
	s_add_i32 s4, s4, 1
	s_cmp_ge_i32 s4, s30
	s_cselect_b64 s[26:27], -1, 0
	v_fma_f64 v[28:29], -v[10:11], v[26:27], 1.0
	v_fmac_f64_e32 v[26:27], v[26:27], v[28:29]
	v_fma_f64 v[28:29], -v[10:11], v[26:27], 1.0
	v_fmac_f64_e32 v[26:27], v[26:27], v[28:29]
	v_div_scale_f64 v[28:29], vcc, v[6:7], v[8:9], v[6:7]
	v_mul_f64 v[30:31], v[28:29], v[26:27]
	v_fma_f64 v[10:11], -v[10:11], v[30:31], v[28:29]
	s_nop 1
	v_div_fmas_f64 v[10:11], v[10:11], v[26:27], v[30:31]
	v_div_fixup_f64 v[6:7], v[10:11], v[8:9], v[6:7]
	ds_write_b64 v18, v[6:7] offset:48
	s_waitcnt lgkmcnt(0)
	ds_read_b64 v[8:9], v23 offset:48
	ds_read_b64 v[10:11], v15
	s_waitcnt lgkmcnt(0)
	v_fmac_f64_e32 v[10:11], v[6:7], v[8:9]
	ds_write_b64 v15, v[10:11]
	s_waitcnt lgkmcnt(0)
	ds_read_b64 v[6:7], v19
	s_waitcnt lgkmcnt(0)
	global_store_dwordx2 v[4:5], v[6:7], off
	s_waitcnt vmcnt(0)
	buffer_wbinvl1_vol
.LBB27_18:                              ;   in Loop: Header=BB27_19 Depth=1
	s_and_b64 vcc, exec, s[26:27]
	s_cbranch_vccnz .LBB27_68
.LBB27_19:                              ; =>This Loop Header: Depth=1
                                        ;     Child Loop BB27_22 Depth 2
                                        ;     Child Loop BB27_33 Depth 2
	s_ashr_i32 s5, s4, 31
	s_lshl_b64 s[22:23], s[4:5], 2
	s_add_u32 s22, s18, s22
	s_addc_u32 s23, s19, s23
	s_load_dword s5, s[22:23], 0x0
	s_waitcnt lgkmcnt(0)
	s_sub_i32 s24, s5, s13
	s_ashr_i32 s25, s24, 31
	s_lshl_b64 s[22:23], s[24:25], 2
	s_add_u32 s26, s8, s22
	s_addc_u32 s27, s9, s23
	s_load_dword s25, s[26:27], 0x0
	s_mov_b64 s[26:27], -1
	s_waitcnt lgkmcnt(0)
	s_cmp_eq_u32 s25, -1
	s_cbranch_scc1 .LBB27_18
; %bb.20:                               ;   in Loop: Header=BB27_19 Depth=1
	v_mad_u64_u32 v[4:5], s[26:27], s4, 49, v[2:3]
	v_ashrrev_i32_e32 v5, 31, v4
	v_lshlrev_b64 v[4:5], 3, v[4:5]
	v_mov_b32_e32 v6, s21
	v_add_co_u32_e32 v4, vcc, s20, v4
	v_addc_co_u32_e32 v5, vcc, v6, v5, vcc
	global_load_dwordx2 v[6:7], v[4:5], off
	s_add_u32 s26, s16, s22
	s_addc_u32 s27, s17, s23
	s_load_dword s26, s[26:27], 0x0
	ds_read_b32 v8, v0 offset:2048
	s_mov_b32 s27, 0
	s_waitcnt lgkmcnt(0)
	s_sub_i32 s26, s26, s13
	s_cmp_le_i32 s26, s25
	v_cmp_ge_i32_e32 vcc, s24, v8
	s_cselect_b64 s[28:29], -1, 0
	s_and_b64 s[28:29], s[28:29], vcc
	s_andn2_b64 vcc, exec, s[28:29]
	s_waitcnt vmcnt(0)
	ds_write_b64 v19, v[6:7]
	s_cbranch_vccnz .LBB27_32
; %bb.21:                               ;   in Loop: Header=BB27_19 Depth=1
	s_mov_b32 s34, 0
	s_mov_b32 s35, 0
.LBB27_22:                              ;   Parent Loop BB27_19 Depth=1
                                        ; =>  This Inner Loop Header: Depth=2
	s_ashr_i32 s27, s26, 31
	s_lshl_b64 s[28:29], s[26:27], 2
	s_add_u32 s28, s18, s28
	s_addc_u32 s29, s19, s29
	s_load_dword s27, s[28:29], 0x0
	s_lshl_b32 s28, s35, 2
	v_mov_b32_e32 v6, s28
	ds_read_b32 v6, v6 offset:2048
	s_mov_b64 s[28:29], -1
	s_waitcnt lgkmcnt(0)
	s_sub_i32 s39, s27, s13
                                        ; implicit-def: $sgpr27
                                        ; implicit-def: $sgpr38
                                        ; implicit-def: $sgpr37
	v_cmp_ge_i32_e32 vcc, s39, v6
	v_readfirstlane_b32 s36, v6
	s_cbranch_vccz .LBB27_28
; %bb.23:                               ;   in Loop: Header=BB27_22 Depth=2
	s_cmp_le_i32 s39, s36
                                        ; implicit-def: $sgpr27
                                        ; implicit-def: $sgpr38
                                        ; implicit-def: $sgpr37
	s_cbranch_scc0 .LBB27_25
; %bb.24:                               ;   in Loop: Header=BB27_22 Depth=2
	s_add_i32 s27, s35, s31
	s_mul_i32 s27, s27, 49
	s_lshl_b32 s28, s34, 2
	v_mov_b32_e32 v6, s28
	v_mov_b32_e32 v7, s27
	s_mul_i32 s27, s26, 49
	v_mov_b32_e32 v8, s27
	v_add_u32_e32 v6, 0x400, v6
	ds_write2_b32 v6, v8, v7 offset0:192 offset1:224
	s_add_i32 s37, s35, 1
	s_add_i32 s38, s26, 1
	;; [unrolled: 1-line block ×3, first 2 shown]
	s_mov_b64 s[28:29], 0
.LBB27_25:                              ;   in Loop: Header=BB27_22 Depth=2
	s_andn2_b64 vcc, exec, s[28:29]
	s_cbranch_vccnz .LBB27_27
; %bb.26:                               ;   in Loop: Header=BB27_22 Depth=2
	s_add_i32 s37, s35, 1
	s_mov_b32 s27, s34
	s_mov_b32 s38, s26
.LBB27_27:                              ;   in Loop: Header=BB27_22 Depth=2
	s_mov_b64 s[28:29], 0
.LBB27_28:                              ;   in Loop: Header=BB27_22 Depth=2
	s_andn2_b64 vcc, exec, s[28:29]
	s_cbranch_vccnz .LBB27_30
; %bb.29:                               ;   in Loop: Header=BB27_22 Depth=2
	s_add_i32 s38, s26, 1
	s_mov_b32 s37, s35
	s_mov_b32 s27, s34
.LBB27_30:                              ;   in Loop: Header=BB27_22 Depth=2
	s_cmp_le_i32 s38, s25
	s_cselect_b64 s[28:29], -1, 0
	s_cmp_le_i32 s36, s24
	s_cselect_b64 s[34:35], -1, 0
	s_and_b64 s[28:29], s[28:29], s[34:35]
	s_and_b64 vcc, exec, s[28:29]
	s_cbranch_vccz .LBB27_32
; %bb.31:                               ;   in Loop: Header=BB27_22 Depth=2
	s_mov_b32 s34, s27
	s_mov_b32 s26, s38
	;; [unrolled: 1-line block ×3, first 2 shown]
	s_branch .LBB27_22
.LBB27_32:                              ;   in Loop: Header=BB27_19 Depth=1
	s_add_u32 s22, s10, s22
	s_addc_u32 s23, s11, s23
	s_waitcnt lgkmcnt(0)
.LBB27_33:                              ;   Parent Loop BB27_19 Depth=1
                                        ; =>  This Inner Loop Header: Depth=2
	global_load_dword v6, v0, s[22:23] glc
	s_waitcnt vmcnt(0)
	v_cmp_eq_u32_e32 vcc, 0, v6
	s_cbranch_vccnz .LBB27_33
; %bb.34:                               ;   in Loop: Header=BB27_19 Depth=1
	v_mad_u64_u32 v[6:7], s[22:23], s25, 49, v[2:3]
	v_ashrrev_i32_e32 v7, 31, v6
	v_lshlrev_b64 v[6:7], 3, v[6:7]
	v_mov_b32_e32 v8, s21
	v_add_co_u32_e32 v6, vcc, s20, v6
	v_addc_co_u32_e32 v7, vcc, v8, v7, vcc
	buffer_wbinvl1_vol
	global_load_dwordx2 v[6:7], v[6:7], off
	s_cmp_lt_i32 s27, 2
	v_pk_mov_b32 v[10:11], 0, 0
	s_waitcnt vmcnt(0)
	ds_write_b64 v20, v[6:7]
	s_waitcnt lgkmcnt(0)
	s_cbranch_scc1 .LBB27_41
; %bb.35:                               ;   in Loop: Header=BB27_19 Depth=1
	s_add_i32 s24, s27, -1
	s_movk_i32 s25, 0x700
	v_pk_mov_b32 v[6:7], 0, 0
	v_mov_b32_e32 v8, s25
	ds_read2_b32 v[8:9], v8 offset1:32
	s_and_b64 vcc, exec, s[2:3]
	s_cbranch_vccz .LBB27_37
.LBB27_36:                              ;   in Loop: Header=BB27_19 Depth=1
	s_waitcnt lgkmcnt(0)
	v_add_u32_e32 v10, v8, v12
	v_ashrrev_i32_e32 v11, 31, v10
	v_lshlrev_b64 v[26:27], 3, v[10:11]
	v_add_u32_e32 v28, v9, v13
	v_mov_b32_e32 v25, s21
	v_add_co_u32_e32 v26, vcc, s20, v26
	v_ashrrev_i32_e32 v29, 31, v28
	v_addc_co_u32_e32 v27, vcc, v25, v27, vcc
	v_lshlrev_b64 v[30:31], 3, v[28:29]
	v_add_u32_e32 v32, 7, v10
	v_add_co_u32_e32 v30, vcc, s20, v30
	v_ashrrev_i32_e32 v33, 31, v32
	v_addc_co_u32_e32 v31, vcc, v25, v31, vcc
	v_lshlrev_b64 v[32:33], 3, v[32:33]
	v_add_u32_e32 v34, 7, v28
	v_add_co_u32_e32 v32, vcc, s20, v32
	v_ashrrev_i32_e32 v35, 31, v34
	v_addc_co_u32_e32 v33, vcc, v25, v33, vcc
	v_lshlrev_b64 v[34:35], 3, v[34:35]
	v_add_co_u32_e32 v34, vcc, s20, v34
	v_addc_co_u32_e32 v35, vcc, v25, v35, vcc
	global_load_dwordx2 v[36:37], v[26:27], off
	global_load_dwordx2 v[38:39], v[30:31], off
	;; [unrolled: 1-line block ×4, first 2 shown]
	v_add_u32_e32 v26, 14, v10
	v_ashrrev_i32_e32 v27, 31, v26
	v_lshlrev_b64 v[26:27], 3, v[26:27]
	v_add_u32_e32 v30, 14, v28
	v_add_co_u32_e32 v26, vcc, s20, v26
	v_ashrrev_i32_e32 v31, 31, v30
	v_addc_co_u32_e32 v27, vcc, v25, v27, vcc
	v_lshlrev_b64 v[30:31], 3, v[30:31]
	v_add_u32_e32 v32, 21, v10
	v_add_co_u32_e32 v30, vcc, s20, v30
	v_ashrrev_i32_e32 v33, 31, v32
	v_addc_co_u32_e32 v31, vcc, v25, v31, vcc
	;; [unrolled: 5-line block ×3, first 2 shown]
	v_lshlrev_b64 v[34:35], 3, v[34:35]
	v_add_co_u32_e32 v34, vcc, s20, v34
	v_addc_co_u32_e32 v35, vcc, v25, v35, vcc
	global_load_dwordx2 v[44:45], v[26:27], off
	global_load_dwordx2 v[46:47], v[30:31], off
	;; [unrolled: 1-line block ×4, first 2 shown]
	v_add_u32_e32 v26, 28, v10
	v_ashrrev_i32_e32 v27, 31, v26
	v_lshlrev_b64 v[26:27], 3, v[26:27]
	v_add_u32_e32 v30, 28, v28
	v_add_co_u32_e32 v26, vcc, s20, v26
	v_ashrrev_i32_e32 v31, 31, v30
	v_addc_co_u32_e32 v27, vcc, v25, v27, vcc
	v_lshlrev_b64 v[30:31], 3, v[30:31]
	v_add_u32_e32 v32, 35, v10
	v_add_co_u32_e32 v30, vcc, s20, v30
	v_ashrrev_i32_e32 v33, 31, v32
	v_addc_co_u32_e32 v31, vcc, v25, v31, vcc
	;; [unrolled: 5-line block ×4, first 2 shown]
	global_load_dwordx2 v[52:53], v[26:27], off
	global_load_dwordx2 v[54:55], v[30:31], off
	;; [unrolled: 1-line block ×4, first 2 shown]
	v_lshlrev_b64 v[10:11], 3, v[10:11]
	v_add_u32_e32 v26, 42, v28
	v_add_co_u32_e32 v10, vcc, s20, v10
	v_ashrrev_i32_e32 v27, 31, v26
	v_addc_co_u32_e32 v11, vcc, v25, v11, vcc
	v_lshlrev_b64 v[26:27], 3, v[26:27]
	v_add_co_u32_e32 v26, vcc, s20, v26
	v_addc_co_u32_e32 v27, vcc, v25, v27, vcc
	global_load_dwordx2 v[28:29], v[10:11], off
	global_load_dwordx2 v[30:31], v[26:27], off
	s_waitcnt vmcnt(12)
	v_fma_f64 v[10:11], v[36:37], v[38:39], v[6:7]
	s_waitcnt vmcnt(10)
	v_fmac_f64_e32 v[10:11], v[40:41], v[42:43]
	s_waitcnt vmcnt(8)
	v_fmac_f64_e32 v[10:11], v[44:45], v[46:47]
	;; [unrolled: 2-line block ×6, first 2 shown]
	s_cbranch_execz .LBB27_38
	s_branch .LBB27_39
.LBB27_37:                              ;   in Loop: Header=BB27_19 Depth=1
                                        ; implicit-def: $vgpr10_vgpr11
.LBB27_38:                              ;   in Loop: Header=BB27_19 Depth=1
	s_waitcnt lgkmcnt(0)
	v_add_u32_e32 v10, v8, v1
	v_ashrrev_i32_e32 v11, 31, v10
	v_lshlrev_b64 v[10:11], 3, v[10:11]
	v_mov_b32_e32 v25, s21
	v_add_co_u32_e32 v46, vcc, s20, v10
	v_addc_co_u32_e32 v47, vcc, v25, v11, vcc
	global_load_dwordx4 v[26:29], v[46:47], off
	v_add_u32_e32 v8, v9, v17
	v_ashrrev_i32_e32 v9, 31, v8
	v_lshlrev_b64 v[8:9], 3, v[8:9]
	v_add_co_u32_e32 v48, vcc, s20, v8
	v_addc_co_u32_e32 v49, vcc, v25, v9, vcc
	global_load_dwordx4 v[8:11], v[48:49], off
	global_load_dwordx4 v[30:33], v[46:47], off offset:16
	global_load_dwordx4 v[34:37], v[48:49], off offset:16
	;; [unrolled: 1-line block ×4, first 2 shown]
	global_load_dwordx2 v[50:51], v[46:47], off offset:48
	global_load_dwordx2 v[52:53], v[48:49], off offset:48
	s_waitcnt vmcnt(6)
	v_fmac_f64_e32 v[6:7], v[26:27], v[8:9]
	v_fmac_f64_e32 v[6:7], v[28:29], v[10:11]
	s_waitcnt vmcnt(4)
	v_fmac_f64_e32 v[6:7], v[30:31], v[34:35]
	v_fmac_f64_e32 v[6:7], v[32:33], v[36:37]
	;; [unrolled: 3-line block ×3, first 2 shown]
	s_waitcnt vmcnt(0)
	v_fmac_f64_e32 v[6:7], v[50:51], v[52:53]
	v_pk_mov_b32 v[10:11], v[6:7], v[6:7] op_sel:[0,1]
.LBB27_39:                              ;   in Loop: Header=BB27_19 Depth=1
	s_add_i32 s24, s24, -1
	s_add_i32 s25, s25, 4
	s_cmp_eq_u32 s24, 0
	s_cbranch_scc1 .LBB27_41
; %bb.40:                               ;   in Loop: Header=BB27_19 Depth=1
	v_pk_mov_b32 v[6:7], v[10:11], v[10:11] op_sel:[0,1]
	s_waitcnt lgkmcnt(0)
	v_mov_b32_e32 v8, s25
	ds_read2_b32 v[8:9], v8 offset1:32
	s_and_b64 vcc, exec, s[2:3]
	s_cbranch_vccz .LBB27_37
	s_branch .LBB27_36
.LBB27_41:                              ;   in Loop: Header=BB27_19 Depth=1
	ds_write_b64 v22, v[10:11]
	s_waitcnt lgkmcnt(0)
	ds_read_b64 v[8:9], v0
	ds_read_b64 v[6:7], v18
	s_waitcnt lgkmcnt(1)
	v_cmp_neq_f64_e32 vcc, 0, v[8:9]
	s_or_b64 s[22:23], vcc, s[0:1]
	v_cndmask_b32_e32 v9, v24, v9, vcc
	s_xor_b64 s[24:25], s[22:23], -1
	v_cndmask_b32_e32 v8, 0, v8, vcc
	s_and_saveexec_b64 s[22:23], s[24:25]
	s_cbranch_execz .LBB27_45
; %bb.42:                               ;   in Loop: Header=BB27_19 Depth=1
	v_mbcnt_lo_u32_b32 v8, exec_lo, 0
	v_mbcnt_hi_u32_b32 v8, exec_hi, v8
	v_cmp_eq_u32_e32 vcc, 0, v8
	s_and_saveexec_b64 s[24:25], vcc
	s_cbranch_execz .LBB27_44
; %bb.43:                               ;   in Loop: Header=BB27_19 Depth=1
	v_mov_b32_e32 v8, s5
	global_atomic_smin v0, v8, s[14:15]
.LBB27_44:                              ;   in Loop: Header=BB27_19 Depth=1
	s_or_b64 exec, exec, s[24:25]
	v_mov_b32_e32 v8, 0
	v_mov_b32_e32 v9, 0x3ff00000
.LBB27_45:                              ;   in Loop: Header=BB27_19 Depth=1
	s_or_b64 exec, exec, s[22:23]
	ds_read_b64 v[10:11], v21
	s_waitcnt lgkmcnt(0)
	v_add_f64 v[6:7], v[6:7], -v[10:11]
	v_div_scale_f64 v[10:11], s[22:23], v[8:9], v[8:9], v[6:7]
	v_rcp_f64_e32 v[26:27], v[10:11]
	v_div_scale_f64 v[28:29], vcc, v[6:7], v[8:9], v[6:7]
	v_fma_f64 v[30:31], -v[10:11], v[26:27], 1.0
	v_fmac_f64_e32 v[26:27], v[26:27], v[30:31]
	v_fma_f64 v[30:31], -v[10:11], v[26:27], 1.0
	v_fmac_f64_e32 v[26:27], v[26:27], v[30:31]
	v_mul_f64 v[30:31], v[28:29], v[26:27]
	v_fma_f64 v[10:11], -v[10:11], v[30:31], v[28:29]
	v_div_fmas_f64 v[10:11], v[10:11], v[26:27], v[30:31]
	v_div_fixup_f64 v[6:7], v[10:11], v[8:9], v[6:7]
	ds_write_b64 v18, v[6:7]
	s_waitcnt lgkmcnt(0)
	ds_read_b64 v[8:9], v23
	ds_read_b64 v[10:11], v15
	s_waitcnt lgkmcnt(0)
	v_fmac_f64_e32 v[10:11], v[6:7], v[8:9]
	ds_write_b64 v15, v[10:11]
	s_waitcnt lgkmcnt(0)
	ds_read_b64 v[8:9], v0 offset:72
	ds_read_b64 v[6:7], v18 offset:8
	s_waitcnt lgkmcnt(1)
	v_cmp_neq_f64_e32 vcc, 0, v[8:9]
	s_or_b64 s[22:23], vcc, s[0:1]
	v_cndmask_b32_e32 v9, v24, v9, vcc
	s_xor_b64 s[24:25], s[22:23], -1
	v_cndmask_b32_e32 v8, 0, v8, vcc
	s_and_saveexec_b64 s[22:23], s[24:25]
	s_cbranch_execz .LBB27_49
; %bb.46:                               ;   in Loop: Header=BB27_19 Depth=1
	v_mbcnt_lo_u32_b32 v8, exec_lo, 0
	v_mbcnt_hi_u32_b32 v8, exec_hi, v8
	v_cmp_eq_u32_e32 vcc, 0, v8
	s_and_saveexec_b64 s[24:25], vcc
	s_cbranch_execz .LBB27_48
; %bb.47:                               ;   in Loop: Header=BB27_19 Depth=1
	v_mov_b32_e32 v8, s5
	global_atomic_smin v0, v8, s[14:15]
.LBB27_48:                              ;   in Loop: Header=BB27_19 Depth=1
	s_or_b64 exec, exec, s[24:25]
	v_mov_b32_e32 v8, 0
	v_mov_b32_e32 v9, 0x3ff00000
.LBB27_49:                              ;   in Loop: Header=BB27_19 Depth=1
	s_or_b64 exec, exec, s[22:23]
	ds_read_b64 v[10:11], v18
	ds_read_b64 v[26:27], v0 offset:64
	ds_read_b64 v[28:29], v21 offset:8
	s_waitcnt lgkmcnt(0)
	v_fmac_f64_e32 v[28:29], v[26:27], v[10:11]
	v_add_f64 v[6:7], v[6:7], -v[28:29]
	v_div_scale_f64 v[10:11], s[22:23], v[8:9], v[8:9], v[6:7]
	v_rcp_f64_e32 v[26:27], v[10:11]
	v_div_scale_f64 v[28:29], vcc, v[6:7], v[8:9], v[6:7]
	v_fma_f64 v[30:31], -v[10:11], v[26:27], 1.0
	v_fmac_f64_e32 v[26:27], v[26:27], v[30:31]
	v_fma_f64 v[30:31], -v[10:11], v[26:27], 1.0
	v_fmac_f64_e32 v[26:27], v[26:27], v[30:31]
	v_mul_f64 v[30:31], v[28:29], v[26:27]
	v_fma_f64 v[10:11], -v[10:11], v[30:31], v[28:29]
	v_div_fmas_f64 v[10:11], v[10:11], v[26:27], v[30:31]
	v_div_fixup_f64 v[6:7], v[10:11], v[8:9], v[6:7]
	ds_write_b64 v18, v[6:7] offset:8
	s_waitcnt lgkmcnt(0)
	ds_read_b64 v[8:9], v23 offset:8
	ds_read_b64 v[10:11], v15
	s_waitcnt lgkmcnt(0)
	v_fmac_f64_e32 v[10:11], v[6:7], v[8:9]
	ds_write_b64 v15, v[10:11]
	s_waitcnt lgkmcnt(0)
	ds_read_b64 v[8:9], v0 offset:144
	ds_read_b64 v[6:7], v18 offset:16
	s_waitcnt lgkmcnt(1)
	v_cmp_neq_f64_e32 vcc, 0, v[8:9]
	s_or_b64 s[22:23], vcc, s[0:1]
	v_cndmask_b32_e32 v9, v24, v9, vcc
	s_xor_b64 s[24:25], s[22:23], -1
	v_cndmask_b32_e32 v8, 0, v8, vcc
	s_and_saveexec_b64 s[22:23], s[24:25]
	s_cbranch_execz .LBB27_53
; %bb.50:                               ;   in Loop: Header=BB27_19 Depth=1
	v_mbcnt_lo_u32_b32 v8, exec_lo, 0
	v_mbcnt_hi_u32_b32 v8, exec_hi, v8
	v_cmp_eq_u32_e32 vcc, 0, v8
	s_and_saveexec_b64 s[24:25], vcc
	s_cbranch_execz .LBB27_52
; %bb.51:                               ;   in Loop: Header=BB27_19 Depth=1
	v_mov_b32_e32 v8, s5
	global_atomic_smin v0, v8, s[14:15]
.LBB27_52:                              ;   in Loop: Header=BB27_19 Depth=1
	s_or_b64 exec, exec, s[24:25]
	v_mov_b32_e32 v8, 0
	v_mov_b32_e32 v9, 0x3ff00000
.LBB27_53:                              ;   in Loop: Header=BB27_19 Depth=1
	s_or_b64 exec, exec, s[22:23]
	ds_read_b128 v[26:29], v0 offset:128
	ds_read_b128 v[30:33], v18
	ds_read_b64 v[10:11], v21 offset:16
	s_waitcnt lgkmcnt(0)
	v_fmac_f64_e32 v[10:11], v[26:27], v[30:31]
	v_fmac_f64_e32 v[10:11], v[28:29], v[32:33]
	v_add_f64 v[6:7], v[6:7], -v[10:11]
	v_div_scale_f64 v[10:11], s[22:23], v[8:9], v[8:9], v[6:7]
	v_rcp_f64_e32 v[26:27], v[10:11]
	v_div_scale_f64 v[28:29], vcc, v[6:7], v[8:9], v[6:7]
	v_fma_f64 v[30:31], -v[10:11], v[26:27], 1.0
	v_fmac_f64_e32 v[26:27], v[26:27], v[30:31]
	v_fma_f64 v[30:31], -v[10:11], v[26:27], 1.0
	v_fmac_f64_e32 v[26:27], v[26:27], v[30:31]
	v_mul_f64 v[30:31], v[28:29], v[26:27]
	v_fma_f64 v[10:11], -v[10:11], v[30:31], v[28:29]
	v_div_fmas_f64 v[10:11], v[10:11], v[26:27], v[30:31]
	v_div_fixup_f64 v[6:7], v[10:11], v[8:9], v[6:7]
	ds_write_b64 v18, v[6:7] offset:16
	s_waitcnt lgkmcnt(0)
	ds_read_b64 v[8:9], v23 offset:16
	ds_read_b64 v[10:11], v15
	s_waitcnt lgkmcnt(0)
	v_fmac_f64_e32 v[10:11], v[6:7], v[8:9]
	ds_write_b64 v15, v[10:11]
	s_waitcnt lgkmcnt(0)
	ds_read_b64 v[8:9], v0 offset:216
	ds_read_b64 v[6:7], v18 offset:24
	s_waitcnt lgkmcnt(1)
	v_cmp_neq_f64_e32 vcc, 0, v[8:9]
	s_or_b64 s[22:23], vcc, s[0:1]
	v_cndmask_b32_e32 v9, v24, v9, vcc
	s_xor_b64 s[24:25], s[22:23], -1
	v_cndmask_b32_e32 v8, 0, v8, vcc
	s_and_saveexec_b64 s[22:23], s[24:25]
	s_cbranch_execz .LBB27_57
; %bb.54:                               ;   in Loop: Header=BB27_19 Depth=1
	v_mbcnt_lo_u32_b32 v8, exec_lo, 0
	v_mbcnt_hi_u32_b32 v8, exec_hi, v8
	v_cmp_eq_u32_e32 vcc, 0, v8
	s_and_saveexec_b64 s[24:25], vcc
	s_cbranch_execz .LBB27_56
; %bb.55:                               ;   in Loop: Header=BB27_19 Depth=1
	v_mov_b32_e32 v8, s5
	global_atomic_smin v0, v8, s[14:15]
.LBB27_56:                              ;   in Loop: Header=BB27_19 Depth=1
	s_or_b64 exec, exec, s[24:25]
	v_mov_b32_e32 v8, 0
	v_mov_b32_e32 v9, 0x3ff00000
.LBB27_57:                              ;   in Loop: Header=BB27_19 Depth=1
	s_or_b64 exec, exec, s[22:23]
	ds_read_b128 v[26:29], v0 offset:192
	ds_read_b64 v[10:11], v21 offset:24
	ds_read_b128 v[30:33], v18
	ds_read_b64 v[34:35], v0 offset:208
	ds_read_b64 v[36:37], v18 offset:16
	s_waitcnt lgkmcnt(2)
	v_fmac_f64_e32 v[10:11], v[26:27], v[30:31]
	v_fmac_f64_e32 v[10:11], v[28:29], v[32:33]
	s_waitcnt lgkmcnt(0)
	v_fmac_f64_e32 v[10:11], v[34:35], v[36:37]
	v_add_f64 v[6:7], v[6:7], -v[10:11]
	v_div_scale_f64 v[10:11], s[22:23], v[8:9], v[8:9], v[6:7]
	v_rcp_f64_e32 v[26:27], v[10:11]
	v_div_scale_f64 v[28:29], vcc, v[6:7], v[8:9], v[6:7]
	v_fma_f64 v[30:31], -v[10:11], v[26:27], 1.0
	v_fmac_f64_e32 v[26:27], v[26:27], v[30:31]
	v_fma_f64 v[30:31], -v[10:11], v[26:27], 1.0
	v_fmac_f64_e32 v[26:27], v[26:27], v[30:31]
	v_mul_f64 v[30:31], v[28:29], v[26:27]
	v_fma_f64 v[10:11], -v[10:11], v[30:31], v[28:29]
	v_div_fmas_f64 v[10:11], v[10:11], v[26:27], v[30:31]
	v_div_fixup_f64 v[6:7], v[10:11], v[8:9], v[6:7]
	ds_write_b64 v18, v[6:7] offset:24
	s_waitcnt lgkmcnt(0)
	ds_read_b64 v[8:9], v23 offset:24
	ds_read_b64 v[10:11], v15
	s_waitcnt lgkmcnt(0)
	v_fmac_f64_e32 v[10:11], v[6:7], v[8:9]
	ds_write_b64 v15, v[10:11]
	s_waitcnt lgkmcnt(0)
	ds_read_b64 v[8:9], v0 offset:288
	ds_read_b64 v[6:7], v18 offset:32
	s_waitcnt lgkmcnt(1)
	v_cmp_neq_f64_e32 vcc, 0, v[8:9]
	s_or_b64 s[22:23], vcc, s[0:1]
	v_cndmask_b32_e32 v9, v24, v9, vcc
	s_xor_b64 s[24:25], s[22:23], -1
	v_cndmask_b32_e32 v8, 0, v8, vcc
	s_and_saveexec_b64 s[22:23], s[24:25]
	s_cbranch_execz .LBB27_61
; %bb.58:                               ;   in Loop: Header=BB27_19 Depth=1
	v_mbcnt_lo_u32_b32 v8, exec_lo, 0
	v_mbcnt_hi_u32_b32 v8, exec_hi, v8
	v_cmp_eq_u32_e32 vcc, 0, v8
	s_and_saveexec_b64 s[24:25], vcc
	s_cbranch_execz .LBB27_60
; %bb.59:                               ;   in Loop: Header=BB27_19 Depth=1
	v_mov_b32_e32 v8, s5
	global_atomic_smin v0, v8, s[14:15]
.LBB27_60:                              ;   in Loop: Header=BB27_19 Depth=1
	s_or_b64 exec, exec, s[24:25]
	v_mov_b32_e32 v8, 0
	v_mov_b32_e32 v9, 0x3ff00000
.LBB27_61:                              ;   in Loop: Header=BB27_19 Depth=1
	s_or_b64 exec, exec, s[22:23]
	ds_read_b128 v[26:29], v0 offset:256
	ds_read_b64 v[10:11], v21 offset:32
	ds_read_b128 v[30:33], v18
	ds_read_b128 v[34:37], v0 offset:272
	ds_read_b128 v[38:41], v18 offset:16
	s_waitcnt lgkmcnt(2)
	v_fmac_f64_e32 v[10:11], v[26:27], v[30:31]
	v_fmac_f64_e32 v[10:11], v[28:29], v[32:33]
	s_waitcnt lgkmcnt(0)
	v_fmac_f64_e32 v[10:11], v[34:35], v[38:39]
	v_fmac_f64_e32 v[10:11], v[36:37], v[40:41]
	v_add_f64 v[6:7], v[6:7], -v[10:11]
	v_div_scale_f64 v[10:11], s[22:23], v[8:9], v[8:9], v[6:7]
	v_rcp_f64_e32 v[26:27], v[10:11]
	v_div_scale_f64 v[28:29], vcc, v[6:7], v[8:9], v[6:7]
	v_fma_f64 v[30:31], -v[10:11], v[26:27], 1.0
	v_fmac_f64_e32 v[26:27], v[26:27], v[30:31]
	v_fma_f64 v[30:31], -v[10:11], v[26:27], 1.0
	v_fmac_f64_e32 v[26:27], v[26:27], v[30:31]
	v_mul_f64 v[30:31], v[28:29], v[26:27]
	v_fma_f64 v[10:11], -v[10:11], v[30:31], v[28:29]
	v_div_fmas_f64 v[10:11], v[10:11], v[26:27], v[30:31]
	v_div_fixup_f64 v[6:7], v[10:11], v[8:9], v[6:7]
	ds_write_b64 v18, v[6:7] offset:32
	s_waitcnt lgkmcnt(0)
	ds_read_b64 v[8:9], v23 offset:32
	ds_read_b64 v[10:11], v15
	s_waitcnt lgkmcnt(0)
	v_fmac_f64_e32 v[10:11], v[6:7], v[8:9]
	ds_write_b64 v15, v[10:11]
	s_waitcnt lgkmcnt(0)
	ds_read_b64 v[8:9], v0 offset:360
	ds_read_b64 v[6:7], v18 offset:40
	s_waitcnt lgkmcnt(1)
	v_cmp_neq_f64_e32 vcc, 0, v[8:9]
	s_or_b64 s[22:23], vcc, s[0:1]
	v_cndmask_b32_e32 v9, v24, v9, vcc
	s_xor_b64 s[24:25], s[22:23], -1
	v_cndmask_b32_e32 v8, 0, v8, vcc
	s_and_saveexec_b64 s[22:23], s[24:25]
	s_cbranch_execz .LBB27_65
; %bb.62:                               ;   in Loop: Header=BB27_19 Depth=1
	v_mbcnt_lo_u32_b32 v8, exec_lo, 0
	v_mbcnt_hi_u32_b32 v8, exec_hi, v8
	v_cmp_eq_u32_e32 vcc, 0, v8
	s_and_saveexec_b64 s[24:25], vcc
	s_cbranch_execz .LBB27_64
; %bb.63:                               ;   in Loop: Header=BB27_19 Depth=1
	v_mov_b32_e32 v8, s5
	global_atomic_smin v0, v8, s[14:15]
.LBB27_64:                              ;   in Loop: Header=BB27_19 Depth=1
	s_or_b64 exec, exec, s[24:25]
	v_mov_b32_e32 v8, 0
	v_mov_b32_e32 v9, 0x3ff00000
.LBB27_65:                              ;   in Loop: Header=BB27_19 Depth=1
	s_or_b64 exec, exec, s[22:23]
	ds_read_b128 v[26:29], v18
	ds_read_b64 v[10:11], v21 offset:40
	ds_read_b128 v[30:33], v0 offset:320
	ds_read_b128 v[34:37], v0 offset:336
	;; [unrolled: 1-line block ×3, first 2 shown]
	ds_read_b64 v[42:43], v18 offset:32
	ds_read_b64 v[44:45], v0 offset:352
	s_waitcnt lgkmcnt(4)
	v_fmac_f64_e32 v[10:11], v[30:31], v[26:27]
	v_fmac_f64_e32 v[10:11], v[32:33], v[28:29]
	s_waitcnt lgkmcnt(2)
	v_fmac_f64_e32 v[10:11], v[34:35], v[38:39]
	v_fmac_f64_e32 v[10:11], v[36:37], v[40:41]
	s_waitcnt lgkmcnt(0)
	v_fmac_f64_e32 v[10:11], v[44:45], v[42:43]
	v_add_f64 v[6:7], v[6:7], -v[10:11]
	v_div_scale_f64 v[10:11], s[22:23], v[8:9], v[8:9], v[6:7]
	v_rcp_f64_e32 v[26:27], v[10:11]
	v_fma_f64 v[28:29], -v[10:11], v[26:27], 1.0
	v_fmac_f64_e32 v[26:27], v[26:27], v[28:29]
	v_fma_f64 v[28:29], -v[10:11], v[26:27], 1.0
	v_fmac_f64_e32 v[26:27], v[26:27], v[28:29]
	v_div_scale_f64 v[28:29], vcc, v[6:7], v[8:9], v[6:7]
	v_mul_f64 v[30:31], v[28:29], v[26:27]
	v_fma_f64 v[10:11], -v[10:11], v[30:31], v[28:29]
	s_nop 1
	v_div_fmas_f64 v[10:11], v[10:11], v[26:27], v[30:31]
	v_div_fixup_f64 v[6:7], v[10:11], v[8:9], v[6:7]
	ds_write_b64 v18, v[6:7] offset:40
	s_waitcnt lgkmcnt(0)
	ds_read_b64 v[8:9], v23 offset:40
	ds_read_b64 v[10:11], v15
	s_waitcnt lgkmcnt(0)
	v_fmac_f64_e32 v[10:11], v[6:7], v[8:9]
	ds_write_b64 v15, v[10:11]
	s_waitcnt lgkmcnt(0)
	ds_read_b64 v[8:9], v0 offset:432
	ds_read_b64 v[6:7], v18 offset:48
	s_waitcnt lgkmcnt(1)
	v_cmp_neq_f64_e32 vcc, 0, v[8:9]
	s_or_b64 s[22:23], vcc, s[0:1]
	v_cndmask_b32_e32 v9, v24, v9, vcc
	s_xor_b64 s[24:25], s[22:23], -1
	v_cndmask_b32_e32 v8, 0, v8, vcc
	s_and_saveexec_b64 s[22:23], s[24:25]
	s_cbranch_execz .LBB27_17
; %bb.66:                               ;   in Loop: Header=BB27_19 Depth=1
	v_mbcnt_lo_u32_b32 v8, exec_lo, 0
	v_mbcnt_hi_u32_b32 v8, exec_hi, v8
	v_cmp_eq_u32_e32 vcc, 0, v8
	s_and_saveexec_b64 s[24:25], vcc
	s_cbranch_execz .LBB27_16
; %bb.67:                               ;   in Loop: Header=BB27_19 Depth=1
	v_mov_b32_e32 v8, s5
	global_atomic_smin v0, v8, s[14:15]
	s_branch .LBB27_16
.LBB27_68:
	s_cmp_lg_u32 s33, 0
	s_cselect_b64 s[4:5], -1, 0
	s_cmp_eq_u32 s33, 0
	v_mov_b32_e32 v0, v14
	s_cbranch_scc1 .LBB27_70
; %bb.69:
	v_mad_u32_u24 v0, v12, 7, v13
.LBB27_70:
	s_mul_i32 s30, s30, 49
	v_add_u32_e32 v0, s30, v0
	v_ashrrev_i32_e32 v1, 31, v0
	v_lshlrev_b64 v[0:1], 3, v[0:1]
	v_mov_b32_e32 v2, s21
	v_add_co_u32_e32 v0, vcc, s20, v0
	v_addc_co_u32_e32 v1, vcc, v2, v1, vcc
	global_load_dwordx2 v[0:1], v[0:1], off
	v_cmp_ne_u32_e32 vcc, 0, v13
	v_cmp_eq_u32_e64 s[0:1], 0, v13
	s_waitcnt vmcnt(0)
	ds_write_b64 v16, v[0:1] offset:896
	s_waitcnt lgkmcnt(0)
	s_and_saveexec_b64 s[2:3], s[0:1]
	s_cbranch_execz .LBB27_72
; %bb.71:
	v_mov_b32_e32 v2, 0
	ds_read2_b64 v[4:7], v2 offset0:112 offset1:168
	s_mov_b32 s8, 0
	s_brev_b32 s9, 8
	s_waitcnt lgkmcnt(0)
	v_add_f64 v[0:1], v[4:5], -v[6:7]
	v_xor_b32_e32 v4, 0x80000000, v1
	v_cmp_gt_f64_e64 s[0:1], 0, v[0:1]
	v_cndmask_b32_e64 v1, v1, v4, s[0:1]
	v_cndmask_b32_e64 v0, v0, v0, s[0:1]
	v_cmp_gt_f64_e64 s[0:1], s[8:9], v[0:1]
	v_cndmask_b32_e64 v4, 0, 1, s[0:1]
	v_lshlrev_b32_e32 v4, 8, v4
	v_ldexp_f64 v[0:1], v[0:1], v4
	v_rsq_f64_e32 v[4:5], v[0:1]
	s_and_b64 s[0:1], s[0:1], exec
	s_cselect_b32 s0, 0xffffff80, 0
	v_mul_f64 v[6:7], v[0:1], v[4:5]
	v_mul_f64 v[4:5], v[4:5], 0.5
	v_fma_f64 v[8:9], -v[4:5], v[6:7], 0.5
	v_fmac_f64_e32 v[6:7], v[6:7], v[8:9]
	v_fmac_f64_e32 v[4:5], v[4:5], v[8:9]
	v_fma_f64 v[8:9], -v[6:7], v[6:7], v[0:1]
	v_fmac_f64_e32 v[6:7], v[8:9], v[4:5]
	v_fma_f64 v[8:9], -v[6:7], v[6:7], v[0:1]
	v_fmac_f64_e32 v[6:7], v[8:9], v[4:5]
	v_ldexp_f64 v[4:5], v[6:7], s0
	v_mov_b32_e32 v6, 0x260
	v_cmp_class_f64_e64 s[0:1], v[0:1], v6
	v_cndmask_b32_e64 v1, v5, v1, s[0:1]
	v_cndmask_b32_e64 v0, v4, v0, s[0:1]
	ds_write_b64 v2, v[0:1] offset:896
.LBB27_72:
	s_or_b64 exec, exec, s[2:3]
	v_mov_b32_e32 v0, 0
	s_waitcnt lgkmcnt(0)
	ds_read_b64 v[0:1], v0 offset:896
	v_or_b32_e32 v2, v12, v13
	v_cmp_ne_u32_e64 s[0:1], 0, v2
	v_mov_b32_e32 v4, 0x3ff00000
	s_add_i32 s18, s12, s13
	s_waitcnt lgkmcnt(0)
	v_cmp_neq_f64_e64 s[2:3], 0, v[0:1]
	s_or_b64 s[8:9], s[2:3], s[0:1]
	v_cndmask_b32_e64 v1, v4, v1, s[2:3]
	s_xor_b64 s[16:17], s[8:9], -1
	v_cndmask_b32_e64 v0, 0, v0, s[2:3]
	s_and_saveexec_b64 s[8:9], s[16:17]
	s_cbranch_execz .LBB27_76
; %bb.73:
	v_mbcnt_lo_u32_b32 v0, exec_lo, 0
	v_mbcnt_hi_u32_b32 v0, exec_hi, v0
	v_cmp_eq_u32_e64 s[2:3], 0, v0
	s_and_saveexec_b64 s[16:17], s[2:3]
	s_cbranch_execz .LBB27_75
; %bb.74:
	v_mov_b32_e32 v0, 0
	v_mov_b32_e32 v1, s18
	global_atomic_smin v0, v1, s[14:15]
.LBB27_75:
	s_or_b64 exec, exec, s[16:17]
	v_mov_b32_e32 v0, 0
	v_mov_b32_e32 v1, 0x3ff00000
.LBB27_76:
	s_or_b64 exec, exec, s[8:9]
	s_and_saveexec_b64 s[2:3], vcc
	s_cbranch_execz .LBB27_78
; %bb.77:
	v_lshlrev_b32_e32 v17, 6, v13
	ds_read2_b64 v[4:7], v17 offset0:112 offset1:168
	v_lshlrev_b32_e32 v20, 6, v12
	s_waitcnt lgkmcnt(0)
	v_add_f64 v[4:5], v[4:5], -v[6:7]
	v_div_scale_f64 v[6:7], s[8:9], v[0:1], v[0:1], v[4:5]
	v_rcp_f64_e32 v[8:9], v[6:7]
	v_div_scale_f64 v[10:11], vcc, v[4:5], v[0:1], v[4:5]
	v_fma_f64 v[18:19], -v[6:7], v[8:9], 1.0
	v_fmac_f64_e32 v[8:9], v[8:9], v[18:19]
	v_fma_f64 v[18:19], -v[6:7], v[8:9], 1.0
	v_fmac_f64_e32 v[8:9], v[8:9], v[18:19]
	v_mul_f64 v[18:19], v[10:11], v[8:9]
	v_fma_f64 v[6:7], -v[6:7], v[18:19], v[10:11]
	v_div_fmas_f64 v[6:7], v[6:7], v[8:9], v[18:19]
	v_div_fixup_f64 v[0:1], v[6:7], v[0:1], v[4:5]
	ds_write_b64 v17, v[0:1] offset:896
	s_waitcnt lgkmcnt(0)
	ds_read_b64 v[4:5], v20 offset:896
	ds_read_b64 v[6:7], v15
	s_waitcnt lgkmcnt(0)
	v_fmac_f64_e32 v[6:7], v[0:1], v[4:5]
	ds_write_b64 v15, v[6:7]
.LBB27_78:
	s_or_b64 exec, exec, s[2:3]
	v_cmp_eq_u32_e32 vcc, 1, v13
	s_waitcnt lgkmcnt(0)
	s_and_saveexec_b64 s[2:3], vcc
	s_cbranch_execz .LBB27_80
; %bb.79:
	v_mov_b32_e32 v10, 0
	ds_read2_b64 v[4:7], v10 offset0:121 offset1:177
	s_mov_b32 s8, 0
	s_brev_b32 s9, 8
	s_waitcnt lgkmcnt(0)
	v_add_f64 v[0:1], v[4:5], -v[6:7]
	v_xor_b32_e32 v4, 0x80000000, v1
	v_cmp_gt_f64_e32 vcc, 0, v[0:1]
	v_cndmask_b32_e32 v1, v1, v4, vcc
	v_cndmask_b32_e32 v0, v0, v0, vcc
	v_cmp_gt_f64_e32 vcc, s[8:9], v[0:1]
	v_cndmask_b32_e64 v4, 0, 1, vcc
	v_lshlrev_b32_e32 v4, 8, v4
	v_ldexp_f64 v[0:1], v[0:1], v4
	v_rsq_f64_e32 v[4:5], v[0:1]
	s_and_b64 s[8:9], vcc, exec
	s_cselect_b32 s8, 0xffffff80, 0
	v_mul_f64 v[6:7], v[0:1], v[4:5]
	v_mul_f64 v[4:5], v[4:5], 0.5
	v_fma_f64 v[8:9], -v[4:5], v[6:7], 0.5
	v_fmac_f64_e32 v[6:7], v[6:7], v[8:9]
	v_fmac_f64_e32 v[4:5], v[4:5], v[8:9]
	v_fma_f64 v[8:9], -v[6:7], v[6:7], v[0:1]
	v_fmac_f64_e32 v[6:7], v[8:9], v[4:5]
	v_fma_f64 v[8:9], -v[6:7], v[6:7], v[0:1]
	v_fmac_f64_e32 v[6:7], v[8:9], v[4:5]
	v_ldexp_f64 v[4:5], v[6:7], s8
	v_mov_b32_e32 v6, 0x260
	v_cmp_class_f64_e32 vcc, v[0:1], v6
	v_cndmask_b32_e32 v1, v5, v1, vcc
	v_cndmask_b32_e32 v0, v4, v0, vcc
	ds_write_b64 v10, v[0:1] offset:968
.LBB27_80:
	s_or_b64 exec, exec, s[2:3]
	v_mov_b32_e32 v0, 0
	s_waitcnt lgkmcnt(0)
	ds_read_b64 v[0:1], v0 offset:968
	v_mov_b32_e32 v4, 0x3ff00000
	s_waitcnt lgkmcnt(0)
	v_cmp_neq_f64_e32 vcc, 0, v[0:1]
	s_or_b64 s[2:3], vcc, s[0:1]
	v_cndmask_b32_e32 v1, v4, v1, vcc
	s_xor_b64 s[8:9], s[2:3], -1
	v_cndmask_b32_e32 v0, 0, v0, vcc
	s_and_saveexec_b64 s[2:3], s[8:9]
	s_cbranch_execz .LBB27_84
; %bb.81:
	v_mbcnt_lo_u32_b32 v0, exec_lo, 0
	v_mbcnt_hi_u32_b32 v0, exec_hi, v0
	v_cmp_eq_u32_e32 vcc, 0, v0
	s_and_saveexec_b64 s[8:9], vcc
	s_cbranch_execz .LBB27_83
; %bb.82:
	v_mov_b32_e32 v0, 0
	v_mov_b32_e32 v1, s18
	global_atomic_smin v0, v1, s[14:15]
.LBB27_83:
	s_or_b64 exec, exec, s[8:9]
	v_mov_b32_e32 v0, 0
	v_mov_b32_e32 v1, 0x3ff00000
.LBB27_84:
	s_or_b64 exec, exec, s[2:3]
	v_cmp_lt_u32_e32 vcc, 1, v13
	s_and_saveexec_b64 s[2:3], vcc
	s_cbranch_execz .LBB27_86
; %bb.85:
	v_lshlrev_b32_e32 v17, 6, v13
	ds_read2_b64 v[4:7], v17 offset0:113 offset1:169
	v_lshlrev_b32_e32 v20, 6, v12
	s_waitcnt lgkmcnt(0)
	v_add_f64 v[4:5], v[4:5], -v[6:7]
	v_div_scale_f64 v[6:7], s[8:9], v[0:1], v[0:1], v[4:5]
	v_rcp_f64_e32 v[8:9], v[6:7]
	v_div_scale_f64 v[10:11], vcc, v[4:5], v[0:1], v[4:5]
	v_fma_f64 v[18:19], -v[6:7], v[8:9], 1.0
	v_fmac_f64_e32 v[8:9], v[8:9], v[18:19]
	v_fma_f64 v[18:19], -v[6:7], v[8:9], 1.0
	v_fmac_f64_e32 v[8:9], v[8:9], v[18:19]
	v_mul_f64 v[18:19], v[10:11], v[8:9]
	v_fma_f64 v[6:7], -v[6:7], v[18:19], v[10:11]
	v_div_fmas_f64 v[6:7], v[6:7], v[8:9], v[18:19]
	v_div_fixup_f64 v[0:1], v[6:7], v[0:1], v[4:5]
	ds_write_b64 v17, v[0:1] offset:904
	s_waitcnt lgkmcnt(0)
	ds_read_b64 v[4:5], v20 offset:904
	ds_read_b64 v[6:7], v15
	s_waitcnt lgkmcnt(0)
	v_fmac_f64_e32 v[6:7], v[0:1], v[4:5]
	ds_write_b64 v15, v[6:7]
.LBB27_86:
	s_or_b64 exec, exec, s[2:3]
	v_cmp_eq_u32_e32 vcc, 2, v13
	s_waitcnt lgkmcnt(0)
	s_and_saveexec_b64 s[2:3], vcc
	s_cbranch_execz .LBB27_88
; %bb.87:
	v_mov_b32_e32 v10, 0
	ds_read2_b64 v[4:7], v10 offset0:130 offset1:186
	s_mov_b32 s8, 0
	s_brev_b32 s9, 8
	s_waitcnt lgkmcnt(0)
	v_add_f64 v[0:1], v[4:5], -v[6:7]
	v_xor_b32_e32 v4, 0x80000000, v1
	v_cmp_gt_f64_e32 vcc, 0, v[0:1]
	v_cndmask_b32_e32 v1, v1, v4, vcc
	v_cndmask_b32_e32 v0, v0, v0, vcc
	v_cmp_gt_f64_e32 vcc, s[8:9], v[0:1]
	v_cndmask_b32_e64 v4, 0, 1, vcc
	v_lshlrev_b32_e32 v4, 8, v4
	v_ldexp_f64 v[0:1], v[0:1], v4
	v_rsq_f64_e32 v[4:5], v[0:1]
	s_and_b64 s[8:9], vcc, exec
	s_cselect_b32 s8, 0xffffff80, 0
	v_mul_f64 v[6:7], v[0:1], v[4:5]
	v_mul_f64 v[4:5], v[4:5], 0.5
	v_fma_f64 v[8:9], -v[4:5], v[6:7], 0.5
	v_fmac_f64_e32 v[6:7], v[6:7], v[8:9]
	v_fmac_f64_e32 v[4:5], v[4:5], v[8:9]
	v_fma_f64 v[8:9], -v[6:7], v[6:7], v[0:1]
	v_fmac_f64_e32 v[6:7], v[8:9], v[4:5]
	v_fma_f64 v[8:9], -v[6:7], v[6:7], v[0:1]
	v_fmac_f64_e32 v[6:7], v[8:9], v[4:5]
	v_ldexp_f64 v[4:5], v[6:7], s8
	v_mov_b32_e32 v6, 0x260
	v_cmp_class_f64_e32 vcc, v[0:1], v6
	v_cndmask_b32_e32 v1, v5, v1, vcc
	v_cndmask_b32_e32 v0, v4, v0, vcc
	ds_write_b64 v10, v[0:1] offset:1040
.LBB27_88:
	s_or_b64 exec, exec, s[2:3]
	v_mov_b32_e32 v0, 0
	s_waitcnt lgkmcnt(0)
	ds_read_b64 v[0:1], v0 offset:1040
	v_mov_b32_e32 v4, 0x3ff00000
	s_waitcnt lgkmcnt(0)
	v_cmp_neq_f64_e32 vcc, 0, v[0:1]
	s_or_b64 s[2:3], vcc, s[0:1]
	v_cndmask_b32_e32 v1, v4, v1, vcc
	s_xor_b64 s[8:9], s[2:3], -1
	v_cndmask_b32_e32 v0, 0, v0, vcc
	s_and_saveexec_b64 s[2:3], s[8:9]
	s_cbranch_execz .LBB27_92
; %bb.89:
	v_mbcnt_lo_u32_b32 v0, exec_lo, 0
	v_mbcnt_hi_u32_b32 v0, exec_hi, v0
	v_cmp_eq_u32_e32 vcc, 0, v0
	s_and_saveexec_b64 s[8:9], vcc
	s_cbranch_execz .LBB27_91
; %bb.90:
	v_mov_b32_e32 v0, 0
	v_mov_b32_e32 v1, s18
	global_atomic_smin v0, v1, s[14:15]
.LBB27_91:
	s_or_b64 exec, exec, s[8:9]
	v_mov_b32_e32 v0, 0
	v_mov_b32_e32 v1, 0x3ff00000
.LBB27_92:
	s_or_b64 exec, exec, s[2:3]
	v_cmp_lt_u32_e32 vcc, 2, v13
	s_and_saveexec_b64 s[2:3], vcc
	s_cbranch_execz .LBB27_94
; %bb.93:
	v_lshlrev_b32_e32 v17, 6, v13
	ds_read2_b64 v[4:7], v17 offset0:114 offset1:170
	v_lshlrev_b32_e32 v20, 6, v12
	s_waitcnt lgkmcnt(0)
	v_add_f64 v[4:5], v[4:5], -v[6:7]
	v_div_scale_f64 v[6:7], s[8:9], v[0:1], v[0:1], v[4:5]
	v_rcp_f64_e32 v[8:9], v[6:7]
	v_div_scale_f64 v[10:11], vcc, v[4:5], v[0:1], v[4:5]
	v_fma_f64 v[18:19], -v[6:7], v[8:9], 1.0
	v_fmac_f64_e32 v[8:9], v[8:9], v[18:19]
	v_fma_f64 v[18:19], -v[6:7], v[8:9], 1.0
	v_fmac_f64_e32 v[8:9], v[8:9], v[18:19]
	v_mul_f64 v[18:19], v[10:11], v[8:9]
	v_fma_f64 v[6:7], -v[6:7], v[18:19], v[10:11]
	v_div_fmas_f64 v[6:7], v[6:7], v[8:9], v[18:19]
	v_div_fixup_f64 v[0:1], v[6:7], v[0:1], v[4:5]
	ds_write_b64 v17, v[0:1] offset:912
	s_waitcnt lgkmcnt(0)
	ds_read_b64 v[4:5], v20 offset:912
	ds_read_b64 v[6:7], v15
	s_waitcnt lgkmcnt(0)
	v_fmac_f64_e32 v[6:7], v[0:1], v[4:5]
	ds_write_b64 v15, v[6:7]
.LBB27_94:
	s_or_b64 exec, exec, s[2:3]
	v_cmp_eq_u32_e32 vcc, 3, v13
	s_waitcnt lgkmcnt(0)
	s_and_saveexec_b64 s[2:3], vcc
	s_cbranch_execz .LBB27_96
; %bb.95:
	v_mov_b32_e32 v10, 0
	ds_read2_b64 v[4:7], v10 offset0:139 offset1:195
	s_mov_b32 s8, 0
	s_brev_b32 s9, 8
	s_waitcnt lgkmcnt(0)
	v_add_f64 v[0:1], v[4:5], -v[6:7]
	v_xor_b32_e32 v4, 0x80000000, v1
	v_cmp_gt_f64_e32 vcc, 0, v[0:1]
	v_cndmask_b32_e32 v1, v1, v4, vcc
	v_cndmask_b32_e32 v0, v0, v0, vcc
	v_cmp_gt_f64_e32 vcc, s[8:9], v[0:1]
	v_cndmask_b32_e64 v4, 0, 1, vcc
	v_lshlrev_b32_e32 v4, 8, v4
	v_ldexp_f64 v[0:1], v[0:1], v4
	v_rsq_f64_e32 v[4:5], v[0:1]
	s_and_b64 s[8:9], vcc, exec
	s_cselect_b32 s8, 0xffffff80, 0
	v_mul_f64 v[6:7], v[0:1], v[4:5]
	v_mul_f64 v[4:5], v[4:5], 0.5
	v_fma_f64 v[8:9], -v[4:5], v[6:7], 0.5
	v_fmac_f64_e32 v[6:7], v[6:7], v[8:9]
	v_fmac_f64_e32 v[4:5], v[4:5], v[8:9]
	v_fma_f64 v[8:9], -v[6:7], v[6:7], v[0:1]
	v_fmac_f64_e32 v[6:7], v[8:9], v[4:5]
	v_fma_f64 v[8:9], -v[6:7], v[6:7], v[0:1]
	v_fmac_f64_e32 v[6:7], v[8:9], v[4:5]
	v_ldexp_f64 v[4:5], v[6:7], s8
	v_mov_b32_e32 v6, 0x260
	v_cmp_class_f64_e32 vcc, v[0:1], v6
	v_cndmask_b32_e32 v1, v5, v1, vcc
	v_cndmask_b32_e32 v0, v4, v0, vcc
	ds_write_b64 v10, v[0:1] offset:1112
.LBB27_96:
	s_or_b64 exec, exec, s[2:3]
	v_mov_b32_e32 v0, 0
	s_waitcnt lgkmcnt(0)
	ds_read_b64 v[0:1], v0 offset:1112
	v_mov_b32_e32 v4, 0x3ff00000
	s_waitcnt lgkmcnt(0)
	v_cmp_neq_f64_e32 vcc, 0, v[0:1]
	s_or_b64 s[2:3], vcc, s[0:1]
	v_cndmask_b32_e32 v1, v4, v1, vcc
	s_xor_b64 s[8:9], s[2:3], -1
	v_cndmask_b32_e32 v0, 0, v0, vcc
	s_and_saveexec_b64 s[2:3], s[8:9]
	s_cbranch_execz .LBB27_100
; %bb.97:
	v_mbcnt_lo_u32_b32 v0, exec_lo, 0
	v_mbcnt_hi_u32_b32 v0, exec_hi, v0
	v_cmp_eq_u32_e32 vcc, 0, v0
	s_and_saveexec_b64 s[8:9], vcc
	s_cbranch_execz .LBB27_99
; %bb.98:
	v_mov_b32_e32 v0, 0
	v_mov_b32_e32 v1, s18
	global_atomic_smin v0, v1, s[14:15]
.LBB27_99:
	s_or_b64 exec, exec, s[8:9]
	v_mov_b32_e32 v0, 0
	v_mov_b32_e32 v1, 0x3ff00000
.LBB27_100:
	s_or_b64 exec, exec, s[2:3]
	v_cmp_lt_u32_e32 vcc, 3, v13
	s_and_saveexec_b64 s[2:3], vcc
	s_cbranch_execz .LBB27_102
; %bb.101:
	v_lshlrev_b32_e32 v17, 6, v13
	ds_read2_b64 v[4:7], v17 offset0:115 offset1:171
	v_lshlrev_b32_e32 v20, 6, v12
	s_waitcnt lgkmcnt(0)
	v_add_f64 v[4:5], v[4:5], -v[6:7]
	v_div_scale_f64 v[6:7], s[8:9], v[0:1], v[0:1], v[4:5]
	v_rcp_f64_e32 v[8:9], v[6:7]
	v_div_scale_f64 v[10:11], vcc, v[4:5], v[0:1], v[4:5]
	v_fma_f64 v[18:19], -v[6:7], v[8:9], 1.0
	v_fmac_f64_e32 v[8:9], v[8:9], v[18:19]
	v_fma_f64 v[18:19], -v[6:7], v[8:9], 1.0
	v_fmac_f64_e32 v[8:9], v[8:9], v[18:19]
	v_mul_f64 v[18:19], v[10:11], v[8:9]
	v_fma_f64 v[6:7], -v[6:7], v[18:19], v[10:11]
	v_div_fmas_f64 v[6:7], v[6:7], v[8:9], v[18:19]
	v_div_fixup_f64 v[0:1], v[6:7], v[0:1], v[4:5]
	ds_write_b64 v17, v[0:1] offset:920
	s_waitcnt lgkmcnt(0)
	ds_read_b64 v[4:5], v20 offset:920
	ds_read_b64 v[6:7], v15
	s_waitcnt lgkmcnt(0)
	v_fmac_f64_e32 v[6:7], v[0:1], v[4:5]
	ds_write_b64 v15, v[6:7]
.LBB27_102:
	s_or_b64 exec, exec, s[2:3]
	v_cmp_eq_u32_e32 vcc, 4, v13
	s_waitcnt lgkmcnt(0)
	s_and_saveexec_b64 s[2:3], vcc
	s_cbranch_execz .LBB27_104
; %bb.103:
	v_mov_b32_e32 v10, 0
	ds_read2_b64 v[4:7], v10 offset0:148 offset1:204
	s_mov_b32 s8, 0
	s_brev_b32 s9, 8
	s_waitcnt lgkmcnt(0)
	v_add_f64 v[0:1], v[4:5], -v[6:7]
	v_xor_b32_e32 v4, 0x80000000, v1
	v_cmp_gt_f64_e32 vcc, 0, v[0:1]
	v_cndmask_b32_e32 v1, v1, v4, vcc
	v_cndmask_b32_e32 v0, v0, v0, vcc
	v_cmp_gt_f64_e32 vcc, s[8:9], v[0:1]
	v_cndmask_b32_e64 v4, 0, 1, vcc
	v_lshlrev_b32_e32 v4, 8, v4
	v_ldexp_f64 v[0:1], v[0:1], v4
	v_rsq_f64_e32 v[4:5], v[0:1]
	s_and_b64 s[8:9], vcc, exec
	s_cselect_b32 s8, 0xffffff80, 0
	v_mul_f64 v[6:7], v[0:1], v[4:5]
	v_mul_f64 v[4:5], v[4:5], 0.5
	v_fma_f64 v[8:9], -v[4:5], v[6:7], 0.5
	v_fmac_f64_e32 v[6:7], v[6:7], v[8:9]
	v_fmac_f64_e32 v[4:5], v[4:5], v[8:9]
	v_fma_f64 v[8:9], -v[6:7], v[6:7], v[0:1]
	v_fmac_f64_e32 v[6:7], v[8:9], v[4:5]
	v_fma_f64 v[8:9], -v[6:7], v[6:7], v[0:1]
	v_fmac_f64_e32 v[6:7], v[8:9], v[4:5]
	v_ldexp_f64 v[4:5], v[6:7], s8
	v_mov_b32_e32 v6, 0x260
	v_cmp_class_f64_e32 vcc, v[0:1], v6
	v_cndmask_b32_e32 v1, v5, v1, vcc
	v_cndmask_b32_e32 v0, v4, v0, vcc
	ds_write_b64 v10, v[0:1] offset:1184
.LBB27_104:
	s_or_b64 exec, exec, s[2:3]
	v_mov_b32_e32 v0, 0
	s_waitcnt lgkmcnt(0)
	ds_read_b64 v[0:1], v0 offset:1184
	v_mov_b32_e32 v4, 0x3ff00000
	s_waitcnt lgkmcnt(0)
	v_cmp_neq_f64_e32 vcc, 0, v[0:1]
	s_or_b64 s[2:3], vcc, s[0:1]
	v_cndmask_b32_e32 v1, v4, v1, vcc
	s_xor_b64 s[8:9], s[2:3], -1
	v_cndmask_b32_e32 v0, 0, v0, vcc
	s_and_saveexec_b64 s[2:3], s[8:9]
	s_cbranch_execz .LBB27_108
; %bb.105:
	v_mbcnt_lo_u32_b32 v0, exec_lo, 0
	v_mbcnt_hi_u32_b32 v0, exec_hi, v0
	v_cmp_eq_u32_e32 vcc, 0, v0
	s_and_saveexec_b64 s[8:9], vcc
	s_cbranch_execz .LBB27_107
; %bb.106:
	v_mov_b32_e32 v0, 0
	v_mov_b32_e32 v1, s18
	global_atomic_smin v0, v1, s[14:15]
.LBB27_107:
	s_or_b64 exec, exec, s[8:9]
	v_mov_b32_e32 v0, 0
	v_mov_b32_e32 v1, 0x3ff00000
.LBB27_108:
	s_or_b64 exec, exec, s[2:3]
	v_cmp_lt_u32_e32 vcc, 4, v13
	s_and_saveexec_b64 s[2:3], vcc
	s_cbranch_execz .LBB27_110
; %bb.109:
	v_lshlrev_b32_e32 v17, 6, v13
	ds_read2_b64 v[4:7], v17 offset0:116 offset1:172
	v_lshlrev_b32_e32 v20, 6, v12
	s_waitcnt lgkmcnt(0)
	v_add_f64 v[4:5], v[4:5], -v[6:7]
	v_div_scale_f64 v[6:7], s[8:9], v[0:1], v[0:1], v[4:5]
	v_rcp_f64_e32 v[8:9], v[6:7]
	v_div_scale_f64 v[10:11], vcc, v[4:5], v[0:1], v[4:5]
	v_fma_f64 v[18:19], -v[6:7], v[8:9], 1.0
	v_fmac_f64_e32 v[8:9], v[8:9], v[18:19]
	v_fma_f64 v[18:19], -v[6:7], v[8:9], 1.0
	v_fmac_f64_e32 v[8:9], v[8:9], v[18:19]
	v_mul_f64 v[18:19], v[10:11], v[8:9]
	v_fma_f64 v[6:7], -v[6:7], v[18:19], v[10:11]
	v_div_fmas_f64 v[6:7], v[6:7], v[8:9], v[18:19]
	v_div_fixup_f64 v[0:1], v[6:7], v[0:1], v[4:5]
	ds_write_b64 v17, v[0:1] offset:928
	s_waitcnt lgkmcnt(0)
	ds_read_b64 v[4:5], v20 offset:928
	ds_read_b64 v[6:7], v15
	s_waitcnt lgkmcnt(0)
	v_fmac_f64_e32 v[6:7], v[0:1], v[4:5]
	ds_write_b64 v15, v[6:7]
.LBB27_110:
	s_or_b64 exec, exec, s[2:3]
	v_cmp_eq_u32_e32 vcc, 5, v13
	s_waitcnt lgkmcnt(0)
	s_and_saveexec_b64 s[2:3], vcc
	s_cbranch_execz .LBB27_112
; %bb.111:
	v_mov_b32_e32 v10, 0
	ds_read2_b64 v[4:7], v10 offset0:157 offset1:213
	s_mov_b32 s8, 0
	s_brev_b32 s9, 8
	s_waitcnt lgkmcnt(0)
	v_add_f64 v[0:1], v[4:5], -v[6:7]
	v_xor_b32_e32 v4, 0x80000000, v1
	v_cmp_gt_f64_e32 vcc, 0, v[0:1]
	v_cndmask_b32_e32 v1, v1, v4, vcc
	v_cndmask_b32_e32 v0, v0, v0, vcc
	v_cmp_gt_f64_e32 vcc, s[8:9], v[0:1]
	v_cndmask_b32_e64 v4, 0, 1, vcc
	v_lshlrev_b32_e32 v4, 8, v4
	v_ldexp_f64 v[0:1], v[0:1], v4
	v_rsq_f64_e32 v[4:5], v[0:1]
	s_and_b64 s[8:9], vcc, exec
	s_cselect_b32 s8, 0xffffff80, 0
	v_mul_f64 v[6:7], v[0:1], v[4:5]
	v_mul_f64 v[4:5], v[4:5], 0.5
	v_fma_f64 v[8:9], -v[4:5], v[6:7], 0.5
	v_fmac_f64_e32 v[6:7], v[6:7], v[8:9]
	v_fmac_f64_e32 v[4:5], v[4:5], v[8:9]
	v_fma_f64 v[8:9], -v[6:7], v[6:7], v[0:1]
	v_fmac_f64_e32 v[6:7], v[8:9], v[4:5]
	v_fma_f64 v[8:9], -v[6:7], v[6:7], v[0:1]
	v_fmac_f64_e32 v[6:7], v[8:9], v[4:5]
	v_ldexp_f64 v[4:5], v[6:7], s8
	v_mov_b32_e32 v6, 0x260
	v_cmp_class_f64_e32 vcc, v[0:1], v6
	v_cndmask_b32_e32 v1, v5, v1, vcc
	v_cndmask_b32_e32 v0, v4, v0, vcc
	ds_write_b64 v10, v[0:1] offset:1256
.LBB27_112:
	s_or_b64 exec, exec, s[2:3]
	v_mov_b32_e32 v0, 0
	s_waitcnt lgkmcnt(0)
	ds_read_b64 v[0:1], v0 offset:1256
	v_mov_b32_e32 v4, 0x3ff00000
	s_waitcnt lgkmcnt(0)
	v_cmp_neq_f64_e32 vcc, 0, v[0:1]
	s_or_b64 s[2:3], vcc, s[0:1]
	v_cndmask_b32_e32 v1, v4, v1, vcc
	s_xor_b64 s[8:9], s[2:3], -1
	v_cndmask_b32_e32 v0, 0, v0, vcc
	s_and_saveexec_b64 s[2:3], s[8:9]
	s_cbranch_execz .LBB27_116
; %bb.113:
	v_mbcnt_lo_u32_b32 v0, exec_lo, 0
	v_mbcnt_hi_u32_b32 v0, exec_hi, v0
	v_cmp_eq_u32_e32 vcc, 0, v0
	s_and_saveexec_b64 s[8:9], vcc
	s_cbranch_execz .LBB27_115
; %bb.114:
	v_mov_b32_e32 v0, 0
	v_mov_b32_e32 v1, s18
	global_atomic_smin v0, v1, s[14:15]
.LBB27_115:
	s_or_b64 exec, exec, s[8:9]
	v_mov_b32_e32 v0, 0
	v_mov_b32_e32 v1, 0x3ff00000
.LBB27_116:
	s_or_b64 exec, exec, s[2:3]
	v_cmp_lt_u32_e32 vcc, 5, v13
	s_and_saveexec_b64 s[2:3], vcc
	s_cbranch_execz .LBB27_118
; %bb.117:
	v_lshlrev_b32_e32 v17, 6, v13
	ds_read2_b64 v[4:7], v17 offset0:117 offset1:173
	v_lshlrev_b32_e32 v20, 6, v12
	s_waitcnt lgkmcnt(0)
	v_add_f64 v[4:5], v[4:5], -v[6:7]
	v_div_scale_f64 v[6:7], s[8:9], v[0:1], v[0:1], v[4:5]
	v_rcp_f64_e32 v[8:9], v[6:7]
	v_div_scale_f64 v[10:11], vcc, v[4:5], v[0:1], v[4:5]
	v_fma_f64 v[18:19], -v[6:7], v[8:9], 1.0
	v_fmac_f64_e32 v[8:9], v[8:9], v[18:19]
	v_fma_f64 v[18:19], -v[6:7], v[8:9], 1.0
	v_fmac_f64_e32 v[8:9], v[8:9], v[18:19]
	v_mul_f64 v[18:19], v[10:11], v[8:9]
	v_fma_f64 v[6:7], -v[6:7], v[18:19], v[10:11]
	v_div_fmas_f64 v[6:7], v[6:7], v[8:9], v[18:19]
	v_div_fixup_f64 v[0:1], v[6:7], v[0:1], v[4:5]
	ds_write_b64 v17, v[0:1] offset:936
	s_waitcnt lgkmcnt(0)
	ds_read_b64 v[4:5], v20 offset:936
	ds_read_b64 v[6:7], v15
	s_waitcnt lgkmcnt(0)
	v_fmac_f64_e32 v[6:7], v[0:1], v[4:5]
	ds_write_b64 v15, v[6:7]
.LBB27_118:
	s_or_b64 exec, exec, s[2:3]
	v_cmp_eq_u32_e32 vcc, 6, v13
	s_waitcnt lgkmcnt(0)
	s_and_saveexec_b64 s[2:3], vcc
	s_cbranch_execz .LBB27_120
; %bb.119:
	v_mov_b32_e32 v10, 0
	ds_read2_b64 v[4:7], v10 offset0:166 offset1:222
	s_mov_b32 s8, 0
	s_brev_b32 s9, 8
	s_waitcnt lgkmcnt(0)
	v_add_f64 v[0:1], v[4:5], -v[6:7]
	v_xor_b32_e32 v4, 0x80000000, v1
	v_cmp_gt_f64_e32 vcc, 0, v[0:1]
	v_cndmask_b32_e32 v1, v1, v4, vcc
	v_cndmask_b32_e32 v0, v0, v0, vcc
	v_cmp_gt_f64_e32 vcc, s[8:9], v[0:1]
	v_cndmask_b32_e64 v4, 0, 1, vcc
	v_lshlrev_b32_e32 v4, 8, v4
	v_ldexp_f64 v[0:1], v[0:1], v4
	v_rsq_f64_e32 v[4:5], v[0:1]
	s_and_b64 s[8:9], vcc, exec
	s_cselect_b32 s8, 0xffffff80, 0
	v_mul_f64 v[6:7], v[0:1], v[4:5]
	v_mul_f64 v[4:5], v[4:5], 0.5
	v_fma_f64 v[8:9], -v[4:5], v[6:7], 0.5
	v_fmac_f64_e32 v[6:7], v[6:7], v[8:9]
	v_fmac_f64_e32 v[4:5], v[4:5], v[8:9]
	v_fma_f64 v[8:9], -v[6:7], v[6:7], v[0:1]
	v_fmac_f64_e32 v[6:7], v[8:9], v[4:5]
	v_fma_f64 v[8:9], -v[6:7], v[6:7], v[0:1]
	v_fmac_f64_e32 v[6:7], v[8:9], v[4:5]
	v_ldexp_f64 v[4:5], v[6:7], s8
	v_mov_b32_e32 v6, 0x260
	v_cmp_class_f64_e32 vcc, v[0:1], v6
	v_cndmask_b32_e32 v1, v5, v1, vcc
	v_cndmask_b32_e32 v0, v4, v0, vcc
	ds_write_b64 v10, v[0:1] offset:1328
.LBB27_120:
	s_or_b64 exec, exec, s[2:3]
	v_mov_b32_e32 v0, 0
	s_waitcnt lgkmcnt(0)
	ds_read_b64 v[0:1], v0 offset:1328
	v_mov_b32_e32 v4, 0x3ff00000
	s_waitcnt lgkmcnt(0)
	v_cmp_neq_f64_e32 vcc, 0, v[0:1]
	s_or_b64 s[0:1], vcc, s[0:1]
	v_cndmask_b32_e32 v1, v4, v1, vcc
	s_xor_b64 s[2:3], s[0:1], -1
	v_cndmask_b32_e32 v0, 0, v0, vcc
	s_and_saveexec_b64 s[0:1], s[2:3]
	s_cbranch_execz .LBB27_124
; %bb.121:
	v_mbcnt_lo_u32_b32 v0, exec_lo, 0
	v_mbcnt_hi_u32_b32 v0, exec_hi, v0
	v_cmp_eq_u32_e32 vcc, 0, v0
	s_and_saveexec_b64 s[2:3], vcc
	s_cbranch_execz .LBB27_123
; %bb.122:
	v_mov_b32_e32 v0, 0
	v_mov_b32_e32 v1, s18
	global_atomic_smin v0, v1, s[14:15]
.LBB27_123:
	s_or_b64 exec, exec, s[2:3]
	v_mov_b32_e32 v0, 0
	v_mov_b32_e32 v1, 0x3ff00000
.LBB27_124:
	s_or_b64 exec, exec, s[0:1]
	v_add_u32_e32 v4, 0x380, v16
	v_cmp_lt_u32_e32 vcc, 6, v13
	s_and_saveexec_b64 s[0:1], vcc
	s_cbranch_execz .LBB27_126
; %bb.125:
	v_lshlrev_b32_e32 v5, 6, v13
	ds_read2_b64 v[6:9], v5 offset0:118 offset1:174
	v_lshlrev_b32_e32 v20, 6, v12
	s_waitcnt lgkmcnt(0)
	v_add_f64 v[6:7], v[6:7], -v[8:9]
	v_div_scale_f64 v[8:9], s[2:3], v[0:1], v[0:1], v[6:7]
	v_rcp_f64_e32 v[10:11], v[8:9]
	v_div_scale_f64 v[16:17], vcc, v[6:7], v[0:1], v[6:7]
	v_fma_f64 v[18:19], -v[8:9], v[10:11], 1.0
	v_fmac_f64_e32 v[10:11], v[10:11], v[18:19]
	v_fma_f64 v[18:19], -v[8:9], v[10:11], 1.0
	v_fmac_f64_e32 v[10:11], v[10:11], v[18:19]
	v_mul_f64 v[18:19], v[16:17], v[10:11]
	v_fma_f64 v[8:9], -v[8:9], v[18:19], v[16:17]
	v_div_fmas_f64 v[8:9], v[8:9], v[10:11], v[18:19]
	v_div_fixup_f64 v[0:1], v[8:9], v[0:1], v[6:7]
	ds_write_b64 v5, v[0:1] offset:944
	s_waitcnt lgkmcnt(0)
	ds_read_b64 v[6:7], v20 offset:944
	ds_read_b64 v[8:9], v15
	s_waitcnt lgkmcnt(0)
	v_fmac_f64_e32 v[8:9], v[0:1], v[6:7]
	ds_write_b64 v15, v[8:9]
.LBB27_126:
	s_or_b64 exec, exec, s[0:1]
	s_waitcnt lgkmcnt(0)
	ds_read_b64 v[0:1], v4
	s_andn2_b64 vcc, exec, s[4:5]
	s_cbranch_vccnz .LBB27_128
; %bb.127:
	v_mov_b32_e32 v14, v3
.LBB27_128:
	v_add_u32_e32 v4, s30, v14
	v_ashrrev_i32_e32 v5, 31, v4
	v_lshlrev_b64 v[4:5], 3, v[4:5]
	v_mov_b32_e32 v3, s21
	v_add_co_u32_e32 v4, vcc, s20, v4
	v_addc_co_u32_e32 v5, vcc, v3, v5, vcc
	s_waitcnt lgkmcnt(0)
	global_store_dwordx2 v[4:5], v[0:1], off
	v_cmp_eq_u32_e64 s[0:1], 0, v2
.LBB27_129:
	s_and_saveexec_b64 s[2:3], s[0:1]
	s_cbranch_execnz .LBB27_137
.LBB27_130:
	s_endpgm
.LBB27_131:
	s_mov_b64 s[0:1], 0
	s_cbranch_execz .LBB27_129
; %bb.132:
	v_or_b32_e32 v0, v12, v13
	v_cmp_eq_u32_e32 vcc, 0, v0
	s_and_saveexec_b64 s[2:3], vcc
	s_cbranch_execz .LBB27_136
; %bb.133:
	v_mbcnt_lo_u32_b32 v0, exec_lo, 0
	v_mbcnt_hi_u32_b32 v0, exec_hi, v0
	v_cmp_eq_u32_e32 vcc, 0, v0
	s_and_saveexec_b64 s[4:5], vcc
	s_cbranch_execz .LBB27_135
; %bb.134:
	s_add_i32 s8, s12, s13
	v_mov_b32_e32 v0, 0
	v_mov_b32_e32 v1, s8
	global_atomic_smin v0, v1, s[14:15]
.LBB27_135:
	s_or_b64 exec, exec, s[4:5]
	s_or_b64 s[0:1], s[0:1], exec
.LBB27_136:
	s_or_b64 exec, exec, s[2:3]
	s_and_saveexec_b64 s[2:3], s[0:1]
	s_cbranch_execz .LBB27_130
.LBB27_137:
	s_add_u32 s0, s10, s6
	s_addc_u32 s1, s11, s7
	v_mov_b32_e32 v0, 0
	v_mov_b32_e32 v1, 1
	s_waitcnt vmcnt(0)
	global_store_dword v0, v1, s[0:1]
	s_endpgm
	.section	.rodata,"a",@progbits
	.p2align	6, 0x0
	.amdhsa_kernel _ZN9rocsparseL26bsric0_2_8_unrolled_kernelILi49ELi32ELi7EdEEv20rocsparse_direction_iiPKiS3_PT2_S3_PiS3_S6_21rocsparse_index_base_
		.amdhsa_group_segment_fixed_size 2176
		.amdhsa_private_segment_fixed_size 0
		.amdhsa_kernarg_size 76
		.amdhsa_user_sgpr_count 6
		.amdhsa_user_sgpr_private_segment_buffer 1
		.amdhsa_user_sgpr_dispatch_ptr 0
		.amdhsa_user_sgpr_queue_ptr 0
		.amdhsa_user_sgpr_kernarg_segment_ptr 1
		.amdhsa_user_sgpr_dispatch_id 0
		.amdhsa_user_sgpr_flat_scratch_init 0
		.amdhsa_user_sgpr_kernarg_preload_length 0
		.amdhsa_user_sgpr_kernarg_preload_offset 0
		.amdhsa_user_sgpr_private_segment_size 0
		.amdhsa_uses_dynamic_stack 0
		.amdhsa_system_sgpr_private_segment_wavefront_offset 0
		.amdhsa_system_sgpr_workgroup_id_x 1
		.amdhsa_system_sgpr_workgroup_id_y 0
		.amdhsa_system_sgpr_workgroup_id_z 0
		.amdhsa_system_sgpr_workgroup_info 0
		.amdhsa_system_vgpr_workitem_id 1
		.amdhsa_next_free_vgpr 72
		.amdhsa_next_free_sgpr 40
		.amdhsa_accum_offset 72
		.amdhsa_reserve_vcc 1
		.amdhsa_reserve_flat_scratch 0
		.amdhsa_float_round_mode_32 0
		.amdhsa_float_round_mode_16_64 0
		.amdhsa_float_denorm_mode_32 3
		.amdhsa_float_denorm_mode_16_64 3
		.amdhsa_dx10_clamp 1
		.amdhsa_ieee_mode 1
		.amdhsa_fp16_overflow 0
		.amdhsa_tg_split 0
		.amdhsa_exception_fp_ieee_invalid_op 0
		.amdhsa_exception_fp_denorm_src 0
		.amdhsa_exception_fp_ieee_div_zero 0
		.amdhsa_exception_fp_ieee_overflow 0
		.amdhsa_exception_fp_ieee_underflow 0
		.amdhsa_exception_fp_ieee_inexact 0
		.amdhsa_exception_int_div_zero 0
	.end_amdhsa_kernel
	.section	.text._ZN9rocsparseL26bsric0_2_8_unrolled_kernelILi49ELi32ELi7EdEEv20rocsparse_direction_iiPKiS3_PT2_S3_PiS3_S6_21rocsparse_index_base_,"axG",@progbits,_ZN9rocsparseL26bsric0_2_8_unrolled_kernelILi49ELi32ELi7EdEEv20rocsparse_direction_iiPKiS3_PT2_S3_PiS3_S6_21rocsparse_index_base_,comdat
.Lfunc_end27:
	.size	_ZN9rocsparseL26bsric0_2_8_unrolled_kernelILi49ELi32ELi7EdEEv20rocsparse_direction_iiPKiS3_PT2_S3_PiS3_S6_21rocsparse_index_base_, .Lfunc_end27-_ZN9rocsparseL26bsric0_2_8_unrolled_kernelILi49ELi32ELi7EdEEv20rocsparse_direction_iiPKiS3_PT2_S3_PiS3_S6_21rocsparse_index_base_
                                        ; -- End function
	.section	.AMDGPU.csdata,"",@progbits
; Kernel info:
; codeLenInByte = 9044
; NumSgprs: 44
; NumVgprs: 72
; NumAgprs: 0
; TotalNumVgprs: 72
; ScratchSize: 0
; MemoryBound: 1
; FloatMode: 240
; IeeeMode: 1
; LDSByteSize: 2176 bytes/workgroup (compile time only)
; SGPRBlocks: 5
; VGPRBlocks: 8
; NumSGPRsForWavesPerEU: 44
; NumVGPRsForWavesPerEU: 72
; AccumOffset: 72
; Occupancy: 7
; WaveLimiterHint : 1
; COMPUTE_PGM_RSRC2:SCRATCH_EN: 0
; COMPUTE_PGM_RSRC2:USER_SGPR: 6
; COMPUTE_PGM_RSRC2:TRAP_HANDLER: 0
; COMPUTE_PGM_RSRC2:TGID_X_EN: 1
; COMPUTE_PGM_RSRC2:TGID_Y_EN: 0
; COMPUTE_PGM_RSRC2:TGID_Z_EN: 0
; COMPUTE_PGM_RSRC2:TIDIG_COMP_CNT: 1
; COMPUTE_PGM_RSRC3_GFX90A:ACCUM_OFFSET: 17
; COMPUTE_PGM_RSRC3_GFX90A:TG_SPLIT: 0
	.section	.text._ZN9rocsparseL26bsric0_2_8_unrolled_kernelILi64ELi32ELi8EdEEv20rocsparse_direction_iiPKiS3_PT2_S3_PiS3_S6_21rocsparse_index_base_,"axG",@progbits,_ZN9rocsparseL26bsric0_2_8_unrolled_kernelILi64ELi32ELi8EdEEv20rocsparse_direction_iiPKiS3_PT2_S3_PiS3_S6_21rocsparse_index_base_,comdat
	.globl	_ZN9rocsparseL26bsric0_2_8_unrolled_kernelILi64ELi32ELi8EdEEv20rocsparse_direction_iiPKiS3_PT2_S3_PiS3_S6_21rocsparse_index_base_ ; -- Begin function _ZN9rocsparseL26bsric0_2_8_unrolled_kernelILi64ELi32ELi8EdEEv20rocsparse_direction_iiPKiS3_PT2_S3_PiS3_S6_21rocsparse_index_base_
	.p2align	8
	.type	_ZN9rocsparseL26bsric0_2_8_unrolled_kernelILi64ELi32ELi8EdEEv20rocsparse_direction_iiPKiS3_PT2_S3_PiS3_S6_21rocsparse_index_base_,@function
_ZN9rocsparseL26bsric0_2_8_unrolled_kernelILi64ELi32ELi8EdEEv20rocsparse_direction_iiPKiS3_PT2_S3_PiS3_S6_21rocsparse_index_base_: ; @_ZN9rocsparseL26bsric0_2_8_unrolled_kernelILi64ELi32ELi8EdEEv20rocsparse_direction_iiPKiS3_PT2_S3_PiS3_S6_21rocsparse_index_base_
; %bb.0:
	s_load_dwordx8 s[8:15], s[4:5], 0x28
	s_mov_b32 s7, 0
	s_lshl_b64 s[0:1], s[6:7], 2
	v_and_b32_e32 v12, 0x3ff, v0
	v_bfe_u32 v13, v0, 10, 10
	s_waitcnt lgkmcnt(0)
	s_add_u32 s0, s12, s0
	s_addc_u32 s1, s13, s1
	s_load_dword s12, s[0:1], 0x0
	s_waitcnt lgkmcnt(0)
	s_ashr_i32 s13, s12, 31
	s_lshl_b64 s[6:7], s[12:13], 2
	s_add_u32 s0, s8, s6
	s_addc_u32 s1, s9, s7
	s_load_dword s30, s[0:1], 0x0
	s_load_dword s13, s[4:5], 0x48
	s_waitcnt lgkmcnt(0)
	s_cmp_lg_u32 s30, -1
	s_cbranch_scc0 .LBB28_16
; %bb.1:
	s_load_dwordx4 s[16:19], s[4:5], 0x10
	v_lshlrev_b32_e32 v15, 3, v13
	v_add_u32_e32 v14, v15, v12
	s_waitcnt lgkmcnt(0)
	s_add_u32 s0, s16, s6
	s_addc_u32 s1, s17, s7
	s_load_dword s24, s[0:1], 0x0
	s_waitcnt lgkmcnt(0)
	s_sub_i32 s31, s24, s13
	v_add_u32_e32 v0, s31, v14
	v_cmp_ge_i32_e32 vcc, s30, v0
	s_and_saveexec_b64 s[0:1], vcc
	s_cbranch_execz .LBB28_14
; %bb.2:
	v_add_u32_e32 v1, s24, v14
	v_subrev_u32_e32 v1, s13, v1
	v_add_u32_e32 v1, 64, v1
	s_add_i32 s2, s30, 1
	v_max_i32_e32 v1, s2, v1
	v_not_b32_e32 v2, v12
	v_add3_u32 v1, v1, s13, v2
	v_add_u32_e32 v2, s24, v15
	v_sub_u32_e32 v1, v1, v2
	v_cmp_lt_u32_e32 vcc, 63, v1
	s_mov_b64 s[20:21], -1
	s_and_saveexec_b64 s[2:3], vcc
	s_cbranch_execz .LBB28_11
; %bb.3:
	v_lshrrev_b32_e32 v16, 6, v1
	v_add_u32_e32 v2, -1, v16
	v_add_u32_e32 v1, 64, v0
	v_lshrrev_b32_e32 v3, 1, v2
	v_add_u32_e32 v17, 1, v3
	v_cmp_lt_u32_e32 vcc, 13, v2
	v_pk_mov_b32 v[2:3], v[0:1], v[0:1] op_sel:[0,1]
	s_and_saveexec_b64 s[20:21], vcc
	s_cbranch_execz .LBB28_7
; %bb.4:
	v_and_b32_e32 v18, -8, v17
	s_mov_b64 s[22:23], 0
	v_mov_b32_e32 v19, s19
	v_pk_mov_b32 v[2:3], v[0:1], v[0:1] op_sel:[0,1]
.LBB28_5:                               ; =>This Inner Loop Header: Depth=1
	v_ashrrev_i32_e32 v23, 31, v2
	v_mov_b32_e32 v22, v2
	v_lshlrev_b64 v[22:23], 2, v[22:23]
	v_ashrrev_i32_e32 v21, 31, v3
	v_mov_b32_e32 v20, v3
	v_add_co_u32_e32 v22, vcc, s18, v22
	v_add_u32_e32 v4, 0x80, v2
	v_lshlrev_b64 v[20:21], 2, v[20:21]
	v_addc_co_u32_e32 v23, vcc, v19, v23, vcc
	v_ashrrev_i32_e32 v5, 31, v4
	v_add_co_u32_e32 v20, vcc, s18, v20
	v_add_u32_e32 v6, 0x80, v3
	v_addc_co_u32_e32 v21, vcc, v19, v21, vcc
	v_lshlrev_b64 v[44:45], 2, v[4:5]
	v_ashrrev_i32_e32 v7, 31, v6
	global_load_dword v1, v[22:23], off
	global_load_dword v5, v[20:21], off
	v_add_co_u32_e32 v20, vcc, s18, v44
	v_add_u32_e32 v8, 0x100, v2
	v_lshlrev_b64 v[46:47], 2, v[6:7]
	v_addc_co_u32_e32 v21, vcc, v19, v45, vcc
	v_ashrrev_i32_e32 v9, 31, v8
	v_add_co_u32_e32 v22, vcc, s18, v46
	v_add_u32_e32 v10, 0x100, v3
	v_lshlrev_b64 v[48:49], 2, v[8:9]
	v_addc_co_u32_e32 v23, vcc, v19, v47, vcc
	v_ashrrev_i32_e32 v11, 31, v10
	;; [unrolled: 5-line block ×12, first 2 shown]
	v_add_co_u32_e32 v64, vcc, s18, v68
	v_lshlrev_b64 v[70:71], 2, v[42:43]
	v_addc_co_u32_e32 v65, vcc, v19, v69, vcc
	v_add_co_u32_e32 v66, vcc, s18, v70
	v_addc_co_u32_e32 v67, vcc, v19, v71, vcc
	global_load_dword v7, v[22:23], off
	global_load_dword v9, v[20:21], off
	;; [unrolled: 1-line block ×14, first 2 shown]
	v_subrev_u32_e32 v21, s31, v2
	v_add_u32_e32 v18, -8, v18
	v_subrev_u32_e32 v20, s31, v3
	v_lshlrev_b32_e32 v21, 2, v21
	v_subrev_u32_e32 v4, s31, v4
	v_cmp_eq_u32_e32 vcc, 0, v18
	s_waitcnt vmcnt(14)
	v_subrev_u32_e32 v5, s13, v5
	v_subrev_u32_e32 v1, s13, v1
	v_add_u32_e32 v3, 0x400, v3
	v_add_u32_e32 v2, 0x400, v2
	v_lshlrev_b32_e32 v20, 2, v20
	v_subrev_u32_e32 v6, s31, v6
	v_subrev_u32_e32 v10, s31, v10
	;; [unrolled: 1-line block ×13, first 2 shown]
	v_lshlrev_b32_e32 v4, 2, v4
	s_or_b64 s[22:23], vcc, s[22:23]
	ds_write_b32 v21, v1 offset:2560
	ds_write_b32 v20, v5 offset:2560
	v_lshlrev_b32_e32 v6, 2, v6
	v_lshlrev_b32_e32 v8, 2, v8
	;; [unrolled: 1-line block ×13, first 2 shown]
	s_waitcnt vmcnt(13)
	v_subrev_u32_e32 v1, s13, v7
	s_waitcnt vmcnt(12)
	v_subrev_u32_e32 v5, s13, v9
	;; [unrolled: 2-line block ×14, first 2 shown]
	ds_write_b32 v4, v5 offset:2560
	ds_write_b32 v6, v1 offset:2560
	;; [unrolled: 1-line block ×14, first 2 shown]
	s_andn2_b64 exec, exec, s[22:23]
	s_cbranch_execnz .LBB28_5
; %bb.6:
	s_or_b64 exec, exec, s[22:23]
.LBB28_7:
	s_or_b64 exec, exec, s[20:21]
	v_and_b32_e32 v1, 7, v17
	v_cmp_ne_u32_e32 vcc, 0, v1
	s_and_saveexec_b64 s[20:21], vcc
	s_cbranch_execz .LBB28_10
; %bb.8:
	s_mov_b64 s[22:23], 0
	v_mov_b32_e32 v4, s19
.LBB28_9:                               ; =>This Inner Loop Header: Depth=1
	v_ashrrev_i32_e32 v9, 31, v2
	v_mov_b32_e32 v8, v2
	v_lshlrev_b64 v[8:9], 2, v[8:9]
	v_ashrrev_i32_e32 v7, 31, v3
	v_mov_b32_e32 v6, v3
	v_add_co_u32_e32 v8, vcc, s18, v8
	v_lshlrev_b64 v[6:7], 2, v[6:7]
	v_addc_co_u32_e32 v9, vcc, v4, v9, vcc
	v_add_co_u32_e32 v6, vcc, s18, v6
	v_addc_co_u32_e32 v7, vcc, v4, v7, vcc
	global_load_dword v5, v[6:7], off
	global_load_dword v10, v[8:9], off
	v_add_u32_e32 v1, -1, v1
	v_subrev_u32_e32 v7, s31, v2
	v_cmp_eq_u32_e32 vcc, 0, v1
	v_subrev_u32_e32 v6, s31, v3
	v_add_u32_e32 v3, 0x80, v3
	v_add_u32_e32 v2, 0x80, v2
	v_lshlrev_b32_e32 v7, 2, v7
	s_or_b64 s[22:23], vcc, s[22:23]
	v_lshlrev_b32_e32 v6, 2, v6
	s_waitcnt vmcnt(1)
	v_subrev_u32_e32 v5, s13, v5
	s_waitcnt vmcnt(0)
	v_subrev_u32_e32 v8, s13, v10
	ds_write_b32 v7, v8 offset:2560
	ds_write_b32 v6, v5 offset:2560
	s_andn2_b64 exec, exec, s[22:23]
	s_cbranch_execnz .LBB28_9
.LBB28_10:
	s_or_b64 exec, exec, s[20:21]
	v_add_u32_e32 v1, 1, v16
	v_and_b32_e32 v2, 0x7fffffe, v1
	v_cmp_ne_u32_e32 vcc, v1, v2
	v_lshl_add_u32 v0, v2, 6, v0
	s_orn2_b64 s[20:21], vcc, exec
.LBB28_11:
	s_or_b64 exec, exec, s[2:3]
	s_and_b64 exec, exec, s[20:21]
	s_cbranch_execz .LBB28_14
; %bb.12:
	v_add_u32_e32 v1, s13, v0
	v_subrev_u32_e32 v1, s24, v1
	v_mov_b32_e32 v2, 0xa00
	v_lshl_add_u32 v4, v1, 2, v2
	v_ashrrev_i32_e32 v1, 31, v0
	v_lshlrev_b64 v[2:3], 2, v[0:1]
	v_mov_b32_e32 v1, s19
	v_add_co_u32_e32 v2, vcc, s18, v2
	v_addc_co_u32_e32 v3, vcc, v1, v3, vcc
	s_mov_b64 s[2:3], 0
.LBB28_13:                              ; =>This Inner Loop Header: Depth=1
	global_load_dword v1, v[2:3], off
	v_add_co_u32_e32 v2, vcc, 0x100, v2
	v_add_u32_e32 v0, 64, v0
	v_addc_co_u32_e32 v3, vcc, 0, v3, vcc
	v_cmp_lt_i32_e32 vcc, s30, v0
	s_or_b64 s[2:3], vcc, s[2:3]
	s_waitcnt vmcnt(0)
	v_subrev_u32_e32 v1, s13, v1
	ds_write_b32 v4, v1
	v_add_u32_e32 v4, 0x100, v4
	s_andn2_b64 exec, exec, s[2:3]
	s_cbranch_execnz .LBB28_13
.LBB28_14:
	s_or_b64 exec, exec, s[0:1]
	s_load_dwordx2 s[2:3], s[4:5], 0x20
	v_lshlrev_b32_e32 v10, 3, v12
	s_movk_i32 s0, 0x48
	v_mov_b32_e32 v2, 0
	v_mad_u32_u24 v0, v13, s0, v10
	v_mov_b32_e32 v3, v2
	s_cmp_lt_i32 s31, s30
	ds_write_b64 v0, v[2:3] offset:1728
	s_waitcnt lgkmcnt(0)
	s_cbranch_scc1 .LBB28_17
; %bb.15:
	v_lshl_add_u32 v11, v12, 3, v13
	v_or_b32_e32 v8, v12, v13
	s_load_dword s33, s[4:5], 0x0
	v_add_u32_e32 v9, 0x6c0, v0
	s_cbranch_execz .LBB28_18
	s_branch .LBB28_75
.LBB28_16:
	s_mov_b64 s[0:1], 0
	s_cbranch_execnz .LBB28_140
	s_branch .LBB28_145
.LBB28_17:
                                        ; implicit-def: $vgpr11
                                        ; implicit-def: $vgpr8
	s_load_dword s33, s[4:5], 0x0
	v_add_u32_e32 v9, 0x6c0, v0
.LBB28_18:
	s_waitcnt lgkmcnt(0)
	s_cmp_eq_u32 s33, 0
	s_movk_i32 s20, 0x48
	v_mov_b32_e32 v0, 0x480
	v_mov_b32_e32 v1, 0x240
	v_add_u32_e32 v11, v10, v13
	s_cselect_b64 vcc, -1, 0
	s_cmp_lg_u32 s33, 0
	v_mad_u32_u24 v16, v13, s20, v0
	v_mad_u32_u24 v19, v13, s20, v1
	v_or_b32_e32 v8, v12, v13
	s_cselect_b64 s[4:5], -1, 0
	v_add_u32_e32 v17, v16, v10
	v_mad_u32_u24 v18, v13, s20, v10
	v_add_u32_e32 v20, v19, v10
	v_cmp_ne_u32_e64 s[0:1], 0, v8
	v_mad_u32_u24 v21, v12, s20, v0
	v_cndmask_b32_e32 v22, v11, v14, vcc
	v_mov_b32_e32 v23, 0
	v_mov_b32_e32 v24, 0x3ff00000
	s_mov_b32 s20, s31
	s_branch .LBB28_22
.LBB28_19:                              ;   in Loop: Header=BB28_22 Depth=1
	s_or_b64 exec, exec, s[24:25]
	v_mov_b32_e32 v4, 0
	v_mov_b32_e32 v5, 0x3ff00000
.LBB28_20:                              ;   in Loop: Header=BB28_22 Depth=1
	s_or_b64 exec, exec, s[22:23]
	ds_read_b64 v[6:7], v23 offset:552
	ds_read2_b64 v[26:29], v16 offset0:2 offset1:3
	ds_read2_b64 v[30:33], v16 offset1:1
	ds_read2_b64 v[34:37], v23 offset0:63 offset1:64
	ds_read_b64 v[50:51], v19 offset:56
	ds_read2_b64 v[38:41], v23 offset0:67 offset1:68
	ds_read2_b64 v[42:45], v23 offset0:65 offset1:66
	ds_read_b64 v[52:53], v16 offset:48
	ds_read2_b64 v[46:49], v16 offset0:4 offset1:5
	s_waitcnt lgkmcnt(4)
	v_fmac_f64_e32 v[50:51], v[34:35], v[30:31]
	v_fmac_f64_e32 v[50:51], v[36:37], v[32:33]
	s_waitcnt lgkmcnt(2)
	v_fmac_f64_e32 v[50:51], v[42:43], v[26:27]
	v_fmac_f64_e32 v[50:51], v[44:45], v[28:29]
	;; [unrolled: 3-line block ×3, first 2 shown]
	v_fmac_f64_e32 v[50:51], v[6:7], v[52:53]
	v_add_f64 v[2:3], v[2:3], -v[50:51]
	v_div_scale_f64 v[6:7], s[22:23], v[4:5], v[4:5], v[2:3]
	v_rcp_f64_e32 v[26:27], v[6:7]
	s_add_i32 s20, s20, 1
	s_cmp_ge_i32 s20, s30
	s_cselect_b64 s[26:27], -1, 0
	v_fma_f64 v[28:29], -v[6:7], v[26:27], 1.0
	v_fmac_f64_e32 v[26:27], v[26:27], v[28:29]
	v_fma_f64 v[28:29], -v[6:7], v[26:27], 1.0
	v_fmac_f64_e32 v[26:27], v[26:27], v[28:29]
	v_div_scale_f64 v[28:29], vcc, v[2:3], v[4:5], v[2:3]
	v_mul_f64 v[30:31], v[28:29], v[26:27]
	v_fma_f64 v[6:7], -v[6:7], v[30:31], v[28:29]
	s_nop 1
	v_div_fmas_f64 v[6:7], v[6:7], v[26:27], v[30:31]
	v_div_fixup_f64 v[2:3], v[6:7], v[4:5], v[2:3]
	ds_write_b64 v16, v[2:3] offset:56
	s_waitcnt lgkmcnt(0)
	ds_read_b64 v[4:5], v21 offset:56
	ds_read_b64 v[6:7], v9
	s_waitcnt lgkmcnt(0)
	v_fmac_f64_e32 v[6:7], v[2:3], v[4:5]
	ds_write_b64 v9, v[6:7]
	s_waitcnt lgkmcnt(0)
	ds_read_b64 v[2:3], v17
	s_waitcnt lgkmcnt(0)
	global_store_dwordx2 v[0:1], v[2:3], off
	s_waitcnt vmcnt(0)
	buffer_wbinvl1_vol
.LBB28_21:                              ;   in Loop: Header=BB28_22 Depth=1
	s_and_b64 vcc, exec, s[26:27]
	s_cbranch_vccnz .LBB28_75
.LBB28_22:                              ; =>This Loop Header: Depth=1
                                        ;     Child Loop BB28_25 Depth 2
                                        ;     Child Loop BB28_36 Depth 2
	s_ashr_i32 s21, s20, 31
	s_lshl_b64 s[22:23], s[20:21], 2
	s_add_u32 s22, s18, s22
	s_addc_u32 s23, s19, s23
	s_load_dword s21, s[22:23], 0x0
	s_waitcnt lgkmcnt(0)
	s_sub_i32 s24, s21, s13
	s_ashr_i32 s25, s24, 31
	s_lshl_b64 s[22:23], s[24:25], 2
	s_add_u32 s26, s8, s22
	s_addc_u32 s27, s9, s23
	s_load_dword s25, s[26:27], 0x0
	s_mov_b64 s[26:27], -1
	s_waitcnt lgkmcnt(0)
	s_cmp_eq_u32 s25, -1
	s_cbranch_scc1 .LBB28_21
; %bb.23:                               ;   in Loop: Header=BB28_22 Depth=1
	v_lshl_add_u32 v0, s20, 6, v22
	v_ashrrev_i32_e32 v1, 31, v0
	v_lshlrev_b64 v[0:1], 3, v[0:1]
	v_mov_b32_e32 v2, s3
	v_add_co_u32_e32 v0, vcc, s2, v0
	v_addc_co_u32_e32 v1, vcc, v2, v1, vcc
	global_load_dwordx2 v[2:3], v[0:1], off
	s_add_u32 s26, s16, s22
	s_addc_u32 s27, s17, s23
	s_load_dword s26, s[26:27], 0x0
	ds_read_b32 v4, v23 offset:2560
	s_mov_b32 s27, 0
	s_waitcnt lgkmcnt(0)
	s_sub_i32 s26, s26, s13
	s_cmp_le_i32 s26, s25
	v_cmp_ge_i32_e32 vcc, s24, v4
	s_cselect_b64 s[28:29], -1, 0
	s_and_b64 s[28:29], s[28:29], vcc
	s_andn2_b64 vcc, exec, s[28:29]
	s_waitcnt vmcnt(0)
	ds_write_b64 v17, v[2:3]
	s_cbranch_vccnz .LBB28_35
; %bb.24:                               ;   in Loop: Header=BB28_22 Depth=1
	s_mov_b32 s34, 0
	s_mov_b32 s35, 0
.LBB28_25:                              ;   Parent Loop BB28_22 Depth=1
                                        ; =>  This Inner Loop Header: Depth=2
	s_ashr_i32 s27, s26, 31
	s_lshl_b64 s[28:29], s[26:27], 2
	s_add_u32 s28, s18, s28
	s_addc_u32 s29, s19, s29
	s_load_dword s27, s[28:29], 0x0
	s_lshl_b32 s28, s35, 2
	v_mov_b32_e32 v2, s28
	ds_read_b32 v2, v2 offset:2560
	s_mov_b64 s[28:29], -1
	s_waitcnt lgkmcnt(0)
	s_sub_i32 s39, s27, s13
                                        ; implicit-def: $sgpr27
                                        ; implicit-def: $sgpr38
                                        ; implicit-def: $sgpr37
	v_cmp_ge_i32_e32 vcc, s39, v2
	v_readfirstlane_b32 s36, v2
	s_cbranch_vccz .LBB28_31
; %bb.26:                               ;   in Loop: Header=BB28_25 Depth=2
	s_cmp_le_i32 s39, s36
                                        ; implicit-def: $sgpr27
                                        ; implicit-def: $sgpr38
                                        ; implicit-def: $sgpr37
	s_cbranch_scc0 .LBB28_28
; %bb.27:                               ;   in Loop: Header=BB28_25 Depth=2
	s_add_i32 s27, s35, s31
	s_lshl_b32 s27, s27, 6
	s_lshl_b32 s28, s34, 2
	v_mov_b32_e32 v2, s28
	v_mov_b32_e32 v3, s27
	s_lshl_b32 s27, s26, 6
	v_mov_b32_e32 v4, s27
	v_add_u32_e32 v2, 0x800, v2
	ds_write2_b32 v2, v4, v3 offset0:64 offset1:96
	s_add_i32 s37, s35, 1
	s_add_i32 s38, s26, 1
	;; [unrolled: 1-line block ×3, first 2 shown]
	s_mov_b64 s[28:29], 0
.LBB28_28:                              ;   in Loop: Header=BB28_25 Depth=2
	s_andn2_b64 vcc, exec, s[28:29]
	s_cbranch_vccnz .LBB28_30
; %bb.29:                               ;   in Loop: Header=BB28_25 Depth=2
	s_add_i32 s37, s35, 1
	s_mov_b32 s27, s34
	s_mov_b32 s38, s26
.LBB28_30:                              ;   in Loop: Header=BB28_25 Depth=2
	s_mov_b64 s[28:29], 0
.LBB28_31:                              ;   in Loop: Header=BB28_25 Depth=2
	s_andn2_b64 vcc, exec, s[28:29]
	s_cbranch_vccnz .LBB28_33
; %bb.32:                               ;   in Loop: Header=BB28_25 Depth=2
	s_add_i32 s38, s26, 1
	s_mov_b32 s37, s35
	s_mov_b32 s27, s34
.LBB28_33:                              ;   in Loop: Header=BB28_25 Depth=2
	s_cmp_le_i32 s38, s25
	s_cselect_b64 s[28:29], -1, 0
	s_cmp_le_i32 s36, s24
	s_cselect_b64 s[34:35], -1, 0
	s_and_b64 s[28:29], s[28:29], s[34:35]
	s_and_b64 vcc, exec, s[28:29]
	s_cbranch_vccz .LBB28_35
; %bb.34:                               ;   in Loop: Header=BB28_25 Depth=2
	s_mov_b32 s34, s27
	s_mov_b32 s26, s38
	;; [unrolled: 1-line block ×3, first 2 shown]
	s_branch .LBB28_25
.LBB28_35:                              ;   in Loop: Header=BB28_22 Depth=1
	s_add_u32 s22, s10, s22
	s_addc_u32 s23, s11, s23
	s_waitcnt lgkmcnt(0)
.LBB28_36:                              ;   Parent Loop BB28_22 Depth=1
                                        ; =>  This Inner Loop Header: Depth=2
	global_load_dword v2, v23, s[22:23] glc
	s_waitcnt vmcnt(0)
	v_cmp_eq_u32_e32 vcc, 0, v2
	s_cbranch_vccnz .LBB28_36
; %bb.37:                               ;   in Loop: Header=BB28_22 Depth=1
	v_lshl_add_u32 v2, s25, 6, v22
	v_ashrrev_i32_e32 v3, 31, v2
	v_lshlrev_b64 v[2:3], 3, v[2:3]
	v_mov_b32_e32 v4, s3
	v_add_co_u32_e32 v2, vcc, s2, v2
	v_addc_co_u32_e32 v3, vcc, v4, v3, vcc
	buffer_wbinvl1_vol
	global_load_dwordx2 v[2:3], v[2:3], off
	s_cmp_lt_i32 s27, 2
	v_pk_mov_b32 v[6:7], 0, 0
	s_waitcnt vmcnt(0)
	ds_write_b64 v18, v[2:3]
	s_waitcnt lgkmcnt(0)
	s_cbranch_scc1 .LBB28_44
; %bb.38:                               ;   in Loop: Header=BB28_22 Depth=1
	s_add_i32 s24, s27, -1
	s_movk_i32 s25, 0x900
	v_pk_mov_b32 v[2:3], 0, 0
	v_mov_b32_e32 v4, s25
	ds_read2_b32 v[4:5], v4 offset1:32
	s_and_b64 vcc, exec, s[4:5]
	s_cbranch_vccz .LBB28_40
.LBB28_39:                              ;   in Loop: Header=BB28_22 Depth=1
	s_waitcnt lgkmcnt(0)
	v_add_u32_e32 v6, v4, v12
	v_ashrrev_i32_e32 v7, 31, v6
	v_lshlrev_b64 v[26:27], 3, v[6:7]
	v_add_u32_e32 v28, v5, v13
	v_mov_b32_e32 v25, s3
	v_add_co_u32_e32 v26, vcc, s2, v26
	v_ashrrev_i32_e32 v29, 31, v28
	v_addc_co_u32_e32 v27, vcc, v25, v27, vcc
	v_lshlrev_b64 v[30:31], 3, v[28:29]
	v_add_u32_e32 v32, 8, v6
	v_add_co_u32_e32 v30, vcc, s2, v30
	v_ashrrev_i32_e32 v33, 31, v32
	v_addc_co_u32_e32 v31, vcc, v25, v31, vcc
	v_lshlrev_b64 v[32:33], 3, v[32:33]
	v_add_u32_e32 v34, 8, v28
	v_add_co_u32_e32 v32, vcc, s2, v32
	v_ashrrev_i32_e32 v35, 31, v34
	v_addc_co_u32_e32 v33, vcc, v25, v33, vcc
	v_lshlrev_b64 v[34:35], 3, v[34:35]
	v_add_co_u32_e32 v34, vcc, s2, v34
	v_addc_co_u32_e32 v35, vcc, v25, v35, vcc
	global_load_dwordx2 v[36:37], v[26:27], off
	global_load_dwordx2 v[38:39], v[30:31], off
	global_load_dwordx2 v[40:41], v[32:33], off
	global_load_dwordx2 v[42:43], v[34:35], off
	v_add_u32_e32 v26, 16, v6
	v_ashrrev_i32_e32 v27, 31, v26
	v_lshlrev_b64 v[26:27], 3, v[26:27]
	v_add_u32_e32 v30, 16, v28
	v_add_co_u32_e32 v26, vcc, s2, v26
	v_ashrrev_i32_e32 v31, 31, v30
	v_addc_co_u32_e32 v27, vcc, v25, v27, vcc
	v_lshlrev_b64 v[30:31], 3, v[30:31]
	v_add_u32_e32 v32, 24, v6
	v_add_co_u32_e32 v30, vcc, s2, v30
	v_ashrrev_i32_e32 v33, 31, v32
	v_addc_co_u32_e32 v31, vcc, v25, v31, vcc
	v_lshlrev_b64 v[32:33], 3, v[32:33]
	v_add_u32_e32 v34, 24, v28
	v_add_co_u32_e32 v32, vcc, s2, v32
	v_ashrrev_i32_e32 v35, 31, v34
	v_addc_co_u32_e32 v33, vcc, v25, v33, vcc
	v_lshlrev_b64 v[34:35], 3, v[34:35]
	v_add_co_u32_e32 v34, vcc, s2, v34
	v_addc_co_u32_e32 v35, vcc, v25, v35, vcc
	global_load_dwordx2 v[44:45], v[26:27], off
	global_load_dwordx2 v[46:47], v[30:31], off
	global_load_dwordx2 v[48:49], v[32:33], off
	global_load_dwordx2 v[50:51], v[34:35], off
	v_add_u32_e32 v26, 32, v6
	v_ashrrev_i32_e32 v27, 31, v26
	v_lshlrev_b64 v[26:27], 3, v[26:27]
	v_add_u32_e32 v30, 32, v28
	;; [unrolled: 24-line block ×3, first 2 shown]
	v_add_co_u32_e32 v26, vcc, s2, v26
	v_ashrrev_i32_e32 v31, 31, v30
	v_addc_co_u32_e32 v27, vcc, v25, v27, vcc
	v_lshlrev_b64 v[30:31], 3, v[30:31]
	v_add_u32_e32 v6, 56, v6
	v_add_co_u32_e32 v30, vcc, s2, v30
	v_ashrrev_i32_e32 v7, 31, v6
	v_addc_co_u32_e32 v31, vcc, v25, v31, vcc
	v_lshlrev_b64 v[6:7], 3, v[6:7]
	v_add_u32_e32 v28, 56, v28
	v_add_co_u32_e32 v6, vcc, s2, v6
	v_ashrrev_i32_e32 v29, 31, v28
	v_addc_co_u32_e32 v7, vcc, v25, v7, vcc
	v_lshlrev_b64 v[28:29], 3, v[28:29]
	v_add_co_u32_e32 v28, vcc, s2, v28
	v_addc_co_u32_e32 v29, vcc, v25, v29, vcc
	global_load_dwordx2 v[32:33], v[26:27], off
	global_load_dwordx2 v[34:35], v[30:31], off
	;; [unrolled: 1-line block ×4, first 2 shown]
	s_waitcnt vmcnt(14)
	v_fma_f64 v[6:7], v[36:37], v[38:39], v[2:3]
	s_waitcnt vmcnt(12)
	v_fmac_f64_e32 v[6:7], v[40:41], v[42:43]
	s_waitcnt vmcnt(10)
	v_fmac_f64_e32 v[6:7], v[44:45], v[46:47]
	;; [unrolled: 2-line block ×7, first 2 shown]
	s_cbranch_execz .LBB28_41
	s_branch .LBB28_42
.LBB28_40:                              ;   in Loop: Header=BB28_22 Depth=1
                                        ; implicit-def: $vgpr6_vgpr7
.LBB28_41:                              ;   in Loop: Header=BB28_22 Depth=1
	s_waitcnt lgkmcnt(0)
	v_add_u32_e32 v6, v4, v10
	v_ashrrev_i32_e32 v7, 31, v6
	v_lshlrev_b64 v[6:7], 3, v[6:7]
	v_mov_b32_e32 v25, s3
	v_add_co_u32_e32 v54, vcc, s2, v6
	v_addc_co_u32_e32 v55, vcc, v25, v7, vcc
	global_load_dwordx4 v[26:29], v[54:55], off
	v_add_u32_e32 v4, v5, v15
	v_ashrrev_i32_e32 v5, 31, v4
	v_lshlrev_b64 v[4:5], 3, v[4:5]
	v_add_co_u32_e32 v56, vcc, s2, v4
	v_addc_co_u32_e32 v57, vcc, v25, v5, vcc
	global_load_dwordx4 v[4:7], v[56:57], off
	global_load_dwordx4 v[30:33], v[54:55], off offset:16
	global_load_dwordx4 v[34:37], v[56:57], off offset:16
	;; [unrolled: 1-line block ×6, first 2 shown]
	s_waitcnt vmcnt(6)
	v_fmac_f64_e32 v[2:3], v[26:27], v[4:5]
	v_fmac_f64_e32 v[2:3], v[28:29], v[6:7]
	s_waitcnt vmcnt(4)
	v_fmac_f64_e32 v[2:3], v[30:31], v[34:35]
	v_fmac_f64_e32 v[2:3], v[32:33], v[36:37]
	;; [unrolled: 3-line block ×4, first 2 shown]
	v_pk_mov_b32 v[6:7], v[2:3], v[2:3] op_sel:[0,1]
.LBB28_42:                              ;   in Loop: Header=BB28_22 Depth=1
	s_add_i32 s24, s24, -1
	s_add_i32 s25, s25, 4
	s_cmp_eq_u32 s24, 0
	s_cbranch_scc1 .LBB28_44
; %bb.43:                               ;   in Loop: Header=BB28_22 Depth=1
	v_pk_mov_b32 v[2:3], v[6:7], v[6:7] op_sel:[0,1]
	s_waitcnt lgkmcnt(0)
	v_mov_b32_e32 v4, s25
	ds_read2_b32 v[4:5], v4 offset1:32
	s_and_b64 vcc, exec, s[4:5]
	s_cbranch_vccz .LBB28_40
	s_branch .LBB28_39
.LBB28_44:                              ;   in Loop: Header=BB28_22 Depth=1
	ds_write_b64 v20, v[6:7]
	s_waitcnt lgkmcnt(0)
	ds_read_b64 v[4:5], v23
	ds_read_b64 v[2:3], v16
	s_waitcnt lgkmcnt(1)
	v_cmp_neq_f64_e32 vcc, 0, v[4:5]
	s_or_b64 s[22:23], vcc, s[0:1]
	v_cndmask_b32_e32 v5, v24, v5, vcc
	s_xor_b64 s[24:25], s[22:23], -1
	v_cndmask_b32_e32 v4, 0, v4, vcc
	s_and_saveexec_b64 s[22:23], s[24:25]
	s_cbranch_execz .LBB28_48
; %bb.45:                               ;   in Loop: Header=BB28_22 Depth=1
	v_mbcnt_lo_u32_b32 v4, exec_lo, 0
	v_mbcnt_hi_u32_b32 v4, exec_hi, v4
	v_cmp_eq_u32_e32 vcc, 0, v4
	s_and_saveexec_b64 s[24:25], vcc
	s_cbranch_execz .LBB28_47
; %bb.46:                               ;   in Loop: Header=BB28_22 Depth=1
	v_mov_b32_e32 v4, s21
	global_atomic_smin v23, v4, s[14:15]
.LBB28_47:                              ;   in Loop: Header=BB28_22 Depth=1
	s_or_b64 exec, exec, s[24:25]
	v_mov_b32_e32 v4, 0
	v_mov_b32_e32 v5, 0x3ff00000
.LBB28_48:                              ;   in Loop: Header=BB28_22 Depth=1
	s_or_b64 exec, exec, s[22:23]
	ds_read_b64 v[6:7], v19
	s_waitcnt lgkmcnt(0)
	v_add_f64 v[2:3], v[2:3], -v[6:7]
	v_div_scale_f64 v[6:7], s[22:23], v[4:5], v[4:5], v[2:3]
	v_rcp_f64_e32 v[26:27], v[6:7]
	v_div_scale_f64 v[28:29], vcc, v[2:3], v[4:5], v[2:3]
	v_fma_f64 v[30:31], -v[6:7], v[26:27], 1.0
	v_fmac_f64_e32 v[26:27], v[26:27], v[30:31]
	v_fma_f64 v[30:31], -v[6:7], v[26:27], 1.0
	v_fmac_f64_e32 v[26:27], v[26:27], v[30:31]
	v_mul_f64 v[30:31], v[28:29], v[26:27]
	v_fma_f64 v[6:7], -v[6:7], v[30:31], v[28:29]
	v_div_fmas_f64 v[6:7], v[6:7], v[26:27], v[30:31]
	v_div_fixup_f64 v[2:3], v[6:7], v[4:5], v[2:3]
	ds_write_b64 v16, v[2:3]
	s_waitcnt lgkmcnt(0)
	ds_read_b64 v[4:5], v21
	ds_read_b64 v[6:7], v9
	s_waitcnt lgkmcnt(0)
	v_fmac_f64_e32 v[6:7], v[2:3], v[4:5]
	ds_write_b64 v9, v[6:7]
	s_waitcnt lgkmcnt(0)
	ds_read_b64 v[4:5], v23 offset:80
	ds_read_b64 v[2:3], v16 offset:8
	s_waitcnt lgkmcnt(1)
	v_cmp_neq_f64_e32 vcc, 0, v[4:5]
	s_or_b64 s[22:23], vcc, s[0:1]
	v_cndmask_b32_e32 v5, v24, v5, vcc
	s_xor_b64 s[24:25], s[22:23], -1
	v_cndmask_b32_e32 v4, 0, v4, vcc
	s_and_saveexec_b64 s[22:23], s[24:25]
	s_cbranch_execz .LBB28_52
; %bb.49:                               ;   in Loop: Header=BB28_22 Depth=1
	v_mbcnt_lo_u32_b32 v4, exec_lo, 0
	v_mbcnt_hi_u32_b32 v4, exec_hi, v4
	v_cmp_eq_u32_e32 vcc, 0, v4
	s_and_saveexec_b64 s[24:25], vcc
	s_cbranch_execz .LBB28_51
; %bb.50:                               ;   in Loop: Header=BB28_22 Depth=1
	v_mov_b32_e32 v4, s21
	global_atomic_smin v23, v4, s[14:15]
.LBB28_51:                              ;   in Loop: Header=BB28_22 Depth=1
	s_or_b64 exec, exec, s[24:25]
	v_mov_b32_e32 v4, 0
	v_mov_b32_e32 v5, 0x3ff00000
.LBB28_52:                              ;   in Loop: Header=BB28_22 Depth=1
	s_or_b64 exec, exec, s[22:23]
	ds_read_b64 v[6:7], v16
	ds_read_b64 v[26:27], v23 offset:72
	ds_read_b64 v[28:29], v19 offset:8
	s_waitcnt lgkmcnt(0)
	v_fmac_f64_e32 v[28:29], v[26:27], v[6:7]
	v_add_f64 v[2:3], v[2:3], -v[28:29]
	v_div_scale_f64 v[6:7], s[22:23], v[4:5], v[4:5], v[2:3]
	v_rcp_f64_e32 v[26:27], v[6:7]
	v_div_scale_f64 v[28:29], vcc, v[2:3], v[4:5], v[2:3]
	v_fma_f64 v[30:31], -v[6:7], v[26:27], 1.0
	v_fmac_f64_e32 v[26:27], v[26:27], v[30:31]
	v_fma_f64 v[30:31], -v[6:7], v[26:27], 1.0
	v_fmac_f64_e32 v[26:27], v[26:27], v[30:31]
	v_mul_f64 v[30:31], v[28:29], v[26:27]
	v_fma_f64 v[6:7], -v[6:7], v[30:31], v[28:29]
	v_div_fmas_f64 v[6:7], v[6:7], v[26:27], v[30:31]
	v_div_fixup_f64 v[2:3], v[6:7], v[4:5], v[2:3]
	ds_write_b64 v16, v[2:3] offset:8
	s_waitcnt lgkmcnt(0)
	ds_read_b64 v[4:5], v21 offset:8
	ds_read_b64 v[6:7], v9
	s_waitcnt lgkmcnt(0)
	v_fmac_f64_e32 v[6:7], v[2:3], v[4:5]
	ds_write_b64 v9, v[6:7]
	s_waitcnt lgkmcnt(0)
	ds_read_b64 v[4:5], v23 offset:160
	ds_read_b64 v[2:3], v16 offset:16
	s_waitcnt lgkmcnt(1)
	v_cmp_neq_f64_e32 vcc, 0, v[4:5]
	s_or_b64 s[22:23], vcc, s[0:1]
	v_cndmask_b32_e32 v5, v24, v5, vcc
	s_xor_b64 s[24:25], s[22:23], -1
	v_cndmask_b32_e32 v4, 0, v4, vcc
	s_and_saveexec_b64 s[22:23], s[24:25]
	s_cbranch_execz .LBB28_56
; %bb.53:                               ;   in Loop: Header=BB28_22 Depth=1
	v_mbcnt_lo_u32_b32 v4, exec_lo, 0
	v_mbcnt_hi_u32_b32 v4, exec_hi, v4
	v_cmp_eq_u32_e32 vcc, 0, v4
	s_and_saveexec_b64 s[24:25], vcc
	s_cbranch_execz .LBB28_55
; %bb.54:                               ;   in Loop: Header=BB28_22 Depth=1
	v_mov_b32_e32 v4, s21
	global_atomic_smin v23, v4, s[14:15]
.LBB28_55:                              ;   in Loop: Header=BB28_22 Depth=1
	s_or_b64 exec, exec, s[24:25]
	v_mov_b32_e32 v4, 0
	v_mov_b32_e32 v5, 0x3ff00000
.LBB28_56:                              ;   in Loop: Header=BB28_22 Depth=1
	s_or_b64 exec, exec, s[22:23]
	ds_read_b128 v[26:29], v23 offset:144
	ds_read2_b64 v[30:33], v16 offset1:1
	ds_read_b64 v[6:7], v19 offset:16
	s_waitcnt lgkmcnt(0)
	v_fmac_f64_e32 v[6:7], v[26:27], v[30:31]
	v_fmac_f64_e32 v[6:7], v[28:29], v[32:33]
	v_add_f64 v[2:3], v[2:3], -v[6:7]
	v_div_scale_f64 v[6:7], s[22:23], v[4:5], v[4:5], v[2:3]
	v_rcp_f64_e32 v[26:27], v[6:7]
	v_div_scale_f64 v[28:29], vcc, v[2:3], v[4:5], v[2:3]
	v_fma_f64 v[30:31], -v[6:7], v[26:27], 1.0
	v_fmac_f64_e32 v[26:27], v[26:27], v[30:31]
	v_fma_f64 v[30:31], -v[6:7], v[26:27], 1.0
	v_fmac_f64_e32 v[26:27], v[26:27], v[30:31]
	v_mul_f64 v[30:31], v[28:29], v[26:27]
	v_fma_f64 v[6:7], -v[6:7], v[30:31], v[28:29]
	v_div_fmas_f64 v[6:7], v[6:7], v[26:27], v[30:31]
	v_div_fixup_f64 v[2:3], v[6:7], v[4:5], v[2:3]
	ds_write_b64 v16, v[2:3] offset:16
	s_waitcnt lgkmcnt(0)
	ds_read_b64 v[4:5], v21 offset:16
	ds_read_b64 v[6:7], v9
	s_waitcnt lgkmcnt(0)
	v_fmac_f64_e32 v[6:7], v[2:3], v[4:5]
	ds_write_b64 v9, v[6:7]
	s_waitcnt lgkmcnt(0)
	ds_read_b64 v[4:5], v23 offset:240
	ds_read_b64 v[2:3], v16 offset:24
	s_waitcnt lgkmcnt(1)
	v_cmp_neq_f64_e32 vcc, 0, v[4:5]
	s_or_b64 s[22:23], vcc, s[0:1]
	v_cndmask_b32_e32 v5, v24, v5, vcc
	s_xor_b64 s[24:25], s[22:23], -1
	v_cndmask_b32_e32 v4, 0, v4, vcc
	s_and_saveexec_b64 s[22:23], s[24:25]
	s_cbranch_execz .LBB28_60
; %bb.57:                               ;   in Loop: Header=BB28_22 Depth=1
	v_mbcnt_lo_u32_b32 v4, exec_lo, 0
	v_mbcnt_hi_u32_b32 v4, exec_hi, v4
	v_cmp_eq_u32_e32 vcc, 0, v4
	s_and_saveexec_b64 s[24:25], vcc
	s_cbranch_execz .LBB28_59
; %bb.58:                               ;   in Loop: Header=BB28_22 Depth=1
	v_mov_b32_e32 v4, s21
	global_atomic_smin v23, v4, s[14:15]
.LBB28_59:                              ;   in Loop: Header=BB28_22 Depth=1
	s_or_b64 exec, exec, s[24:25]
	v_mov_b32_e32 v4, 0
	v_mov_b32_e32 v5, 0x3ff00000
.LBB28_60:                              ;   in Loop: Header=BB28_22 Depth=1
	s_or_b64 exec, exec, s[22:23]
	ds_read2_b64 v[26:29], v16 offset1:1
	ds_read2_b64 v[30:33], v23 offset0:27 offset1:28
	ds_read_b64 v[6:7], v19 offset:24
	ds_read_b64 v[34:35], v16 offset:16
	;; [unrolled: 1-line block ×3, first 2 shown]
	s_waitcnt lgkmcnt(2)
	v_fmac_f64_e32 v[6:7], v[30:31], v[26:27]
	v_fmac_f64_e32 v[6:7], v[32:33], v[28:29]
	s_waitcnt lgkmcnt(0)
	v_fmac_f64_e32 v[6:7], v[36:37], v[34:35]
	v_add_f64 v[2:3], v[2:3], -v[6:7]
	v_div_scale_f64 v[6:7], s[22:23], v[4:5], v[4:5], v[2:3]
	v_rcp_f64_e32 v[26:27], v[6:7]
	v_div_scale_f64 v[28:29], vcc, v[2:3], v[4:5], v[2:3]
	v_fma_f64 v[30:31], -v[6:7], v[26:27], 1.0
	v_fmac_f64_e32 v[26:27], v[26:27], v[30:31]
	v_fma_f64 v[30:31], -v[6:7], v[26:27], 1.0
	v_fmac_f64_e32 v[26:27], v[26:27], v[30:31]
	v_mul_f64 v[30:31], v[28:29], v[26:27]
	v_fma_f64 v[6:7], -v[6:7], v[30:31], v[28:29]
	v_div_fmas_f64 v[6:7], v[6:7], v[26:27], v[30:31]
	v_div_fixup_f64 v[2:3], v[6:7], v[4:5], v[2:3]
	ds_write_b64 v16, v[2:3] offset:24
	s_waitcnt lgkmcnt(0)
	ds_read_b64 v[4:5], v21 offset:24
	ds_read_b64 v[6:7], v9
	s_waitcnt lgkmcnt(0)
	v_fmac_f64_e32 v[6:7], v[2:3], v[4:5]
	ds_write_b64 v9, v[6:7]
	s_waitcnt lgkmcnt(0)
	ds_read_b64 v[4:5], v23 offset:320
	ds_read_b64 v[2:3], v16 offset:32
	s_waitcnt lgkmcnt(1)
	v_cmp_neq_f64_e32 vcc, 0, v[4:5]
	s_or_b64 s[22:23], vcc, s[0:1]
	v_cndmask_b32_e32 v5, v24, v5, vcc
	s_xor_b64 s[24:25], s[22:23], -1
	v_cndmask_b32_e32 v4, 0, v4, vcc
	s_and_saveexec_b64 s[22:23], s[24:25]
	s_cbranch_execz .LBB28_64
; %bb.61:                               ;   in Loop: Header=BB28_22 Depth=1
	v_mbcnt_lo_u32_b32 v4, exec_lo, 0
	v_mbcnt_hi_u32_b32 v4, exec_hi, v4
	v_cmp_eq_u32_e32 vcc, 0, v4
	s_and_saveexec_b64 s[24:25], vcc
	s_cbranch_execz .LBB28_63
; %bb.62:                               ;   in Loop: Header=BB28_22 Depth=1
	v_mov_b32_e32 v4, s21
	global_atomic_smin v23, v4, s[14:15]
.LBB28_63:                              ;   in Loop: Header=BB28_22 Depth=1
	s_or_b64 exec, exec, s[24:25]
	v_mov_b32_e32 v4, 0
	v_mov_b32_e32 v5, 0x3ff00000
.LBB28_64:                              ;   in Loop: Header=BB28_22 Depth=1
	s_or_b64 exec, exec, s[22:23]
	ds_read2_b64 v[26:29], v16 offset1:1
	ds_read_b128 v[30:33], v23 offset:288
	ds_read_b64 v[6:7], v19 offset:32
	ds_read2_b64 v[34:37], v16 offset0:2 offset1:3
	ds_read_b128 v[38:41], v23 offset:304
	s_waitcnt lgkmcnt(2)
	v_fmac_f64_e32 v[6:7], v[30:31], v[26:27]
	v_fmac_f64_e32 v[6:7], v[32:33], v[28:29]
	s_waitcnt lgkmcnt(0)
	v_fmac_f64_e32 v[6:7], v[38:39], v[34:35]
	v_fmac_f64_e32 v[6:7], v[40:41], v[36:37]
	v_add_f64 v[2:3], v[2:3], -v[6:7]
	v_div_scale_f64 v[6:7], s[22:23], v[4:5], v[4:5], v[2:3]
	v_rcp_f64_e32 v[26:27], v[6:7]
	v_div_scale_f64 v[28:29], vcc, v[2:3], v[4:5], v[2:3]
	v_fma_f64 v[30:31], -v[6:7], v[26:27], 1.0
	v_fmac_f64_e32 v[26:27], v[26:27], v[30:31]
	v_fma_f64 v[30:31], -v[6:7], v[26:27], 1.0
	v_fmac_f64_e32 v[26:27], v[26:27], v[30:31]
	v_mul_f64 v[30:31], v[28:29], v[26:27]
	v_fma_f64 v[6:7], -v[6:7], v[30:31], v[28:29]
	v_div_fmas_f64 v[6:7], v[6:7], v[26:27], v[30:31]
	v_div_fixup_f64 v[2:3], v[6:7], v[4:5], v[2:3]
	ds_write_b64 v16, v[2:3] offset:32
	s_waitcnt lgkmcnt(0)
	ds_read_b64 v[4:5], v21 offset:32
	ds_read_b64 v[6:7], v9
	s_waitcnt lgkmcnt(0)
	v_fmac_f64_e32 v[6:7], v[2:3], v[4:5]
	ds_write_b64 v9, v[6:7]
	s_waitcnt lgkmcnt(0)
	ds_read_b64 v[4:5], v23 offset:400
	ds_read_b64 v[2:3], v16 offset:40
	s_waitcnt lgkmcnt(1)
	v_cmp_neq_f64_e32 vcc, 0, v[4:5]
	s_or_b64 s[22:23], vcc, s[0:1]
	v_cndmask_b32_e32 v5, v24, v5, vcc
	s_xor_b64 s[24:25], s[22:23], -1
	v_cndmask_b32_e32 v4, 0, v4, vcc
	s_and_saveexec_b64 s[22:23], s[24:25]
	s_cbranch_execz .LBB28_68
; %bb.65:                               ;   in Loop: Header=BB28_22 Depth=1
	v_mbcnt_lo_u32_b32 v4, exec_lo, 0
	v_mbcnt_hi_u32_b32 v4, exec_hi, v4
	v_cmp_eq_u32_e32 vcc, 0, v4
	s_and_saveexec_b64 s[24:25], vcc
	s_cbranch_execz .LBB28_67
; %bb.66:                               ;   in Loop: Header=BB28_22 Depth=1
	v_mov_b32_e32 v4, s21
	global_atomic_smin v23, v4, s[14:15]
.LBB28_67:                              ;   in Loop: Header=BB28_22 Depth=1
	s_or_b64 exec, exec, s[24:25]
	v_mov_b32_e32 v4, 0
	v_mov_b32_e32 v5, 0x3ff00000
.LBB28_68:                              ;   in Loop: Header=BB28_22 Depth=1
	s_or_b64 exec, exec, s[22:23]
	ds_read2_b64 v[26:29], v23 offset0:45 offset1:46
	ds_read2_b64 v[30:33], v16 offset1:1
	ds_read_b64 v[6:7], v19 offset:40
	ds_read2_b64 v[34:37], v23 offset0:47 offset1:48
	ds_read2_b64 v[38:41], v16 offset0:2 offset1:3
	ds_read_b64 v[42:43], v16 offset:32
	ds_read_b64 v[44:45], v23 offset:392
	s_waitcnt lgkmcnt(4)
	v_fmac_f64_e32 v[6:7], v[26:27], v[30:31]
	v_fmac_f64_e32 v[6:7], v[28:29], v[32:33]
	s_waitcnt lgkmcnt(2)
	v_fmac_f64_e32 v[6:7], v[34:35], v[38:39]
	v_fmac_f64_e32 v[6:7], v[36:37], v[40:41]
	s_waitcnt lgkmcnt(0)
	v_fmac_f64_e32 v[6:7], v[44:45], v[42:43]
	v_add_f64 v[2:3], v[2:3], -v[6:7]
	v_div_scale_f64 v[6:7], s[22:23], v[4:5], v[4:5], v[2:3]
	v_rcp_f64_e32 v[26:27], v[6:7]
	v_fma_f64 v[28:29], -v[6:7], v[26:27], 1.0
	v_fmac_f64_e32 v[26:27], v[26:27], v[28:29]
	v_fma_f64 v[28:29], -v[6:7], v[26:27], 1.0
	v_fmac_f64_e32 v[26:27], v[26:27], v[28:29]
	v_div_scale_f64 v[28:29], vcc, v[2:3], v[4:5], v[2:3]
	v_mul_f64 v[30:31], v[28:29], v[26:27]
	v_fma_f64 v[6:7], -v[6:7], v[30:31], v[28:29]
	s_nop 1
	v_div_fmas_f64 v[6:7], v[6:7], v[26:27], v[30:31]
	v_div_fixup_f64 v[2:3], v[6:7], v[4:5], v[2:3]
	ds_write_b64 v16, v[2:3] offset:40
	s_waitcnt lgkmcnt(0)
	ds_read_b64 v[4:5], v21 offset:40
	ds_read_b64 v[6:7], v9
	s_waitcnt lgkmcnt(0)
	v_fmac_f64_e32 v[6:7], v[2:3], v[4:5]
	ds_write_b64 v9, v[6:7]
	s_waitcnt lgkmcnt(0)
	ds_read_b64 v[4:5], v23 offset:480
	ds_read_b64 v[2:3], v16 offset:48
	s_waitcnt lgkmcnt(1)
	v_cmp_neq_f64_e32 vcc, 0, v[4:5]
	s_or_b64 s[22:23], vcc, s[0:1]
	v_cndmask_b32_e32 v5, v24, v5, vcc
	s_xor_b64 s[24:25], s[22:23], -1
	v_cndmask_b32_e32 v4, 0, v4, vcc
	s_and_saveexec_b64 s[22:23], s[24:25]
	s_cbranch_execz .LBB28_72
; %bb.69:                               ;   in Loop: Header=BB28_22 Depth=1
	v_mbcnt_lo_u32_b32 v4, exec_lo, 0
	v_mbcnt_hi_u32_b32 v4, exec_hi, v4
	v_cmp_eq_u32_e32 vcc, 0, v4
	s_and_saveexec_b64 s[24:25], vcc
	s_cbranch_execz .LBB28_71
; %bb.70:                               ;   in Loop: Header=BB28_22 Depth=1
	v_mov_b32_e32 v4, s21
	global_atomic_smin v23, v4, s[14:15]
.LBB28_71:                              ;   in Loop: Header=BB28_22 Depth=1
	s_or_b64 exec, exec, s[24:25]
	v_mov_b32_e32 v4, 0
	v_mov_b32_e32 v5, 0x3ff00000
.LBB28_72:                              ;   in Loop: Header=BB28_22 Depth=1
	s_or_b64 exec, exec, s[22:23]
	ds_read2_b64 v[26:29], v16 offset1:1
	ds_read_b64 v[6:7], v19 offset:48
	ds_read_b128 v[30:33], v23 offset:432
	ds_read2_b64 v[34:37], v16 offset0:2 offset1:3
	ds_read_b128 v[38:41], v23 offset:448
	ds_read2_b64 v[42:45], v16 offset0:4 offset1:5
	ds_read_b128 v[46:49], v23 offset:464
	s_waitcnt lgkmcnt(4)
	v_fmac_f64_e32 v[6:7], v[30:31], v[26:27]
	v_fmac_f64_e32 v[6:7], v[32:33], v[28:29]
	s_waitcnt lgkmcnt(2)
	v_fmac_f64_e32 v[6:7], v[38:39], v[34:35]
	v_fmac_f64_e32 v[6:7], v[40:41], v[36:37]
	;; [unrolled: 3-line block ×3, first 2 shown]
	v_add_f64 v[2:3], v[2:3], -v[6:7]
	v_div_scale_f64 v[6:7], s[22:23], v[4:5], v[4:5], v[2:3]
	v_rcp_f64_e32 v[26:27], v[6:7]
	v_fma_f64 v[28:29], -v[6:7], v[26:27], 1.0
	v_fmac_f64_e32 v[26:27], v[26:27], v[28:29]
	v_fma_f64 v[28:29], -v[6:7], v[26:27], 1.0
	v_fmac_f64_e32 v[26:27], v[26:27], v[28:29]
	v_div_scale_f64 v[28:29], vcc, v[2:3], v[4:5], v[2:3]
	v_mul_f64 v[30:31], v[28:29], v[26:27]
	v_fma_f64 v[6:7], -v[6:7], v[30:31], v[28:29]
	s_nop 1
	v_div_fmas_f64 v[6:7], v[6:7], v[26:27], v[30:31]
	v_div_fixup_f64 v[2:3], v[6:7], v[4:5], v[2:3]
	ds_write_b64 v16, v[2:3] offset:48
	s_waitcnt lgkmcnt(0)
	ds_read_b64 v[4:5], v21 offset:48
	ds_read_b64 v[6:7], v9
	s_waitcnt lgkmcnt(0)
	v_fmac_f64_e32 v[6:7], v[2:3], v[4:5]
	ds_write_b64 v9, v[6:7]
	s_waitcnt lgkmcnt(0)
	ds_read_b64 v[4:5], v23 offset:560
	ds_read_b64 v[2:3], v16 offset:56
	s_waitcnt lgkmcnt(1)
	v_cmp_neq_f64_e32 vcc, 0, v[4:5]
	s_or_b64 s[22:23], vcc, s[0:1]
	v_cndmask_b32_e32 v5, v24, v5, vcc
	s_xor_b64 s[24:25], s[22:23], -1
	v_cndmask_b32_e32 v4, 0, v4, vcc
	s_and_saveexec_b64 s[22:23], s[24:25]
	s_cbranch_execz .LBB28_20
; %bb.73:                               ;   in Loop: Header=BB28_22 Depth=1
	v_mbcnt_lo_u32_b32 v4, exec_lo, 0
	v_mbcnt_hi_u32_b32 v4, exec_hi, v4
	v_cmp_eq_u32_e32 vcc, 0, v4
	s_and_saveexec_b64 s[24:25], vcc
	s_cbranch_execz .LBB28_19
; %bb.74:                               ;   in Loop: Header=BB28_22 Depth=1
	v_mov_b32_e32 v4, s21
	global_atomic_smin v23, v4, s[14:15]
	s_branch .LBB28_19
.LBB28_75:
	s_waitcnt lgkmcnt(0)
	s_cmp_eq_u32 s33, 0
	s_cselect_b64 vcc, -1, 0
	v_cndmask_b32_e32 v0, v11, v14, vcc
	v_lshl_add_u32 v0, s30, 6, v0
	v_ashrrev_i32_e32 v1, 31, v0
	v_lshlrev_b64 v[0:1], 3, v[0:1]
	v_mov_b32_e32 v2, s3
	v_add_co_u32_e32 v0, vcc, s2, v0
	v_addc_co_u32_e32 v1, vcc, v2, v1, vcc
	global_load_dwordx2 v[2:3], v[0:1], off
	s_movk_i32 s0, 0x48
	v_cmp_ne_u32_e32 vcc, 0, v13
	v_mad_u32_u24 v4, v13, s0, v10
	v_cmp_eq_u32_e64 s[0:1], 0, v13
	s_waitcnt vmcnt(0)
	ds_write_b64 v4, v[2:3] offset:1152
	s_waitcnt lgkmcnt(0)
	s_and_saveexec_b64 s[2:3], s[0:1]
	s_cbranch_execz .LBB28_77
; %bb.76:
	v_mov_b32_e32 v5, 0
	ds_read2_b64 v[14:17], v5 offset0:144 offset1:216
	s_mov_b32 s4, 0
	s_brev_b32 s5, 8
	s_waitcnt lgkmcnt(0)
	v_add_f64 v[2:3], v[14:15], -v[16:17]
	v_xor_b32_e32 v6, 0x80000000, v3
	v_cmp_gt_f64_e64 s[0:1], 0, v[2:3]
	v_cndmask_b32_e64 v3, v3, v6, s[0:1]
	v_cndmask_b32_e64 v2, v2, v2, s[0:1]
	v_cmp_gt_f64_e64 s[0:1], s[4:5], v[2:3]
	v_cndmask_b32_e64 v6, 0, 1, s[0:1]
	v_lshlrev_b32_e32 v6, 8, v6
	v_ldexp_f64 v[2:3], v[2:3], v6
	v_rsq_f64_e32 v[6:7], v[2:3]
	s_and_b64 s[0:1], s[0:1], exec
	s_cselect_b32 s0, 0xffffff80, 0
	v_mul_f64 v[10:11], v[2:3], v[6:7]
	v_mul_f64 v[6:7], v[6:7], 0.5
	v_fma_f64 v[14:15], -v[6:7], v[10:11], 0.5
	v_fmac_f64_e32 v[10:11], v[10:11], v[14:15]
	v_fmac_f64_e32 v[6:7], v[6:7], v[14:15]
	v_fma_f64 v[14:15], -v[10:11], v[10:11], v[2:3]
	v_fmac_f64_e32 v[10:11], v[14:15], v[6:7]
	v_fma_f64 v[14:15], -v[10:11], v[10:11], v[2:3]
	v_fmac_f64_e32 v[10:11], v[14:15], v[6:7]
	v_ldexp_f64 v[6:7], v[10:11], s0
	v_mov_b32_e32 v10, 0x260
	v_cmp_class_f64_e64 s[0:1], v[2:3], v10
	v_cndmask_b32_e64 v3, v7, v3, s[0:1]
	v_cndmask_b32_e64 v2, v6, v2, s[0:1]
	ds_write_b64 v5, v[2:3] offset:1152
.LBB28_77:
	s_or_b64 exec, exec, s[2:3]
	v_mov_b32_e32 v2, 0
	s_waitcnt lgkmcnt(0)
	ds_read_b64 v[2:3], v2 offset:1152
	v_cmp_ne_u32_e64 s[0:1], 0, v8
	v_mov_b32_e32 v5, 0x3ff00000
	s_add_i32 s16, s12, s13
	s_waitcnt lgkmcnt(0)
	v_cmp_neq_f64_e64 s[2:3], 0, v[2:3]
	s_or_b64 s[4:5], s[2:3], s[0:1]
	v_cndmask_b32_e64 v3, v5, v3, s[2:3]
	s_xor_b64 s[8:9], s[4:5], -1
	v_cndmask_b32_e64 v2, 0, v2, s[2:3]
	s_and_saveexec_b64 s[4:5], s[8:9]
	s_cbranch_execz .LBB28_81
; %bb.78:
	v_mbcnt_lo_u32_b32 v2, exec_lo, 0
	v_mbcnt_hi_u32_b32 v2, exec_hi, v2
	v_cmp_eq_u32_e64 s[2:3], 0, v2
	s_and_saveexec_b64 s[8:9], s[2:3]
	s_cbranch_execz .LBB28_80
; %bb.79:
	v_mov_b32_e32 v2, 0
	v_mov_b32_e32 v3, s16
	global_atomic_smin v2, v3, s[14:15]
.LBB28_80:
	s_or_b64 exec, exec, s[8:9]
	v_mov_b32_e32 v2, 0
	v_mov_b32_e32 v3, 0x3ff00000
.LBB28_81:
	s_or_b64 exec, exec, s[4:5]
	s_and_saveexec_b64 s[2:3], vcc
	s_cbranch_execz .LBB28_83
; %bb.82:
	v_mul_u32_u24_e32 v5, 0x48, v13
	ds_read2_b64 v[14:17], v5 offset0:144 offset1:216
	v_mul_u32_u24_e32 v20, 0x48, v12
	s_waitcnt lgkmcnt(0)
	v_add_f64 v[6:7], v[14:15], -v[16:17]
	v_div_scale_f64 v[10:11], s[4:5], v[2:3], v[2:3], v[6:7]
	v_rcp_f64_e32 v[14:15], v[10:11]
	v_div_scale_f64 v[16:17], vcc, v[6:7], v[2:3], v[6:7]
	v_fma_f64 v[18:19], -v[10:11], v[14:15], 1.0
	v_fmac_f64_e32 v[14:15], v[14:15], v[18:19]
	v_fma_f64 v[18:19], -v[10:11], v[14:15], 1.0
	v_fmac_f64_e32 v[14:15], v[14:15], v[18:19]
	v_mul_f64 v[18:19], v[16:17], v[14:15]
	v_fma_f64 v[10:11], -v[10:11], v[18:19], v[16:17]
	v_div_fmas_f64 v[10:11], v[10:11], v[14:15], v[18:19]
	v_div_fixup_f64 v[2:3], v[10:11], v[2:3], v[6:7]
	ds_write_b64 v5, v[2:3] offset:1152
	s_waitcnt lgkmcnt(0)
	ds_read_b64 v[6:7], v20 offset:1152
	ds_read_b64 v[10:11], v9
	s_waitcnt lgkmcnt(0)
	v_fmac_f64_e32 v[10:11], v[2:3], v[6:7]
	ds_write_b64 v9, v[10:11]
.LBB28_83:
	s_or_b64 exec, exec, s[2:3]
	v_cmp_eq_u32_e32 vcc, 1, v13
	s_waitcnt lgkmcnt(0)
	s_and_saveexec_b64 s[2:3], vcc
	s_cbranch_execz .LBB28_85
; %bb.84:
	v_mov_b32_e32 v5, 0
	ds_read2_b64 v[14:17], v5 offset0:154 offset1:226
	s_mov_b32 s4, 0
	s_brev_b32 s5, 8
	s_waitcnt lgkmcnt(0)
	v_add_f64 v[2:3], v[14:15], -v[16:17]
	v_xor_b32_e32 v6, 0x80000000, v3
	v_cmp_gt_f64_e32 vcc, 0, v[2:3]
	v_cndmask_b32_e32 v3, v3, v6, vcc
	v_cndmask_b32_e32 v2, v2, v2, vcc
	v_cmp_gt_f64_e32 vcc, s[4:5], v[2:3]
	v_cndmask_b32_e64 v6, 0, 1, vcc
	v_lshlrev_b32_e32 v6, 8, v6
	v_ldexp_f64 v[2:3], v[2:3], v6
	v_rsq_f64_e32 v[6:7], v[2:3]
	s_and_b64 s[4:5], vcc, exec
	s_cselect_b32 s4, 0xffffff80, 0
	v_mul_f64 v[10:11], v[2:3], v[6:7]
	v_mul_f64 v[6:7], v[6:7], 0.5
	v_fma_f64 v[14:15], -v[6:7], v[10:11], 0.5
	v_fmac_f64_e32 v[10:11], v[10:11], v[14:15]
	v_fmac_f64_e32 v[6:7], v[6:7], v[14:15]
	v_fma_f64 v[14:15], -v[10:11], v[10:11], v[2:3]
	v_fmac_f64_e32 v[10:11], v[14:15], v[6:7]
	v_fma_f64 v[14:15], -v[10:11], v[10:11], v[2:3]
	v_fmac_f64_e32 v[10:11], v[14:15], v[6:7]
	v_ldexp_f64 v[6:7], v[10:11], s4
	v_mov_b32_e32 v10, 0x260
	v_cmp_class_f64_e32 vcc, v[2:3], v10
	v_cndmask_b32_e32 v3, v7, v3, vcc
	v_cndmask_b32_e32 v2, v6, v2, vcc
	ds_write_b64 v5, v[2:3] offset:1232
.LBB28_85:
	s_or_b64 exec, exec, s[2:3]
	v_mov_b32_e32 v2, 0
	s_waitcnt lgkmcnt(0)
	ds_read_b64 v[2:3], v2 offset:1232
	v_mov_b32_e32 v5, 0x3ff00000
	s_waitcnt lgkmcnt(0)
	v_cmp_neq_f64_e32 vcc, 0, v[2:3]
	s_or_b64 s[2:3], vcc, s[0:1]
	v_cndmask_b32_e32 v3, v5, v3, vcc
	s_xor_b64 s[4:5], s[2:3], -1
	v_cndmask_b32_e32 v2, 0, v2, vcc
	s_and_saveexec_b64 s[2:3], s[4:5]
	s_cbranch_execz .LBB28_89
; %bb.86:
	v_mbcnt_lo_u32_b32 v2, exec_lo, 0
	v_mbcnt_hi_u32_b32 v2, exec_hi, v2
	v_cmp_eq_u32_e32 vcc, 0, v2
	s_and_saveexec_b64 s[4:5], vcc
	s_cbranch_execz .LBB28_88
; %bb.87:
	v_mov_b32_e32 v2, 0
	v_mov_b32_e32 v3, s16
	global_atomic_smin v2, v3, s[14:15]
.LBB28_88:
	s_or_b64 exec, exec, s[4:5]
	v_mov_b32_e32 v2, 0
	v_mov_b32_e32 v3, 0x3ff00000
.LBB28_89:
	s_or_b64 exec, exec, s[2:3]
	v_cmp_lt_u32_e32 vcc, 1, v13
	s_and_saveexec_b64 s[2:3], vcc
	s_cbranch_execz .LBB28_91
; %bb.90:
	v_mul_u32_u24_e32 v5, 0x48, v13
	ds_read2_b64 v[14:17], v5 offset0:145 offset1:217
	v_mul_u32_u24_e32 v20, 0x48, v12
	s_waitcnt lgkmcnt(0)
	v_add_f64 v[6:7], v[14:15], -v[16:17]
	v_div_scale_f64 v[10:11], s[4:5], v[2:3], v[2:3], v[6:7]
	v_rcp_f64_e32 v[14:15], v[10:11]
	v_div_scale_f64 v[16:17], vcc, v[6:7], v[2:3], v[6:7]
	v_fma_f64 v[18:19], -v[10:11], v[14:15], 1.0
	v_fmac_f64_e32 v[14:15], v[14:15], v[18:19]
	v_fma_f64 v[18:19], -v[10:11], v[14:15], 1.0
	v_fmac_f64_e32 v[14:15], v[14:15], v[18:19]
	v_mul_f64 v[18:19], v[16:17], v[14:15]
	v_fma_f64 v[10:11], -v[10:11], v[18:19], v[16:17]
	v_div_fmas_f64 v[10:11], v[10:11], v[14:15], v[18:19]
	v_div_fixup_f64 v[2:3], v[10:11], v[2:3], v[6:7]
	ds_write_b64 v5, v[2:3] offset:1160
	s_waitcnt lgkmcnt(0)
	ds_read_b64 v[6:7], v20 offset:1160
	ds_read_b64 v[10:11], v9
	s_waitcnt lgkmcnt(0)
	v_fmac_f64_e32 v[10:11], v[2:3], v[6:7]
	ds_write_b64 v9, v[10:11]
.LBB28_91:
	s_or_b64 exec, exec, s[2:3]
	v_cmp_eq_u32_e32 vcc, 2, v13
	s_waitcnt lgkmcnt(0)
	s_and_saveexec_b64 s[2:3], vcc
	s_cbranch_execz .LBB28_93
; %bb.92:
	v_mov_b32_e32 v5, 0
	ds_read2_b64 v[14:17], v5 offset0:164 offset1:236
	s_mov_b32 s4, 0
	s_brev_b32 s5, 8
	s_waitcnt lgkmcnt(0)
	v_add_f64 v[2:3], v[14:15], -v[16:17]
	v_xor_b32_e32 v6, 0x80000000, v3
	v_cmp_gt_f64_e32 vcc, 0, v[2:3]
	v_cndmask_b32_e32 v3, v3, v6, vcc
	v_cndmask_b32_e32 v2, v2, v2, vcc
	v_cmp_gt_f64_e32 vcc, s[4:5], v[2:3]
	v_cndmask_b32_e64 v6, 0, 1, vcc
	v_lshlrev_b32_e32 v6, 8, v6
	v_ldexp_f64 v[2:3], v[2:3], v6
	v_rsq_f64_e32 v[6:7], v[2:3]
	s_and_b64 s[4:5], vcc, exec
	s_cselect_b32 s4, 0xffffff80, 0
	v_mul_f64 v[10:11], v[2:3], v[6:7]
	v_mul_f64 v[6:7], v[6:7], 0.5
	v_fma_f64 v[14:15], -v[6:7], v[10:11], 0.5
	v_fmac_f64_e32 v[10:11], v[10:11], v[14:15]
	v_fmac_f64_e32 v[6:7], v[6:7], v[14:15]
	v_fma_f64 v[14:15], -v[10:11], v[10:11], v[2:3]
	v_fmac_f64_e32 v[10:11], v[14:15], v[6:7]
	v_fma_f64 v[14:15], -v[10:11], v[10:11], v[2:3]
	v_fmac_f64_e32 v[10:11], v[14:15], v[6:7]
	v_ldexp_f64 v[6:7], v[10:11], s4
	v_mov_b32_e32 v10, 0x260
	v_cmp_class_f64_e32 vcc, v[2:3], v10
	v_cndmask_b32_e32 v3, v7, v3, vcc
	v_cndmask_b32_e32 v2, v6, v2, vcc
	ds_write_b64 v5, v[2:3] offset:1312
.LBB28_93:
	s_or_b64 exec, exec, s[2:3]
	v_mov_b32_e32 v2, 0
	s_waitcnt lgkmcnt(0)
	ds_read_b64 v[2:3], v2 offset:1312
	v_mov_b32_e32 v5, 0x3ff00000
	s_waitcnt lgkmcnt(0)
	v_cmp_neq_f64_e32 vcc, 0, v[2:3]
	s_or_b64 s[2:3], vcc, s[0:1]
	v_cndmask_b32_e32 v3, v5, v3, vcc
	s_xor_b64 s[4:5], s[2:3], -1
	v_cndmask_b32_e32 v2, 0, v2, vcc
	s_and_saveexec_b64 s[2:3], s[4:5]
	s_cbranch_execz .LBB28_97
; %bb.94:
	v_mbcnt_lo_u32_b32 v2, exec_lo, 0
	v_mbcnt_hi_u32_b32 v2, exec_hi, v2
	v_cmp_eq_u32_e32 vcc, 0, v2
	s_and_saveexec_b64 s[4:5], vcc
	s_cbranch_execz .LBB28_96
; %bb.95:
	v_mov_b32_e32 v2, 0
	v_mov_b32_e32 v3, s16
	global_atomic_smin v2, v3, s[14:15]
.LBB28_96:
	s_or_b64 exec, exec, s[4:5]
	v_mov_b32_e32 v2, 0
	v_mov_b32_e32 v3, 0x3ff00000
.LBB28_97:
	s_or_b64 exec, exec, s[2:3]
	v_cmp_lt_u32_e32 vcc, 2, v13
	s_and_saveexec_b64 s[2:3], vcc
	s_cbranch_execz .LBB28_99
; %bb.98:
	v_mul_u32_u24_e32 v5, 0x48, v13
	ds_read2_b64 v[14:17], v5 offset0:146 offset1:218
	v_mul_u32_u24_e32 v20, 0x48, v12
	s_waitcnt lgkmcnt(0)
	v_add_f64 v[6:7], v[14:15], -v[16:17]
	v_div_scale_f64 v[10:11], s[4:5], v[2:3], v[2:3], v[6:7]
	v_rcp_f64_e32 v[14:15], v[10:11]
	v_div_scale_f64 v[16:17], vcc, v[6:7], v[2:3], v[6:7]
	v_fma_f64 v[18:19], -v[10:11], v[14:15], 1.0
	v_fmac_f64_e32 v[14:15], v[14:15], v[18:19]
	v_fma_f64 v[18:19], -v[10:11], v[14:15], 1.0
	v_fmac_f64_e32 v[14:15], v[14:15], v[18:19]
	v_mul_f64 v[18:19], v[16:17], v[14:15]
	v_fma_f64 v[10:11], -v[10:11], v[18:19], v[16:17]
	v_div_fmas_f64 v[10:11], v[10:11], v[14:15], v[18:19]
	v_div_fixup_f64 v[2:3], v[10:11], v[2:3], v[6:7]
	ds_write_b64 v5, v[2:3] offset:1168
	s_waitcnt lgkmcnt(0)
	ds_read_b64 v[6:7], v20 offset:1168
	ds_read_b64 v[10:11], v9
	s_waitcnt lgkmcnt(0)
	v_fmac_f64_e32 v[10:11], v[2:3], v[6:7]
	ds_write_b64 v9, v[10:11]
.LBB28_99:
	s_or_b64 exec, exec, s[2:3]
	v_cmp_eq_u32_e32 vcc, 3, v13
	s_waitcnt lgkmcnt(0)
	s_and_saveexec_b64 s[2:3], vcc
	s_cbranch_execz .LBB28_101
; %bb.100:
	v_mov_b32_e32 v5, 0
	ds_read2_b64 v[14:17], v5 offset0:174 offset1:246
	s_mov_b32 s4, 0
	s_brev_b32 s5, 8
	s_waitcnt lgkmcnt(0)
	v_add_f64 v[2:3], v[14:15], -v[16:17]
	v_xor_b32_e32 v6, 0x80000000, v3
	v_cmp_gt_f64_e32 vcc, 0, v[2:3]
	v_cndmask_b32_e32 v3, v3, v6, vcc
	v_cndmask_b32_e32 v2, v2, v2, vcc
	v_cmp_gt_f64_e32 vcc, s[4:5], v[2:3]
	v_cndmask_b32_e64 v6, 0, 1, vcc
	v_lshlrev_b32_e32 v6, 8, v6
	v_ldexp_f64 v[2:3], v[2:3], v6
	v_rsq_f64_e32 v[6:7], v[2:3]
	s_and_b64 s[4:5], vcc, exec
	s_cselect_b32 s4, 0xffffff80, 0
	v_mul_f64 v[10:11], v[2:3], v[6:7]
	v_mul_f64 v[6:7], v[6:7], 0.5
	v_fma_f64 v[14:15], -v[6:7], v[10:11], 0.5
	v_fmac_f64_e32 v[10:11], v[10:11], v[14:15]
	v_fmac_f64_e32 v[6:7], v[6:7], v[14:15]
	v_fma_f64 v[14:15], -v[10:11], v[10:11], v[2:3]
	v_fmac_f64_e32 v[10:11], v[14:15], v[6:7]
	v_fma_f64 v[14:15], -v[10:11], v[10:11], v[2:3]
	v_fmac_f64_e32 v[10:11], v[14:15], v[6:7]
	v_ldexp_f64 v[6:7], v[10:11], s4
	v_mov_b32_e32 v10, 0x260
	v_cmp_class_f64_e32 vcc, v[2:3], v10
	v_cndmask_b32_e32 v3, v7, v3, vcc
	v_cndmask_b32_e32 v2, v6, v2, vcc
	ds_write_b64 v5, v[2:3] offset:1392
.LBB28_101:
	s_or_b64 exec, exec, s[2:3]
	v_mov_b32_e32 v2, 0
	s_waitcnt lgkmcnt(0)
	ds_read_b64 v[2:3], v2 offset:1392
	v_mov_b32_e32 v5, 0x3ff00000
	s_waitcnt lgkmcnt(0)
	v_cmp_neq_f64_e32 vcc, 0, v[2:3]
	s_or_b64 s[2:3], vcc, s[0:1]
	v_cndmask_b32_e32 v3, v5, v3, vcc
	s_xor_b64 s[4:5], s[2:3], -1
	v_cndmask_b32_e32 v2, 0, v2, vcc
	s_and_saveexec_b64 s[2:3], s[4:5]
	s_cbranch_execz .LBB28_105
; %bb.102:
	v_mbcnt_lo_u32_b32 v2, exec_lo, 0
	v_mbcnt_hi_u32_b32 v2, exec_hi, v2
	v_cmp_eq_u32_e32 vcc, 0, v2
	s_and_saveexec_b64 s[4:5], vcc
	s_cbranch_execz .LBB28_104
; %bb.103:
	v_mov_b32_e32 v2, 0
	v_mov_b32_e32 v3, s16
	global_atomic_smin v2, v3, s[14:15]
.LBB28_104:
	s_or_b64 exec, exec, s[4:5]
	v_mov_b32_e32 v2, 0
	v_mov_b32_e32 v3, 0x3ff00000
.LBB28_105:
	s_or_b64 exec, exec, s[2:3]
	v_cmp_lt_u32_e32 vcc, 3, v13
	s_and_saveexec_b64 s[2:3], vcc
	s_cbranch_execz .LBB28_107
; %bb.106:
	v_mul_u32_u24_e32 v5, 0x48, v13
	ds_read2_b64 v[14:17], v5 offset0:147 offset1:219
	v_mul_u32_u24_e32 v20, 0x48, v12
	s_waitcnt lgkmcnt(0)
	v_add_f64 v[6:7], v[14:15], -v[16:17]
	v_div_scale_f64 v[10:11], s[4:5], v[2:3], v[2:3], v[6:7]
	v_rcp_f64_e32 v[14:15], v[10:11]
	v_div_scale_f64 v[16:17], vcc, v[6:7], v[2:3], v[6:7]
	v_fma_f64 v[18:19], -v[10:11], v[14:15], 1.0
	v_fmac_f64_e32 v[14:15], v[14:15], v[18:19]
	v_fma_f64 v[18:19], -v[10:11], v[14:15], 1.0
	v_fmac_f64_e32 v[14:15], v[14:15], v[18:19]
	v_mul_f64 v[18:19], v[16:17], v[14:15]
	v_fma_f64 v[10:11], -v[10:11], v[18:19], v[16:17]
	v_div_fmas_f64 v[10:11], v[10:11], v[14:15], v[18:19]
	v_div_fixup_f64 v[2:3], v[10:11], v[2:3], v[6:7]
	ds_write_b64 v5, v[2:3] offset:1176
	s_waitcnt lgkmcnt(0)
	ds_read_b64 v[6:7], v20 offset:1176
	ds_read_b64 v[10:11], v9
	s_waitcnt lgkmcnt(0)
	v_fmac_f64_e32 v[10:11], v[2:3], v[6:7]
	ds_write_b64 v9, v[10:11]
.LBB28_107:
	s_or_b64 exec, exec, s[2:3]
	v_cmp_eq_u32_e32 vcc, 4, v13
	s_waitcnt lgkmcnt(0)
	s_and_saveexec_b64 s[2:3], vcc
	s_cbranch_execz .LBB28_109
; %bb.108:
	s_movk_i32 s4, 0x400
	v_add_u32_e64 v2, s4, 0
	ds_read2_b64 v[14:17], v2 offset0:56 offset1:128
	s_mov_b32 s4, 0
	s_brev_b32 s5, 8
	s_waitcnt lgkmcnt(0)
	v_add_f64 v[2:3], v[14:15], -v[16:17]
	v_xor_b32_e32 v5, 0x80000000, v3
	v_cmp_gt_f64_e32 vcc, 0, v[2:3]
	v_cndmask_b32_e32 v3, v3, v5, vcc
	v_cndmask_b32_e32 v2, v2, v2, vcc
	v_cmp_gt_f64_e32 vcc, s[4:5], v[2:3]
	v_cndmask_b32_e64 v5, 0, 1, vcc
	v_lshlrev_b32_e32 v5, 8, v5
	v_ldexp_f64 v[2:3], v[2:3], v5
	v_rsq_f64_e32 v[6:7], v[2:3]
	s_and_b64 s[4:5], vcc, exec
	s_cselect_b32 s4, 0xffffff80, 0
	v_mov_b32_e32 v5, 0
	v_mul_f64 v[10:11], v[2:3], v[6:7]
	v_mul_f64 v[6:7], v[6:7], 0.5
	v_fma_f64 v[14:15], -v[6:7], v[10:11], 0.5
	v_fmac_f64_e32 v[10:11], v[10:11], v[14:15]
	v_fma_f64 v[16:17], -v[10:11], v[10:11], v[2:3]
	v_fmac_f64_e32 v[6:7], v[6:7], v[14:15]
	v_fmac_f64_e32 v[10:11], v[16:17], v[6:7]
	v_fma_f64 v[14:15], -v[10:11], v[10:11], v[2:3]
	v_fmac_f64_e32 v[10:11], v[14:15], v[6:7]
	v_ldexp_f64 v[6:7], v[10:11], s4
	v_mov_b32_e32 v10, 0x260
	v_cmp_class_f64_e32 vcc, v[2:3], v10
	v_cndmask_b32_e32 v3, v7, v3, vcc
	v_cndmask_b32_e32 v2, v6, v2, vcc
	ds_write_b64 v5, v[2:3] offset:1472
.LBB28_109:
	s_or_b64 exec, exec, s[2:3]
	v_mov_b32_e32 v2, 0
	s_waitcnt lgkmcnt(0)
	ds_read_b64 v[2:3], v2 offset:1472
	v_mov_b32_e32 v5, 0x3ff00000
	s_waitcnt lgkmcnt(0)
	v_cmp_neq_f64_e32 vcc, 0, v[2:3]
	s_or_b64 s[2:3], vcc, s[0:1]
	v_cndmask_b32_e32 v3, v5, v3, vcc
	s_xor_b64 s[4:5], s[2:3], -1
	v_cndmask_b32_e32 v2, 0, v2, vcc
	s_and_saveexec_b64 s[2:3], s[4:5]
	s_cbranch_execz .LBB28_113
; %bb.110:
	v_mbcnt_lo_u32_b32 v2, exec_lo, 0
	v_mbcnt_hi_u32_b32 v2, exec_hi, v2
	v_cmp_eq_u32_e32 vcc, 0, v2
	s_and_saveexec_b64 s[4:5], vcc
	s_cbranch_execz .LBB28_112
; %bb.111:
	v_mov_b32_e32 v2, 0
	v_mov_b32_e32 v3, s16
	global_atomic_smin v2, v3, s[14:15]
.LBB28_112:
	s_or_b64 exec, exec, s[4:5]
	v_mov_b32_e32 v2, 0
	v_mov_b32_e32 v3, 0x3ff00000
.LBB28_113:
	s_or_b64 exec, exec, s[2:3]
	v_cmp_lt_u32_e32 vcc, 4, v13
	s_and_saveexec_b64 s[2:3], vcc
	s_cbranch_execz .LBB28_115
; %bb.114:
	v_mul_u32_u24_e32 v5, 0x48, v13
	ds_read2_b64 v[14:17], v5 offset0:148 offset1:220
	v_mul_u32_u24_e32 v20, 0x48, v12
	s_waitcnt lgkmcnt(0)
	v_add_f64 v[6:7], v[14:15], -v[16:17]
	v_div_scale_f64 v[10:11], s[4:5], v[2:3], v[2:3], v[6:7]
	v_rcp_f64_e32 v[14:15], v[10:11]
	v_div_scale_f64 v[16:17], vcc, v[6:7], v[2:3], v[6:7]
	v_fma_f64 v[18:19], -v[10:11], v[14:15], 1.0
	v_fmac_f64_e32 v[14:15], v[14:15], v[18:19]
	v_fma_f64 v[18:19], -v[10:11], v[14:15], 1.0
	v_fmac_f64_e32 v[14:15], v[14:15], v[18:19]
	v_mul_f64 v[18:19], v[16:17], v[14:15]
	v_fma_f64 v[10:11], -v[10:11], v[18:19], v[16:17]
	v_div_fmas_f64 v[10:11], v[10:11], v[14:15], v[18:19]
	v_div_fixup_f64 v[2:3], v[10:11], v[2:3], v[6:7]
	ds_write_b64 v5, v[2:3] offset:1184
	s_waitcnt lgkmcnt(0)
	ds_read_b64 v[6:7], v20 offset:1184
	ds_read_b64 v[10:11], v9
	s_waitcnt lgkmcnt(0)
	v_fmac_f64_e32 v[10:11], v[2:3], v[6:7]
	ds_write_b64 v9, v[10:11]
.LBB28_115:
	s_or_b64 exec, exec, s[2:3]
	v_cmp_eq_u32_e32 vcc, 5, v13
	s_waitcnt lgkmcnt(0)
	s_and_saveexec_b64 s[2:3], vcc
	s_cbranch_execz .LBB28_117
; %bb.116:
	s_movk_i32 s4, 0x400
	v_add_u32_e64 v2, s4, 0
	ds_read2_b64 v[14:17], v2 offset0:66 offset1:138
	s_mov_b32 s4, 0
	s_brev_b32 s5, 8
	s_waitcnt lgkmcnt(0)
	v_add_f64 v[2:3], v[14:15], -v[16:17]
	v_xor_b32_e32 v5, 0x80000000, v3
	v_cmp_gt_f64_e32 vcc, 0, v[2:3]
	v_cndmask_b32_e32 v3, v3, v5, vcc
	v_cndmask_b32_e32 v2, v2, v2, vcc
	v_cmp_gt_f64_e32 vcc, s[4:5], v[2:3]
	v_cndmask_b32_e64 v5, 0, 1, vcc
	v_lshlrev_b32_e32 v5, 8, v5
	v_ldexp_f64 v[2:3], v[2:3], v5
	v_rsq_f64_e32 v[6:7], v[2:3]
	s_and_b64 s[4:5], vcc, exec
	s_cselect_b32 s4, 0xffffff80, 0
	v_mov_b32_e32 v5, 0
	v_mul_f64 v[10:11], v[2:3], v[6:7]
	v_mul_f64 v[6:7], v[6:7], 0.5
	v_fma_f64 v[14:15], -v[6:7], v[10:11], 0.5
	v_fmac_f64_e32 v[10:11], v[10:11], v[14:15]
	v_fma_f64 v[16:17], -v[10:11], v[10:11], v[2:3]
	v_fmac_f64_e32 v[6:7], v[6:7], v[14:15]
	v_fmac_f64_e32 v[10:11], v[16:17], v[6:7]
	v_fma_f64 v[14:15], -v[10:11], v[10:11], v[2:3]
	v_fmac_f64_e32 v[10:11], v[14:15], v[6:7]
	v_ldexp_f64 v[6:7], v[10:11], s4
	v_mov_b32_e32 v10, 0x260
	v_cmp_class_f64_e32 vcc, v[2:3], v10
	v_cndmask_b32_e32 v3, v7, v3, vcc
	v_cndmask_b32_e32 v2, v6, v2, vcc
	ds_write_b64 v5, v[2:3] offset:1552
.LBB28_117:
	s_or_b64 exec, exec, s[2:3]
	v_mov_b32_e32 v2, 0
	s_waitcnt lgkmcnt(0)
	ds_read_b64 v[2:3], v2 offset:1552
	v_mov_b32_e32 v5, 0x3ff00000
	s_waitcnt lgkmcnt(0)
	v_cmp_neq_f64_e32 vcc, 0, v[2:3]
	s_or_b64 s[2:3], vcc, s[0:1]
	v_cndmask_b32_e32 v3, v5, v3, vcc
	s_xor_b64 s[4:5], s[2:3], -1
	v_cndmask_b32_e32 v2, 0, v2, vcc
	s_and_saveexec_b64 s[2:3], s[4:5]
	s_cbranch_execz .LBB28_121
; %bb.118:
	v_mbcnt_lo_u32_b32 v2, exec_lo, 0
	v_mbcnt_hi_u32_b32 v2, exec_hi, v2
	v_cmp_eq_u32_e32 vcc, 0, v2
	s_and_saveexec_b64 s[4:5], vcc
	s_cbranch_execz .LBB28_120
; %bb.119:
	v_mov_b32_e32 v2, 0
	v_mov_b32_e32 v3, s16
	global_atomic_smin v2, v3, s[14:15]
.LBB28_120:
	s_or_b64 exec, exec, s[4:5]
	v_mov_b32_e32 v2, 0
	v_mov_b32_e32 v3, 0x3ff00000
.LBB28_121:
	s_or_b64 exec, exec, s[2:3]
	v_cmp_lt_u32_e32 vcc, 5, v13
	s_and_saveexec_b64 s[2:3], vcc
	s_cbranch_execz .LBB28_123
; %bb.122:
	v_mul_u32_u24_e32 v5, 0x48, v13
	ds_read2_b64 v[14:17], v5 offset0:149 offset1:221
	v_mul_u32_u24_e32 v20, 0x48, v12
	s_waitcnt lgkmcnt(0)
	v_add_f64 v[6:7], v[14:15], -v[16:17]
	v_div_scale_f64 v[10:11], s[4:5], v[2:3], v[2:3], v[6:7]
	v_rcp_f64_e32 v[14:15], v[10:11]
	v_div_scale_f64 v[16:17], vcc, v[6:7], v[2:3], v[6:7]
	v_fma_f64 v[18:19], -v[10:11], v[14:15], 1.0
	v_fmac_f64_e32 v[14:15], v[14:15], v[18:19]
	v_fma_f64 v[18:19], -v[10:11], v[14:15], 1.0
	v_fmac_f64_e32 v[14:15], v[14:15], v[18:19]
	v_mul_f64 v[18:19], v[16:17], v[14:15]
	v_fma_f64 v[10:11], -v[10:11], v[18:19], v[16:17]
	v_div_fmas_f64 v[10:11], v[10:11], v[14:15], v[18:19]
	v_div_fixup_f64 v[2:3], v[10:11], v[2:3], v[6:7]
	ds_write_b64 v5, v[2:3] offset:1192
	s_waitcnt lgkmcnt(0)
	ds_read_b64 v[6:7], v20 offset:1192
	ds_read_b64 v[10:11], v9
	s_waitcnt lgkmcnt(0)
	v_fmac_f64_e32 v[10:11], v[2:3], v[6:7]
	ds_write_b64 v9, v[10:11]
.LBB28_123:
	s_or_b64 exec, exec, s[2:3]
	v_cmp_eq_u32_e32 vcc, 6, v13
	s_waitcnt lgkmcnt(0)
	s_and_saveexec_b64 s[2:3], vcc
	s_cbranch_execz .LBB28_125
; %bb.124:
	s_movk_i32 s4, 0x400
	v_add_u32_e64 v2, s4, 0
	ds_read2_b64 v[14:17], v2 offset0:76 offset1:148
	s_mov_b32 s4, 0
	s_brev_b32 s5, 8
	s_waitcnt lgkmcnt(0)
	v_add_f64 v[2:3], v[14:15], -v[16:17]
	v_xor_b32_e32 v5, 0x80000000, v3
	v_cmp_gt_f64_e32 vcc, 0, v[2:3]
	v_cndmask_b32_e32 v3, v3, v5, vcc
	v_cndmask_b32_e32 v2, v2, v2, vcc
	v_cmp_gt_f64_e32 vcc, s[4:5], v[2:3]
	v_cndmask_b32_e64 v5, 0, 1, vcc
	v_lshlrev_b32_e32 v5, 8, v5
	v_ldexp_f64 v[2:3], v[2:3], v5
	v_rsq_f64_e32 v[6:7], v[2:3]
	s_and_b64 s[4:5], vcc, exec
	s_cselect_b32 s4, 0xffffff80, 0
	v_mov_b32_e32 v5, 0
	v_mul_f64 v[10:11], v[2:3], v[6:7]
	v_mul_f64 v[6:7], v[6:7], 0.5
	v_fma_f64 v[14:15], -v[6:7], v[10:11], 0.5
	v_fmac_f64_e32 v[10:11], v[10:11], v[14:15]
	v_fma_f64 v[16:17], -v[10:11], v[10:11], v[2:3]
	v_fmac_f64_e32 v[6:7], v[6:7], v[14:15]
	v_fmac_f64_e32 v[10:11], v[16:17], v[6:7]
	v_fma_f64 v[14:15], -v[10:11], v[10:11], v[2:3]
	v_fmac_f64_e32 v[10:11], v[14:15], v[6:7]
	v_ldexp_f64 v[6:7], v[10:11], s4
	v_mov_b32_e32 v10, 0x260
	v_cmp_class_f64_e32 vcc, v[2:3], v10
	v_cndmask_b32_e32 v3, v7, v3, vcc
	v_cndmask_b32_e32 v2, v6, v2, vcc
	ds_write_b64 v5, v[2:3] offset:1632
.LBB28_125:
	s_or_b64 exec, exec, s[2:3]
	v_mov_b32_e32 v2, 0
	s_waitcnt lgkmcnt(0)
	ds_read_b64 v[2:3], v2 offset:1632
	v_mov_b32_e32 v5, 0x3ff00000
	s_waitcnt lgkmcnt(0)
	v_cmp_neq_f64_e32 vcc, 0, v[2:3]
	s_or_b64 s[2:3], vcc, s[0:1]
	v_cndmask_b32_e32 v3, v5, v3, vcc
	s_xor_b64 s[4:5], s[2:3], -1
	v_cndmask_b32_e32 v2, 0, v2, vcc
	s_and_saveexec_b64 s[2:3], s[4:5]
	s_cbranch_execz .LBB28_129
; %bb.126:
	v_mbcnt_lo_u32_b32 v2, exec_lo, 0
	v_mbcnt_hi_u32_b32 v2, exec_hi, v2
	v_cmp_eq_u32_e32 vcc, 0, v2
	s_and_saveexec_b64 s[4:5], vcc
	s_cbranch_execz .LBB28_128
; %bb.127:
	v_mov_b32_e32 v2, 0
	v_mov_b32_e32 v3, s16
	global_atomic_smin v2, v3, s[14:15]
.LBB28_128:
	s_or_b64 exec, exec, s[4:5]
	v_mov_b32_e32 v2, 0
	v_mov_b32_e32 v3, 0x3ff00000
.LBB28_129:
	s_or_b64 exec, exec, s[2:3]
	v_cmp_lt_u32_e32 vcc, 6, v13
	s_and_saveexec_b64 s[2:3], vcc
	s_cbranch_execz .LBB28_131
; %bb.130:
	v_mul_u32_u24_e32 v5, 0x48, v13
	ds_read2_b64 v[14:17], v5 offset0:150 offset1:222
	v_mul_u32_u24_e32 v20, 0x48, v12
	s_waitcnt lgkmcnt(0)
	v_add_f64 v[6:7], v[14:15], -v[16:17]
	v_div_scale_f64 v[10:11], s[4:5], v[2:3], v[2:3], v[6:7]
	v_rcp_f64_e32 v[14:15], v[10:11]
	v_div_scale_f64 v[16:17], vcc, v[6:7], v[2:3], v[6:7]
	v_fma_f64 v[18:19], -v[10:11], v[14:15], 1.0
	v_fmac_f64_e32 v[14:15], v[14:15], v[18:19]
	v_fma_f64 v[18:19], -v[10:11], v[14:15], 1.0
	v_fmac_f64_e32 v[14:15], v[14:15], v[18:19]
	v_mul_f64 v[18:19], v[16:17], v[14:15]
	v_fma_f64 v[10:11], -v[10:11], v[18:19], v[16:17]
	v_div_fmas_f64 v[10:11], v[10:11], v[14:15], v[18:19]
	v_div_fixup_f64 v[2:3], v[10:11], v[2:3], v[6:7]
	ds_write_b64 v5, v[2:3] offset:1200
	s_waitcnt lgkmcnt(0)
	ds_read_b64 v[6:7], v20 offset:1200
	ds_read_b64 v[10:11], v9
	s_waitcnt lgkmcnt(0)
	v_fmac_f64_e32 v[10:11], v[2:3], v[6:7]
	ds_write_b64 v9, v[10:11]
.LBB28_131:
	s_or_b64 exec, exec, s[2:3]
	v_cmp_eq_u32_e32 vcc, 7, v13
	s_waitcnt lgkmcnt(0)
	s_and_saveexec_b64 s[2:3], vcc
	s_cbranch_execz .LBB28_133
; %bb.132:
	s_movk_i32 s4, 0x400
	v_add_u32_e64 v2, s4, 0
	ds_read2_b64 v[14:17], v2 offset0:86 offset1:158
	s_mov_b32 s4, 0
	s_brev_b32 s5, 8
	s_waitcnt lgkmcnt(0)
	v_add_f64 v[2:3], v[14:15], -v[16:17]
	v_xor_b32_e32 v5, 0x80000000, v3
	v_cmp_gt_f64_e32 vcc, 0, v[2:3]
	v_cndmask_b32_e32 v3, v3, v5, vcc
	v_cndmask_b32_e32 v2, v2, v2, vcc
	v_cmp_gt_f64_e32 vcc, s[4:5], v[2:3]
	v_cndmask_b32_e64 v5, 0, 1, vcc
	v_lshlrev_b32_e32 v5, 8, v5
	v_ldexp_f64 v[2:3], v[2:3], v5
	v_rsq_f64_e32 v[6:7], v[2:3]
	s_and_b64 s[4:5], vcc, exec
	s_cselect_b32 s4, 0xffffff80, 0
	v_mov_b32_e32 v5, 0
	v_mul_f64 v[10:11], v[2:3], v[6:7]
	v_mul_f64 v[6:7], v[6:7], 0.5
	v_fma_f64 v[14:15], -v[6:7], v[10:11], 0.5
	v_fmac_f64_e32 v[10:11], v[10:11], v[14:15]
	v_fma_f64 v[16:17], -v[10:11], v[10:11], v[2:3]
	v_fmac_f64_e32 v[6:7], v[6:7], v[14:15]
	v_fmac_f64_e32 v[10:11], v[16:17], v[6:7]
	v_fma_f64 v[14:15], -v[10:11], v[10:11], v[2:3]
	v_fmac_f64_e32 v[10:11], v[14:15], v[6:7]
	v_ldexp_f64 v[6:7], v[10:11], s4
	v_mov_b32_e32 v10, 0x260
	v_cmp_class_f64_e32 vcc, v[2:3], v10
	v_cndmask_b32_e32 v3, v7, v3, vcc
	v_cndmask_b32_e32 v2, v6, v2, vcc
	ds_write_b64 v5, v[2:3] offset:1712
.LBB28_133:
	s_or_b64 exec, exec, s[2:3]
	v_mov_b32_e32 v2, 0
	s_waitcnt lgkmcnt(0)
	ds_read_b64 v[2:3], v2 offset:1712
	v_mov_b32_e32 v5, 0x3ff00000
	s_waitcnt lgkmcnt(0)
	v_cmp_neq_f64_e32 vcc, 0, v[2:3]
	s_or_b64 s[0:1], vcc, s[0:1]
	v_cndmask_b32_e32 v3, v5, v3, vcc
	s_xor_b64 s[2:3], s[0:1], -1
	v_cndmask_b32_e32 v2, 0, v2, vcc
	s_and_saveexec_b64 s[0:1], s[2:3]
	s_cbranch_execz .LBB28_137
; %bb.134:
	v_mbcnt_lo_u32_b32 v2, exec_lo, 0
	v_mbcnt_hi_u32_b32 v2, exec_hi, v2
	v_cmp_eq_u32_e32 vcc, 0, v2
	s_and_saveexec_b64 s[2:3], vcc
	s_cbranch_execz .LBB28_136
; %bb.135:
	v_mov_b32_e32 v2, 0
	v_mov_b32_e32 v3, s16
	global_atomic_smin v2, v3, s[14:15]
.LBB28_136:
	s_or_b64 exec, exec, s[2:3]
	v_mov_b32_e32 v2, 0
	v_mov_b32_e32 v3, 0x3ff00000
.LBB28_137:
	s_or_b64 exec, exec, s[0:1]
	v_add_u32_e32 v4, 0x480, v4
	v_cmp_lt_u32_e32 vcc, 7, v13
	s_and_saveexec_b64 s[0:1], vcc
	s_cbranch_execz .LBB28_139
; %bb.138:
	v_mul_u32_u24_e32 v5, 0x48, v13
	ds_read2_b64 v[14:17], v5 offset0:151 offset1:223
	v_mul_u32_u24_e32 v20, 0x48, v12
	s_waitcnt lgkmcnt(0)
	v_add_f64 v[6:7], v[14:15], -v[16:17]
	v_div_scale_f64 v[10:11], s[2:3], v[2:3], v[2:3], v[6:7]
	v_rcp_f64_e32 v[14:15], v[10:11]
	v_div_scale_f64 v[16:17], vcc, v[6:7], v[2:3], v[6:7]
	v_fma_f64 v[18:19], -v[10:11], v[14:15], 1.0
	v_fmac_f64_e32 v[14:15], v[14:15], v[18:19]
	v_fma_f64 v[18:19], -v[10:11], v[14:15], 1.0
	v_fmac_f64_e32 v[14:15], v[14:15], v[18:19]
	v_mul_f64 v[18:19], v[16:17], v[14:15]
	v_fma_f64 v[10:11], -v[10:11], v[18:19], v[16:17]
	v_div_fmas_f64 v[10:11], v[10:11], v[14:15], v[18:19]
	v_div_fixup_f64 v[2:3], v[10:11], v[2:3], v[6:7]
	ds_write_b64 v5, v[2:3] offset:1208
	s_waitcnt lgkmcnt(0)
	ds_read_b64 v[6:7], v20 offset:1208
	ds_read_b64 v[10:11], v9
	s_waitcnt lgkmcnt(0)
	v_fmac_f64_e32 v[10:11], v[2:3], v[6:7]
	ds_write_b64 v9, v[10:11]
.LBB28_139:
	s_or_b64 exec, exec, s[0:1]
	s_waitcnt lgkmcnt(0)
	ds_read_b64 v[2:3], v4
	v_cmp_eq_u32_e64 s[0:1], 0, v8
	s_waitcnt lgkmcnt(0)
	global_store_dwordx2 v[0:1], v[2:3], off
	s_branch .LBB28_145
.LBB28_140:
	v_or_b32_e32 v0, v12, v13
	v_cmp_eq_u32_e32 vcc, 0, v0
	s_and_saveexec_b64 s[2:3], vcc
	s_cbranch_execz .LBB28_144
; %bb.141:
	v_mbcnt_lo_u32_b32 v0, exec_lo, 0
	v_mbcnt_hi_u32_b32 v0, exec_hi, v0
	v_cmp_eq_u32_e32 vcc, 0, v0
	s_and_saveexec_b64 s[4:5], vcc
	s_cbranch_execz .LBB28_143
; %bb.142:
	s_add_i32 s8, s12, s13
	v_mov_b32_e32 v0, 0
	v_mov_b32_e32 v1, s8
	global_atomic_smin v0, v1, s[14:15]
.LBB28_143:
	s_or_b64 exec, exec, s[4:5]
	s_or_b64 s[0:1], s[0:1], exec
.LBB28_144:
	s_or_b64 exec, exec, s[2:3]
.LBB28_145:
	s_and_saveexec_b64 s[2:3], s[0:1]
	s_cbranch_execnz .LBB28_147
; %bb.146:
	s_endpgm
.LBB28_147:
	s_add_u32 s0, s10, s6
	s_addc_u32 s1, s11, s7
	v_mov_b32_e32 v0, 0
	v_mov_b32_e32 v1, 1
	s_waitcnt vmcnt(0)
	global_store_dword v0, v1, s[0:1]
	s_endpgm
	.section	.rodata,"a",@progbits
	.p2align	6, 0x0
	.amdhsa_kernel _ZN9rocsparseL26bsric0_2_8_unrolled_kernelILi64ELi32ELi8EdEEv20rocsparse_direction_iiPKiS3_PT2_S3_PiS3_S6_21rocsparse_index_base_
		.amdhsa_group_segment_fixed_size 2688
		.amdhsa_private_segment_fixed_size 0
		.amdhsa_kernarg_size 76
		.amdhsa_user_sgpr_count 6
		.amdhsa_user_sgpr_private_segment_buffer 1
		.amdhsa_user_sgpr_dispatch_ptr 0
		.amdhsa_user_sgpr_queue_ptr 0
		.amdhsa_user_sgpr_kernarg_segment_ptr 1
		.amdhsa_user_sgpr_dispatch_id 0
		.amdhsa_user_sgpr_flat_scratch_init 0
		.amdhsa_user_sgpr_kernarg_preload_length 0
		.amdhsa_user_sgpr_kernarg_preload_offset 0
		.amdhsa_user_sgpr_private_segment_size 0
		.amdhsa_uses_dynamic_stack 0
		.amdhsa_system_sgpr_private_segment_wavefront_offset 0
		.amdhsa_system_sgpr_workgroup_id_x 1
		.amdhsa_system_sgpr_workgroup_id_y 0
		.amdhsa_system_sgpr_workgroup_id_z 0
		.amdhsa_system_sgpr_workgroup_info 0
		.amdhsa_system_vgpr_workitem_id 1
		.amdhsa_next_free_vgpr 72
		.amdhsa_next_free_sgpr 40
		.amdhsa_accum_offset 72
		.amdhsa_reserve_vcc 1
		.amdhsa_reserve_flat_scratch 0
		.amdhsa_float_round_mode_32 0
		.amdhsa_float_round_mode_16_64 0
		.amdhsa_float_denorm_mode_32 3
		.amdhsa_float_denorm_mode_16_64 3
		.amdhsa_dx10_clamp 1
		.amdhsa_ieee_mode 1
		.amdhsa_fp16_overflow 0
		.amdhsa_tg_split 0
		.amdhsa_exception_fp_ieee_invalid_op 0
		.amdhsa_exception_fp_denorm_src 0
		.amdhsa_exception_fp_ieee_div_zero 0
		.amdhsa_exception_fp_ieee_overflow 0
		.amdhsa_exception_fp_ieee_underflow 0
		.amdhsa_exception_fp_ieee_inexact 0
		.amdhsa_exception_int_div_zero 0
	.end_amdhsa_kernel
	.section	.text._ZN9rocsparseL26bsric0_2_8_unrolled_kernelILi64ELi32ELi8EdEEv20rocsparse_direction_iiPKiS3_PT2_S3_PiS3_S6_21rocsparse_index_base_,"axG",@progbits,_ZN9rocsparseL26bsric0_2_8_unrolled_kernelILi64ELi32ELi8EdEEv20rocsparse_direction_iiPKiS3_PT2_S3_PiS3_S6_21rocsparse_index_base_,comdat
.Lfunc_end28:
	.size	_ZN9rocsparseL26bsric0_2_8_unrolled_kernelILi64ELi32ELi8EdEEv20rocsparse_direction_iiPKiS3_PT2_S3_PiS3_S6_21rocsparse_index_base_, .Lfunc_end28-_ZN9rocsparseL26bsric0_2_8_unrolled_kernelILi64ELi32ELi8EdEEv20rocsparse_direction_iiPKiS3_PT2_S3_PiS3_S6_21rocsparse_index_base_
                                        ; -- End function
	.section	.AMDGPU.csdata,"",@progbits
; Kernel info:
; codeLenInByte = 10040
; NumSgprs: 44
; NumVgprs: 72
; NumAgprs: 0
; TotalNumVgprs: 72
; ScratchSize: 0
; MemoryBound: 1
; FloatMode: 240
; IeeeMode: 1
; LDSByteSize: 2688 bytes/workgroup (compile time only)
; SGPRBlocks: 5
; VGPRBlocks: 8
; NumSGPRsForWavesPerEU: 44
; NumVGPRsForWavesPerEU: 72
; AccumOffset: 72
; Occupancy: 6
; WaveLimiterHint : 1
; COMPUTE_PGM_RSRC2:SCRATCH_EN: 0
; COMPUTE_PGM_RSRC2:USER_SGPR: 6
; COMPUTE_PGM_RSRC2:TRAP_HANDLER: 0
; COMPUTE_PGM_RSRC2:TGID_X_EN: 1
; COMPUTE_PGM_RSRC2:TGID_Y_EN: 0
; COMPUTE_PGM_RSRC2:TGID_Z_EN: 0
; COMPUTE_PGM_RSRC2:TIDIG_COMP_CNT: 1
; COMPUTE_PGM_RSRC3_GFX90A:ACCUM_OFFSET: 17
; COMPUTE_PGM_RSRC3_GFX90A:TG_SPLIT: 0
	.section	.text._ZN9rocsparseL18bsric0_9_16_kernelILi64ELi32ELi16EdEEv20rocsparse_direction_iiPKiS3_PT2_S3_PiS3_S6_21rocsparse_index_base_,"axG",@progbits,_ZN9rocsparseL18bsric0_9_16_kernelILi64ELi32ELi16EdEEv20rocsparse_direction_iiPKiS3_PT2_S3_PiS3_S6_21rocsparse_index_base_,comdat
	.globl	_ZN9rocsparseL18bsric0_9_16_kernelILi64ELi32ELi16EdEEv20rocsparse_direction_iiPKiS3_PT2_S3_PiS3_S6_21rocsparse_index_base_ ; -- Begin function _ZN9rocsparseL18bsric0_9_16_kernelILi64ELi32ELi16EdEEv20rocsparse_direction_iiPKiS3_PT2_S3_PiS3_S6_21rocsparse_index_base_
	.p2align	8
	.type	_ZN9rocsparseL18bsric0_9_16_kernelILi64ELi32ELi16EdEEv20rocsparse_direction_iiPKiS3_PT2_S3_PiS3_S6_21rocsparse_index_base_,@function
_ZN9rocsparseL18bsric0_9_16_kernelILi64ELi32ELi16EdEEv20rocsparse_direction_iiPKiS3_PT2_S3_PiS3_S6_21rocsparse_index_base_: ; @_ZN9rocsparseL18bsric0_9_16_kernelILi64ELi32ELi16EdEEv20rocsparse_direction_iiPKiS3_PT2_S3_PiS3_S6_21rocsparse_index_base_
; %bb.0:
	s_load_dwordx8 s[8:15], s[4:5], 0x28
	s_mov_b32 s7, 0
	s_lshl_b64 s[0:1], s[6:7], 2
	v_and_b32_e32 v1, 0x3ff, v0
	v_bfe_u32 v0, v0, 10, 10
	s_waitcnt lgkmcnt(0)
	s_add_u32 s0, s12, s0
	s_addc_u32 s1, s13, s1
	s_load_dword s12, s[0:1], 0x0
	s_waitcnt lgkmcnt(0)
	s_ashr_i32 s13, s12, 31
	s_lshl_b64 s[6:7], s[12:13], 2
	s_add_u32 s0, s8, s6
	s_addc_u32 s1, s9, s7
	s_load_dword s33, s[0:1], 0x0
	s_load_dword s13, s[4:5], 0x48
	s_waitcnt lgkmcnt(0)
	s_cmp_lg_u32 s33, -1
	s_cbranch_scc0 .LBB29_143
; %bb.1:
	s_load_dwordx4 s[16:19], s[4:5], 0x10
	v_lshlrev_b32_e32 v3, 2, v0
	v_add_u32_e32 v4, v3, v1
	s_waitcnt lgkmcnt(0)
	s_add_u32 s0, s16, s6
	s_addc_u32 s1, s17, s7
	s_load_dword s28, s[0:1], 0x0
	s_waitcnt lgkmcnt(0)
	s_sub_i32 s44, s28, s13
	v_add_u32_e32 v2, s44, v4
	v_cmp_ge_i32_e32 vcc, s33, v2
	s_and_saveexec_b64 s[2:3], vcc
	s_cbranch_execz .LBB29_16
; %bb.2:
	v_add_u32_e32 v4, s28, v4
	v_subrev_u32_e32 v4, s13, v4
	v_add_u32_e32 v4, 64, v4
	s_add_i32 s0, s33, 1
	v_max_i32_e32 v4, s0, v4
	v_not_b32_e32 v5, v1
	v_add3_u32 v4, v4, s13, v5
	v_add_u32_e32 v3, s28, v3
	v_sub_u32_e32 v3, v4, v3
	s_movk_i32 s0, 0x640
	v_cmp_gt_u32_e32 vcc, s0, v3
	s_movk_i32 s0, 0x63f
	v_cmp_lt_u32_e64 s[0:1], s0, v3
	s_and_saveexec_b64 s[20:21], s[0:1]
	s_cbranch_execz .LBB29_13
; %bb.3:
	v_and_b32_e32 v4, 0xffffffc0, v3
	v_add_u32_e32 v4, v2, v4
	v_cmp_ge_i32_e64 s[0:1], v4, v2
	s_mov_b64 s[24:25], -1
	s_and_saveexec_b64 s[22:23], s[0:1]
	s_cbranch_execz .LBB29_12
; %bb.4:
	v_lshrrev_b32_e32 v14, 6, v3
	v_add_u32_e32 v4, -1, v14
	v_add_u32_e32 v3, 64, v2
	v_lshrrev_b32_e32 v5, 1, v4
	v_add_u32_e32 v15, 1, v5
	v_cmp_lt_u32_e64 s[0:1], 13, v4
	v_pk_mov_b32 v[4:5], v[2:3], v[2:3] op_sel:[0,1]
	s_and_saveexec_b64 s[24:25], s[0:1]
	s_cbranch_execz .LBB29_8
; %bb.5:
	v_and_b32_e32 v16, -8, v15
	s_mov_b64 s[26:27], 0
	v_mov_b32_e32 v17, s19
	v_pk_mov_b32 v[4:5], v[2:3], v[2:3] op_sel:[0,1]
.LBB29_6:                               ; =>This Inner Loop Header: Depth=1
	v_ashrrev_i32_e32 v21, 31, v4
	v_mov_b32_e32 v20, v4
	v_lshlrev_b64 v[20:21], 2, v[20:21]
	v_ashrrev_i32_e32 v19, 31, v5
	v_mov_b32_e32 v18, v5
	v_add_co_u32_e64 v20, s[0:1], s18, v20
	v_add_u32_e32 v6, 0x80, v4
	v_lshlrev_b64 v[18:19], 2, v[18:19]
	v_addc_co_u32_e64 v21, s[0:1], v17, v21, s[0:1]
	v_ashrrev_i32_e32 v7, 31, v6
	v_add_co_u32_e64 v18, s[0:1], s18, v18
	v_add_u32_e32 v8, 0x80, v5
	v_addc_co_u32_e64 v19, s[0:1], v17, v19, s[0:1]
	v_lshlrev_b64 v[42:43], 2, v[6:7]
	v_ashrrev_i32_e32 v9, 31, v8
	global_load_dword v3, v[20:21], off
	global_load_dword v7, v[18:19], off
	v_add_co_u32_e64 v18, s[0:1], s18, v42
	v_add_u32_e32 v10, 0x100, v4
	v_lshlrev_b64 v[44:45], 2, v[8:9]
	v_addc_co_u32_e64 v19, s[0:1], v17, v43, s[0:1]
	v_ashrrev_i32_e32 v11, 31, v10
	v_add_co_u32_e64 v20, s[0:1], s18, v44
	v_add_u32_e32 v12, 0x100, v5
	v_lshlrev_b64 v[46:47], 2, v[10:11]
	v_addc_co_u32_e64 v21, s[0:1], v17, v45, s[0:1]
	v_ashrrev_i32_e32 v13, 31, v12
	;; [unrolled: 5-line block ×12, first 2 shown]
	v_add_co_u32_e64 v62, s[0:1], s18, v66
	v_lshlrev_b64 v[68:69], 2, v[40:41]
	v_addc_co_u32_e64 v63, s[0:1], v17, v67, s[0:1]
	v_add_co_u32_e64 v64, s[0:1], s18, v68
	v_addc_co_u32_e64 v65, s[0:1], v17, v69, s[0:1]
	global_load_dword v9, v[20:21], off
	global_load_dword v11, v[18:19], off
	;; [unrolled: 1-line block ×14, first 2 shown]
	v_subrev_u32_e32 v19, s44, v4
	v_add_u32_e32 v16, -8, v16
	v_subrev_u32_e32 v18, s44, v5
	v_lshlrev_b32_e32 v19, 2, v19
	v_subrev_u32_e32 v6, s44, v6
	v_cmp_eq_u32_e64 s[0:1], 0, v16
	s_waitcnt vmcnt(14)
	v_subrev_u32_e32 v7, s13, v7
	v_subrev_u32_e32 v3, s13, v3
	v_add_u32_e32 v5, 0x400, v5
	v_add_u32_e32 v4, 0x400, v4
	v_lshlrev_b32_e32 v18, 2, v18
	v_subrev_u32_e32 v8, s44, v8
	v_subrev_u32_e32 v12, s44, v12
	v_subrev_u32_e32 v10, s44, v10
	v_subrev_u32_e32 v20, s44, v24
	v_subrev_u32_e32 v21, s44, v22
	v_subrev_u32_e32 v22, s44, v28
	v_subrev_u32_e32 v24, s44, v26
	v_subrev_u32_e32 v26, s44, v32
	v_subrev_u32_e32 v28, s44, v30
	v_subrev_u32_e32 v30, s44, v36
	v_subrev_u32_e32 v32, s44, v34
	v_subrev_u32_e32 v34, s44, v40
	v_subrev_u32_e32 v36, s44, v38
	v_lshlrev_b32_e32 v6, 2, v6
	s_or_b64 s[26:27], s[0:1], s[26:27]
	ds_write_b32 v19, v3 offset:8960
	ds_write_b32 v18, v7 offset:8960
	v_lshlrev_b32_e32 v8, 2, v8
	v_lshlrev_b32_e32 v10, 2, v10
	v_lshlrev_b32_e32 v12, 2, v12
	v_lshlrev_b32_e32 v21, 2, v21
	v_lshlrev_b32_e32 v20, 2, v20
	v_lshlrev_b32_e32 v24, 2, v24
	v_lshlrev_b32_e32 v22, 2, v22
	v_lshlrev_b32_e32 v28, 2, v28
	v_lshlrev_b32_e32 v26, 2, v26
	v_lshlrev_b32_e32 v32, 2, v32
	v_lshlrev_b32_e32 v30, 2, v30
	v_lshlrev_b32_e32 v36, 2, v36
	v_lshlrev_b32_e32 v34, 2, v34
	s_waitcnt vmcnt(13)
	v_subrev_u32_e32 v3, s13, v9
	s_waitcnt vmcnt(12)
	v_subrev_u32_e32 v7, s13, v11
	;; [unrolled: 2-line block ×14, first 2 shown]
	ds_write_b32 v6, v7 offset:8960
	ds_write_b32 v8, v3 offset:8960
	ds_write_b32 v10, v11 offset:8960
	ds_write_b32 v12, v9 offset:8960
	ds_write_b32 v21, v18 offset:8960
	ds_write_b32 v20, v13 offset:8960
	ds_write_b32 v24, v23 offset:8960
	ds_write_b32 v22, v19 offset:8960
	ds_write_b32 v28, v27 offset:8960
	ds_write_b32 v26, v25 offset:8960
	ds_write_b32 v32, v31 offset:8960
	ds_write_b32 v30, v29 offset:8960
	ds_write_b32 v36, v35 offset:8960
	ds_write_b32 v34, v33 offset:8960
	s_andn2_b64 exec, exec, s[26:27]
	s_cbranch_execnz .LBB29_6
; %bb.7:
	s_or_b64 exec, exec, s[26:27]
.LBB29_8:
	s_or_b64 exec, exec, s[24:25]
	v_and_b32_e32 v3, 7, v15
	v_cmp_ne_u32_e64 s[0:1], 0, v3
	s_and_saveexec_b64 s[24:25], s[0:1]
	s_cbranch_execz .LBB29_11
; %bb.9:
	s_mov_b64 s[26:27], 0
	v_mov_b32_e32 v6, s19
.LBB29_10:                              ; =>This Inner Loop Header: Depth=1
	v_ashrrev_i32_e32 v11, 31, v4
	v_mov_b32_e32 v10, v4
	v_lshlrev_b64 v[10:11], 2, v[10:11]
	v_ashrrev_i32_e32 v9, 31, v5
	v_mov_b32_e32 v8, v5
	v_add_co_u32_e64 v10, s[0:1], s18, v10
	v_lshlrev_b64 v[8:9], 2, v[8:9]
	v_addc_co_u32_e64 v11, s[0:1], v6, v11, s[0:1]
	v_add_co_u32_e64 v8, s[0:1], s18, v8
	v_addc_co_u32_e64 v9, s[0:1], v6, v9, s[0:1]
	global_load_dword v7, v[8:9], off
	global_load_dword v12, v[10:11], off
	v_add_u32_e32 v3, -1, v3
	v_subrev_u32_e32 v9, s44, v4
	v_cmp_eq_u32_e64 s[0:1], 0, v3
	v_subrev_u32_e32 v8, s44, v5
	v_add_u32_e32 v5, 0x80, v5
	v_add_u32_e32 v4, 0x80, v4
	v_lshlrev_b32_e32 v9, 2, v9
	s_or_b64 s[26:27], s[0:1], s[26:27]
	v_lshlrev_b32_e32 v8, 2, v8
	s_waitcnt vmcnt(1)
	v_subrev_u32_e32 v7, s13, v7
	s_waitcnt vmcnt(0)
	v_subrev_u32_e32 v10, s13, v12
	ds_write_b32 v9, v10 offset:8960
	ds_write_b32 v8, v7 offset:8960
	s_andn2_b64 exec, exec, s[26:27]
	s_cbranch_execnz .LBB29_10
.LBB29_11:
	s_or_b64 exec, exec, s[24:25]
	v_add_u32_e32 v3, 1, v14
	v_and_b32_e32 v4, 0x7fffffe, v3
	v_cmp_ne_u32_e64 s[0:1], v3, v4
	v_lshl_add_u32 v2, v4, 6, v2
	s_orn2_b64 s[24:25], s[0:1], exec
.LBB29_12:
	s_or_b64 exec, exec, s[22:23]
	s_andn2_b64 s[0:1], vcc, exec
	s_and_b64 s[22:23], s[24:25], exec
	s_or_b64 vcc, s[0:1], s[22:23]
.LBB29_13:
	s_or_b64 exec, exec, s[20:21]
	s_and_b64 exec, exec, vcc
	s_cbranch_execz .LBB29_16
; %bb.14:
	v_add_u32_e32 v3, s13, v2
	v_subrev_u32_e32 v3, s28, v3
	v_mov_b32_e32 v4, 0x2300
	v_lshl_add_u32 v4, v3, 2, v4
	s_mov_b64 s[0:1], 0
	v_mov_b32_e32 v5, s19
.LBB29_15:                              ; =>This Inner Loop Header: Depth=1
	v_ashrrev_i32_e32 v3, 31, v2
	v_lshlrev_b64 v[6:7], 2, v[2:3]
	v_add_co_u32_e32 v6, vcc, s18, v6
	v_addc_co_u32_e32 v7, vcc, v5, v7, vcc
	global_load_dword v3, v[6:7], off
	v_add_u32_e32 v2, 64, v2
	v_cmp_lt_i32_e32 vcc, s33, v2
	s_or_b64 s[0:1], vcc, s[0:1]
	s_waitcnt vmcnt(0)
	v_subrev_u32_e32 v3, s13, v3
	ds_write_b32 v4, v3
	v_add_u32_e32 v4, 0x100, v4
	s_andn2_b64 exec, exec, s[0:1]
	s_cbranch_execnz .LBB29_15
.LBB29_16:
	s_or_b64 exec, exec, s[2:3]
	s_load_dwordx2 s[20:21], s[4:5], 0x20
	v_cmp_gt_u32_e32 vcc, 16, v1
	v_lshlrev_b32_e32 v14, 3, v1
	s_and_saveexec_b64 s[0:1], vcc
	s_cbranch_execz .LBB29_19
; %bb.17:
	v_mul_u32_u24_e32 v2, 0x88, v0
	s_movk_i32 s2, 0x1980
	v_add3_u32 v5, v2, v14, s2
	v_mov_b32_e32 v2, 0
	v_add_u32_e32 v4, -4, v1
	s_mov_b64 s[2:3], 0
	v_mov_b32_e32 v3, v2
.LBB29_18:                              ; =>This Inner Loop Header: Depth=1
	v_add_u32_e32 v4, 4, v4
	v_cmp_lt_u32_e32 vcc, 11, v4
	ds_write_b64 v5, v[2:3]
	s_or_b64 s[2:3], vcc, s[2:3]
	v_add_u32_e32 v5, 32, v5
	s_andn2_b64 exec, exec, s[2:3]
	s_cbranch_execnz .LBB29_18
.LBB29_19:
	s_or_b64 exec, exec, s[0:1]
	s_load_dword s45, s[4:5], 0x8
	s_load_dword s46, s[4:5], 0x0
	s_cmp_ge_i32 s44, s33
	s_waitcnt lgkmcnt(0)
	v_cmp_gt_i32_e64 s[0:1], s45, v1
	s_cbranch_scc1 .LBB29_104
; %bb.20:
	v_or_b32_e32 v2, v1, v0
	s_mul_i32 s24, s45, s44
	s_cmp_lg_u32 s46, 0
	v_cmp_ne_u32_e64 s[4:5], 0, v2
	s_movk_i32 s48, 0x88
	v_add_u32_e32 v2, s24, v0
	s_cselect_b64 s[22:23], -1, 0
	s_cmp_gt_i32 s45, 0
	v_mad_u32_u24 v16, v0, s48, v14
	v_mul_lo_u32 v19, s45, v2
	v_mov_b32_e32 v2, 0x1100
	v_cmp_gt_i32_e64 s[2:3], s45, v0
	s_mul_i32 s47, s45, s45
	v_mul_lo_u32 v15, v0, s45
	v_add_u32_e32 v17, 0x880, v16
	v_mul_lo_u32 v18, v1, s45
	s_cselect_b64 s[24:25], -1, 0
	s_lshl_b32 s49, s45, 2
	v_mad_u32_u24 v20, v0, s48, v2
	v_mad_u32_u24 v21, v1, s48, v2
	v_add_u32_e32 v22, 0x1980, v16
	v_add_u32_e32 v23, 0x1100, v16
	v_mov_b32_e32 v2, 0
	v_mul_u32_u24_e32 v24, 0x88, v0
	v_mov_b32_e32 v25, 0x3ff00000
	s_mov_b32 s26, s44
	s_branch .LBB29_22
.LBB29_21:                              ;   in Loop: Header=BB29_22 Depth=1
	s_or_b64 exec, exec, s[28:29]
	s_add_i32 s26, s26, 1
	s_cmp_ge_i32 s26, s33
	s_waitcnt vmcnt(0)
	buffer_wbinvl1_vol
	v_add_u32_e32 v19, s47, v19
	s_cselect_b64 s[28:29], -1, 0
	s_and_b64 vcc, exec, s[28:29]
	s_cbranch_vccnz .LBB29_104
.LBB29_22:                              ; =>This Loop Header: Depth=1
                                        ;     Child Loop BB29_26 Depth 2
                                        ;     Child Loop BB29_39 Depth 2
	;; [unrolled: 1-line block ×5, first 2 shown]
                                        ;       Child Loop BB29_71 Depth 3
                                        ;     Child Loop BB29_84 Depth 2
                                        ;       Child Loop BB29_90 Depth 3
                                        ;       Child Loop BB29_93 Depth 3
                                        ;     Child Loop BB29_98 Depth 2
	s_ashr_i32 s27, s26, 31
	s_lshl_b64 s[28:29], s[26:27], 2
	s_add_u32 s28, s18, s28
	s_addc_u32 s29, s19, s29
	s_load_dword s50, s[28:29], 0x0
	s_waitcnt lgkmcnt(0)
	s_sub_i32 s30, s50, s13
	s_ashr_i32 s31, s30, 31
	s_lshl_b64 s[28:29], s[30:31], 2
	s_add_u32 s34, s8, s28
	s_addc_u32 s35, s9, s29
	s_load_dword s31, s[34:35], 0x0
	s_waitcnt lgkmcnt(0)
	s_cmp_eq_u32 s31, -1
	s_cbranch_scc1 .LBB29_103
; %bb.23:                               ;   in Loop: Header=BB29_22 Depth=1
	s_add_u32 s34, s16, s28
	s_addc_u32 s35, s17, s29
	s_load_dword s51, s[34:35], 0x0
	s_mul_i32 s27, s26, s45
	s_and_saveexec_b64 s[34:35], s[0:1]
	s_cbranch_execz .LBB29_36
; %bb.24:                               ;   in Loop: Header=BB29_22 Depth=1
	s_mov_b64 s[36:37], 0
	v_mov_b32_e32 v8, v17
	v_mov_b32_e32 v9, v1
	s_branch .LBB29_26
.LBB29_25:                              ;   in Loop: Header=BB29_26 Depth=2
	s_or_b64 exec, exec, s[40:41]
	v_add_u32_e32 v9, 4, v9
	v_mov_b32_e32 v3, v2
	v_cmp_le_i32_e32 vcc, s45, v9
	s_waitcnt vmcnt(0)
	ds_write_b64 v8, v[6:7] offset:2176
	ds_write_b64 v8, v[2:3]
	s_or_b64 s[36:37], vcc, s[36:37]
	v_add_u32_e32 v8, 32, v8
	s_andn2_b64 exec, exec, s[36:37]
	s_cbranch_execz .LBB29_36
.LBB29_26:                              ;   Parent Loop BB29_22 Depth=1
                                        ; =>  This Inner Loop Header: Depth=2
	s_and_b64 vcc, exec, s[22:23]
	s_cbranch_vccz .LBB29_31
; %bb.27:                               ;   in Loop: Header=BB29_26 Depth=2
	s_mov_b64 s[40:41], 0
	s_mov_b64 s[38:39], 0
                                        ; implicit-def: $vgpr4
	s_and_saveexec_b64 s[42:43], s[2:3]
	s_xor_b64 s[42:43], exec, s[42:43]
; %bb.28:                               ;   in Loop: Header=BB29_26 Depth=2
	v_add_u32_e32 v3, s27, v9
	s_mov_b64 s[38:39], exec
	v_mad_u64_u32 v[4:5], s[52:53], v3, s45, v[0:1]
; %bb.29:                               ;   in Loop: Header=BB29_26 Depth=2
	s_or_b64 exec, exec, s[42:43]
	s_and_b64 vcc, exec, s[40:41]
	s_cbranch_vccnz .LBB29_32
.LBB29_30:                              ;   in Loop: Header=BB29_26 Depth=2
	v_pk_mov_b32 v[6:7], s[40:41], s[40:41] op_sel:[0,1]
	s_and_saveexec_b64 s[40:41], s[38:39]
	s_cbranch_execz .LBB29_25
	s_branch .LBB29_35
.LBB29_31:                              ;   in Loop: Header=BB29_26 Depth=2
	s_mov_b64 s[40:41], -1
	s_mov_b64 s[38:39], 0
                                        ; implicit-def: $vgpr4
	s_cbranch_execz .LBB29_30
.LBB29_32:                              ;   in Loop: Header=BB29_26 Depth=2
                                        ; implicit-def: $vgpr4
	s_and_saveexec_b64 s[40:41], s[2:3]
; %bb.33:                               ;   in Loop: Header=BB29_26 Depth=2
	v_add_u32_e32 v4, v19, v9
	s_or_b64 s[38:39], s[38:39], exec
; %bb.34:                               ;   in Loop: Header=BB29_26 Depth=2
	s_or_b64 exec, exec, s[40:41]
	s_mov_b64 s[40:41], 0
	v_pk_mov_b32 v[6:7], s[40:41], s[40:41] op_sel:[0,1]
	s_and_saveexec_b64 s[40:41], s[38:39]
	s_cbranch_execz .LBB29_25
.LBB29_35:                              ;   in Loop: Header=BB29_26 Depth=2
	v_ashrrev_i32_e32 v5, 31, v4
	v_lshlrev_b64 v[4:5], 3, v[4:5]
	v_mov_b32_e32 v3, s21
	v_add_co_u32_e32 v4, vcc, s20, v4
	v_addc_co_u32_e32 v5, vcc, v3, v5, vcc
	global_load_dwordx2 v[6:7], v[4:5], off
	s_branch .LBB29_25
.LBB29_36:                              ;   in Loop: Header=BB29_22 Depth=1
	s_or_b64 exec, exec, s[34:35]
; %bb.37:                               ;   in Loop: Header=BB29_22 Depth=1
	ds_read_b32 v3, v2 offset:8960
	s_waitcnt lgkmcnt(0)
	s_sub_i32 s34, s51, s13
	s_cmp_le_i32 s34, s31
	s_cselect_b64 s[36:37], -1, 0
	s_mov_b32 s40, 0
	v_cmp_ge_i32_e32 vcc, s30, v3
	s_and_b64 s[36:37], s[36:37], vcc
	s_andn2_b64 vcc, exec, s[36:37]
	s_cbranch_vccnz .LBB29_49
; %bb.38:                               ;   in Loop: Header=BB29_22 Depth=1
	s_mov_b32 s38, 0
	s_mov_b32 s39, 0
.LBB29_39:                              ;   Parent Loop BB29_22 Depth=1
                                        ; =>  This Inner Loop Header: Depth=2
	s_ashr_i32 s35, s34, 31
	s_lshl_b64 s[36:37], s[34:35], 2
	s_add_u32 s36, s18, s36
	s_addc_u32 s37, s19, s37
	s_load_dword s35, s[36:37], 0x0
	s_lshl_b32 s36, s39, 2
	v_mov_b32_e32 v3, s36
	ds_read_b32 v3, v3 offset:8960
	s_mov_b64 s[36:37], -1
	s_waitcnt lgkmcnt(0)
	s_sub_i32 s43, s35, s13
                                        ; implicit-def: $sgpr40
                                        ; implicit-def: $sgpr42
                                        ; implicit-def: $sgpr41
	v_cmp_ge_i32_e32 vcc, s43, v3
	v_readfirstlane_b32 s35, v3
	s_cbranch_vccz .LBB29_45
; %bb.40:                               ;   in Loop: Header=BB29_39 Depth=2
	s_cmp_le_i32 s43, s35
                                        ; implicit-def: $sgpr40
                                        ; implicit-def: $sgpr42
                                        ; implicit-def: $sgpr41
	s_cbranch_scc0 .LBB29_42
; %bb.41:                               ;   in Loop: Header=BB29_39 Depth=2
	s_add_i32 s36, s39, s44
	s_mul_i32 s36, s36, s47
	s_lshl_b32 s37, s38, 2
	v_mov_b32_e32 v3, s37
	v_mov_b32_e32 v4, s36
	s_mul_i32 s36, s34, s47
	v_mov_b32_e32 v5, s36
	v_add_u32_e32 v3, 0x2000, v3
	ds_write2_b32 v3, v5, v4 offset0:128 offset1:160
	s_add_i32 s41, s39, 1
	s_add_i32 s42, s34, 1
	;; [unrolled: 1-line block ×3, first 2 shown]
	s_mov_b64 s[36:37], 0
.LBB29_42:                              ;   in Loop: Header=BB29_39 Depth=2
	s_andn2_b64 vcc, exec, s[36:37]
	s_cbranch_vccnz .LBB29_44
; %bb.43:                               ;   in Loop: Header=BB29_39 Depth=2
	s_add_i32 s41, s39, 1
	s_mov_b32 s40, s38
	s_mov_b32 s42, s34
.LBB29_44:                              ;   in Loop: Header=BB29_39 Depth=2
	s_mov_b64 s[36:37], 0
.LBB29_45:                              ;   in Loop: Header=BB29_39 Depth=2
	s_andn2_b64 vcc, exec, s[36:37]
	s_cbranch_vccnz .LBB29_47
; %bb.46:                               ;   in Loop: Header=BB29_39 Depth=2
	s_add_i32 s42, s34, 1
	s_mov_b32 s41, s39
	s_mov_b32 s40, s38
.LBB29_47:                              ;   in Loop: Header=BB29_39 Depth=2
	s_cmp_le_i32 s42, s31
	s_cselect_b64 s[36:37], -1, 0
	s_cmp_le_i32 s35, s30
	s_cselect_b64 s[34:35], -1, 0
	s_and_b64 s[34:35], s[36:37], s[34:35]
	s_and_b64 vcc, exec, s[34:35]
	s_cbranch_vccz .LBB29_49
; %bb.48:                               ;   in Loop: Header=BB29_39 Depth=2
	s_mov_b32 s38, s40
	s_mov_b32 s34, s42
	;; [unrolled: 1-line block ×3, first 2 shown]
	s_branch .LBB29_39
.LBB29_49:                              ;   in Loop: Header=BB29_22 Depth=1
	s_add_u32 s28, s10, s28
	s_addc_u32 s29, s11, s29
	s_waitcnt lgkmcnt(0)
.LBB29_50:                              ;   Parent Loop BB29_22 Depth=1
                                        ; =>  This Inner Loop Header: Depth=2
	global_load_dword v3, v2, s[28:29] glc
	s_waitcnt vmcnt(0)
	v_cmp_eq_u32_e32 vcc, 0, v3
	s_cbranch_vccnz .LBB29_50
; %bb.51:                               ;   in Loop: Header=BB29_22 Depth=1
	buffer_wbinvl1_vol
	s_and_saveexec_b64 s[28:29], s[0:1]
	s_cbranch_execz .LBB29_64
; %bb.52:                               ;   in Loop: Header=BB29_22 Depth=1
	s_mul_i32 s41, s31, s45
	v_add_u32_e32 v3, s41, v0
	v_mul_lo_u32 v3, v3, s45
	s_mov_b64 s[30:31], 0
	v_mov_b32_e32 v8, v16
	v_mov_b32_e32 v9, v1
	s_branch .LBB29_54
.LBB29_53:                              ;   in Loop: Header=BB29_54 Depth=2
	s_or_b64 exec, exec, s[36:37]
	v_add_u32_e32 v9, 4, v9
	v_cmp_le_i32_e32 vcc, s45, v9
	s_waitcnt vmcnt(0)
	ds_write_b64 v8, v[6:7]
	s_or_b64 s[30:31], vcc, s[30:31]
	v_add_u32_e32 v8, 32, v8
	s_andn2_b64 exec, exec, s[30:31]
	s_cbranch_execz .LBB29_64
.LBB29_54:                              ;   Parent Loop BB29_22 Depth=1
                                        ; =>  This Inner Loop Header: Depth=2
	s_and_b64 vcc, exec, s[22:23]
	s_cbranch_vccz .LBB29_59
; %bb.55:                               ;   in Loop: Header=BB29_54 Depth=2
	s_mov_b64 s[36:37], 0
	s_mov_b64 s[34:35], 0
                                        ; implicit-def: $vgpr4
	s_and_saveexec_b64 s[38:39], s[2:3]
	s_xor_b64 s[38:39], exec, s[38:39]
; %bb.56:                               ;   in Loop: Header=BB29_54 Depth=2
	v_add_u32_e32 v4, s41, v9
	s_mov_b64 s[34:35], exec
	v_mad_u64_u32 v[4:5], s[42:43], v4, s45, v[0:1]
; %bb.57:                               ;   in Loop: Header=BB29_54 Depth=2
	s_or_b64 exec, exec, s[38:39]
	s_and_b64 vcc, exec, s[36:37]
	s_cbranch_vccnz .LBB29_60
.LBB29_58:                              ;   in Loop: Header=BB29_54 Depth=2
	v_pk_mov_b32 v[6:7], s[36:37], s[36:37] op_sel:[0,1]
	s_and_saveexec_b64 s[36:37], s[34:35]
	s_cbranch_execz .LBB29_53
	s_branch .LBB29_63
.LBB29_59:                              ;   in Loop: Header=BB29_54 Depth=2
	s_mov_b64 s[36:37], -1
	s_mov_b64 s[34:35], 0
                                        ; implicit-def: $vgpr4
	s_cbranch_execz .LBB29_58
.LBB29_60:                              ;   in Loop: Header=BB29_54 Depth=2
                                        ; implicit-def: $vgpr4
	s_and_saveexec_b64 s[36:37], s[2:3]
; %bb.61:                               ;   in Loop: Header=BB29_54 Depth=2
	v_add_u32_e32 v4, v3, v9
	s_or_b64 s[34:35], s[34:35], exec
; %bb.62:                               ;   in Loop: Header=BB29_54 Depth=2
	s_or_b64 exec, exec, s[36:37]
	s_mov_b64 s[36:37], 0
	v_pk_mov_b32 v[6:7], s[36:37], s[36:37] op_sel:[0,1]
	s_and_saveexec_b64 s[36:37], s[34:35]
	s_cbranch_execz .LBB29_53
.LBB29_63:                              ;   in Loop: Header=BB29_54 Depth=2
	v_ashrrev_i32_e32 v5, 31, v4
	v_lshlrev_b64 v[4:5], 3, v[4:5]
	v_mov_b32_e32 v6, s21
	v_add_co_u32_e32 v4, vcc, s20, v4
	v_addc_co_u32_e32 v5, vcc, v6, v5, vcc
	global_load_dwordx2 v[6:7], v[4:5], off
	s_branch .LBB29_53
.LBB29_64:                              ;   in Loop: Header=BB29_22 Depth=1
	s_or_b64 exec, exec, s[28:29]
; %bb.65:                               ;   in Loop: Header=BB29_22 Depth=1
	s_cmp_lt_i32 s40, 2
	s_cbranch_scc1 .LBB29_81
; %bb.66:                               ;   in Loop: Header=BB29_22 Depth=1
	s_add_i32 s36, s40, -2
	s_mov_b32 s37, 0
	s_branch .LBB29_68
.LBB29_67:                              ;   in Loop: Header=BB29_68 Depth=2
	s_or_b64 exec, exec, s[28:29]
	s_add_i32 s28, s37, 1
	s_cmp_eq_u32 s37, s36
	s_mov_b32 s37, s28
	s_cbranch_scc1 .LBB29_81
.LBB29_68:                              ;   Parent Loop BB29_22 Depth=1
                                        ; =>  This Loop Header: Depth=2
                                        ;       Child Loop BB29_71 Depth 3
	s_and_saveexec_b64 s[28:29], s[0:1]
	s_cbranch_execz .LBB29_67
; %bb.69:                               ;   in Loop: Header=BB29_68 Depth=2
	s_lshl_b32 s30, s37, 2
	v_mov_b32_e32 v3, s30
	v_add_u32_e32 v3, 0x2000, v3
	ds_read2_b32 v[4:5], v3 offset0:128 offset1:160
	s_mov_b64 s[30:31], 0
	v_mov_b32_e32 v29, v1
	s_waitcnt lgkmcnt(0)
	v_add_u32_e32 v3, v5, v15
	v_add_u32_e32 v26, v0, v5
	;; [unrolled: 1-line block ×4, first 2 shown]
	s_branch .LBB29_71
.LBB29_70:                              ;   in Loop: Header=BB29_71 Depth=3
	v_lshlrev_b32_e32 v4, 3, v29
	v_mad_u32_u24 v6, v0, s48, v4
	ds_read_b64 v[4:5], v6 offset:2176
	v_add_u32_e32 v29, 4, v29
	v_cmp_le_i32_e32 vcc, s45, v29
	v_add_u32_e32 v27, 4, v27
	s_or_b64 s[30:31], vcc, s[30:31]
	s_waitcnt lgkmcnt(0)
	v_add_f64 v[4:5], v[10:11], v[4:5]
	v_add_u32_e32 v28, s49, v28
	ds_write_b64 v6, v[4:5] offset:2176
	s_andn2_b64 exec, exec, s[30:31]
	s_cbranch_execz .LBB29_67
.LBB29_71:                              ;   Parent Loop BB29_22 Depth=1
                                        ;     Parent Loop BB29_68 Depth=2
                                        ; =>    This Inner Loop Header: Depth=3
	s_mov_b32 s38, 0
	v_pk_mov_b32 v[8:9], 0, 0
	v_mov_b32_e32 v4, v27
	v_mov_b32_e32 v6, v26
	s_and_b64 vcc, exec, s[22:23]
	s_cbranch_vccz .LBB29_75
.LBB29_72:                              ;   in Loop: Header=BB29_71 Depth=3
	v_ashrrev_i32_e32 v5, 31, v4
	v_lshlrev_b64 v[10:11], 3, v[4:5]
	v_mov_b32_e32 v5, s21
	v_add_co_u32_e32 v10, vcc, s20, v10
	v_addc_co_u32_e32 v11, vcc, v5, v11, vcc
	global_load_dwordx2 v[10:11], v[10:11], off
	v_pk_mov_b32 v[12:13], 0, 0
	s_and_saveexec_b64 s[34:35], s[2:3]
	s_cbranch_execz .LBB29_74
; %bb.73:                               ;   in Loop: Header=BB29_71 Depth=3
	v_ashrrev_i32_e32 v7, 31, v6
	v_lshlrev_b64 v[12:13], 3, v[6:7]
	v_mov_b32_e32 v5, s21
	v_add_co_u32_e32 v12, vcc, s20, v12
	v_addc_co_u32_e32 v13, vcc, v5, v13, vcc
	global_load_dwordx2 v[12:13], v[12:13], off
.LBB29_74:                              ;   in Loop: Header=BB29_71 Depth=3
	s_or_b64 exec, exec, s[34:35]
	s_waitcnt vmcnt(0)
	v_fma_f64 v[10:11], v[10:11], v[12:13], v[8:9]
	s_branch .LBB29_79
.LBB29_75:                              ;   in Loop: Header=BB29_71 Depth=3
                                        ; implicit-def: $vgpr10_vgpr11
	s_cbranch_execz .LBB29_79
; %bb.76:                               ;   in Loop: Header=BB29_71 Depth=3
	v_add_u32_e32 v10, s38, v28
	v_ashrrev_i32_e32 v11, 31, v10
	v_lshlrev_b64 v[10:11], 3, v[10:11]
	v_mov_b32_e32 v5, s21
	v_add_co_u32_e32 v10, vcc, s20, v10
	v_addc_co_u32_e32 v11, vcc, v5, v11, vcc
	global_load_dwordx2 v[10:11], v[10:11], off
	v_pk_mov_b32 v[12:13], 0, 0
	s_and_saveexec_b64 s[34:35], s[2:3]
	s_cbranch_execz .LBB29_78
; %bb.77:                               ;   in Loop: Header=BB29_71 Depth=3
	v_add_u32_e32 v12, s38, v3
	v_ashrrev_i32_e32 v13, 31, v12
	v_lshlrev_b64 v[12:13], 3, v[12:13]
	v_mov_b32_e32 v5, s21
	v_add_co_u32_e32 v12, vcc, s20, v12
	v_addc_co_u32_e32 v13, vcc, v5, v13, vcc
	global_load_dwordx2 v[12:13], v[12:13], off
.LBB29_78:                              ;   in Loop: Header=BB29_71 Depth=3
	s_or_b64 exec, exec, s[34:35]
	s_waitcnt vmcnt(0)
	v_fmac_f64_e32 v[8:9], v[10:11], v[12:13]
	v_pk_mov_b32 v[10:11], v[8:9], v[8:9] op_sel:[0,1]
.LBB29_79:                              ;   in Loop: Header=BB29_71 Depth=3
	s_add_i32 s38, s38, 1
	v_add_u32_e32 v6, s45, v6
	s_cmp_eq_u32 s45, s38
	v_add_u32_e32 v4, s45, v4
	s_cbranch_scc1 .LBB29_70
; %bb.80:                               ;   in Loop: Header=BB29_71 Depth=3
	v_pk_mov_b32 v[8:9], v[10:11], v[10:11] op_sel:[0,1]
	s_and_b64 vcc, exec, s[22:23]
	s_cbranch_vccnz .LBB29_72
	s_branch .LBB29_75
.LBB29_81:                              ;   in Loop: Header=BB29_22 Depth=1
	s_andn2_b64 vcc, exec, s[24:25]
	s_waitcnt lgkmcnt(0)
	s_cbranch_vccnz .LBB29_94
; %bb.82:                               ;   in Loop: Header=BB29_22 Depth=1
	s_mov_b32 s34, 0
	s_mov_b32 s35, 0
	v_mov_b32_e32 v3, v21
	s_branch .LBB29_84
.LBB29_83:                              ;   in Loop: Header=BB29_84 Depth=2
	s_or_b64 exec, exec, s[28:29]
	s_add_i32 s35, s35, 1
	s_addk_i32 s34, 0x88
	s_cmp_eq_u32 s35, s45
	v_add_u32_e32 v3, 8, v3
	s_waitcnt lgkmcnt(0)
	s_cbranch_scc1 .LBB29_94
.LBB29_84:                              ;   Parent Loop BB29_22 Depth=1
                                        ; =>  This Loop Header: Depth=2
                                        ;       Child Loop BB29_90 Depth 3
                                        ;       Child Loop BB29_93 Depth 3
	s_lshl_b32 s28, s35, 3
	s_mul_i32 s29, s35, 0x88
	s_add_i32 s29, s28, s29
	v_mov_b32_e32 v4, s29
	ds_read_b64 v[6:7], v4
	v_mov_b32_e32 v4, s28
	v_mad_u32_u24 v10, v0, s48, v4
	ds_read_b64 v[4:5], v10 offset:4352
	s_waitcnt lgkmcnt(1)
	v_cmp_neq_f64_e32 vcc, 0, v[6:7]
	s_or_b64 s[28:29], vcc, s[4:5]
	v_cndmask_b32_e32 v7, v25, v7, vcc
	s_xor_b64 s[30:31], s[28:29], -1
	v_cndmask_b32_e32 v6, 0, v6, vcc
	s_and_saveexec_b64 s[28:29], s[30:31]
	s_cbranch_execz .LBB29_88
; %bb.85:                               ;   in Loop: Header=BB29_84 Depth=2
	v_mbcnt_lo_u32_b32 v6, exec_lo, 0
	v_mbcnt_hi_u32_b32 v6, exec_hi, v6
	v_cmp_eq_u32_e32 vcc, 0, v6
	s_and_saveexec_b64 s[30:31], vcc
	s_cbranch_execz .LBB29_87
; %bb.86:                               ;   in Loop: Header=BB29_84 Depth=2
	v_mov_b32_e32 v6, s50
	global_atomic_smin v2, v6, s[14:15]
.LBB29_87:                              ;   in Loop: Header=BB29_84 Depth=2
	s_or_b64 exec, exec, s[30:31]
	v_mov_b32_e32 v6, 0
	v_mov_b32_e32 v7, 0x3ff00000
.LBB29_88:                              ;   in Loop: Header=BB29_84 Depth=2
	s_or_b64 exec, exec, s[28:29]
	v_lshl_add_u32 v8, s35, 3, v24
	ds_read_b64 v[8:9], v8 offset:2176
	s_cmp_eq_u32 s35, 0
	s_cbranch_scc1 .LBB29_91
; %bb.89:                               ;   in Loop: Header=BB29_84 Depth=2
	s_mov_b32 s28, 0
	v_mov_b32_e32 v11, v20
	s_mov_b32 s29, s34
.LBB29_90:                              ;   Parent Loop BB29_22 Depth=1
                                        ;     Parent Loop BB29_84 Depth=2
                                        ; =>    This Inner Loop Header: Depth=3
	v_mov_b32_e32 v26, s29
	ds_read_b64 v[12:13], v11
	ds_read_b64 v[26:27], v26
	s_add_i32 s28, s28, 1
	s_add_i32 s29, s29, 8
	v_add_u32_e32 v11, 8, v11
	s_cmp_ge_u32 s28, s35
	s_waitcnt lgkmcnt(0)
	v_fmac_f64_e32 v[8:9], v[26:27], v[12:13]
	s_cbranch_scc0 .LBB29_90
.LBB29_91:                              ;   in Loop: Header=BB29_84 Depth=2
	s_waitcnt lgkmcnt(0)
	v_add_f64 v[4:5], v[4:5], -v[8:9]
	v_div_scale_f64 v[8:9], s[28:29], v[6:7], v[6:7], v[4:5]
	v_rcp_f64_e32 v[12:13], v[8:9]
	v_div_scale_f64 v[26:27], vcc, v[4:5], v[6:7], v[4:5]
	v_add_u32_e32 v10, 0x1100, v10
	v_fma_f64 v[28:29], -v[8:9], v[12:13], 1.0
	v_fmac_f64_e32 v[12:13], v[12:13], v[28:29]
	v_fma_f64 v[28:29], -v[8:9], v[12:13], 1.0
	v_fmac_f64_e32 v[12:13], v[12:13], v[28:29]
	v_mul_f64 v[28:29], v[26:27], v[12:13]
	v_fma_f64 v[8:9], -v[8:9], v[28:29], v[26:27]
	v_div_fmas_f64 v[8:9], v[8:9], v[12:13], v[28:29]
	v_div_fixup_f64 v[4:5], v[8:9], v[6:7], v[4:5]
	ds_write_b64 v10, v[4:5]
	s_waitcnt lgkmcnt(0)
	s_and_saveexec_b64 s[28:29], s[0:1]
	s_cbranch_execz .LBB29_83
; %bb.92:                               ;   in Loop: Header=BB29_84 Depth=2
	s_mov_b64 s[30:31], 0
	v_mov_b32_e32 v6, v22
	v_mov_b32_e32 v7, v3
	;; [unrolled: 1-line block ×3, first 2 shown]
.LBB29_93:                              ;   Parent Loop BB29_22 Depth=1
                                        ;     Parent Loop BB29_84 Depth=2
                                        ; =>    This Inner Loop Header: Depth=3
	ds_read_b64 v[10:11], v7
	ds_read_b64 v[12:13], v6
	v_add_u32_e32 v8, 4, v8
	v_cmp_le_i32_e32 vcc, s45, v8
	v_add_u32_e32 v7, 0x220, v7
	s_or_b64 s[30:31], vcc, s[30:31]
	s_waitcnt lgkmcnt(0)
	v_fmac_f64_e32 v[12:13], v[4:5], v[10:11]
	ds_write_b64 v6, v[12:13]
	v_add_u32_e32 v6, 32, v6
	s_andn2_b64 exec, exec, s[30:31]
	s_cbranch_execnz .LBB29_93
	s_branch .LBB29_83
.LBB29_94:                              ;   in Loop: Header=BB29_22 Depth=1
	s_and_saveexec_b64 s[28:29], s[0:1]
	s_cbranch_execz .LBB29_21
; %bb.95:                               ;   in Loop: Header=BB29_22 Depth=1
	s_mov_b64 s[30:31], 0
	v_mov_b32_e32 v3, v23
	v_mov_b32_e32 v8, v1
	s_branch .LBB29_98
.LBB29_96:                              ;   in Loop: Header=BB29_98 Depth=2
	v_ashrrev_i32_e32 v7, 31, v6
	v_lshlrev_b64 v[6:7], 3, v[6:7]
	v_mov_b32_e32 v9, s21
	v_add_co_u32_e32 v6, vcc, s20, v6
	v_addc_co_u32_e32 v7, vcc, v9, v7, vcc
	s_waitcnt lgkmcnt(0)
	global_store_dwordx2 v[6:7], v[4:5], off
.LBB29_97:                              ;   in Loop: Header=BB29_98 Depth=2
	s_or_b64 exec, exec, s[34:35]
	v_add_u32_e32 v8, 4, v8
	v_cmp_le_i32_e32 vcc, s45, v8
	s_or_b64 s[30:31], vcc, s[30:31]
	v_add_u32_e32 v3, 32, v3
	s_andn2_b64 exec, exec, s[30:31]
	s_cbranch_execz .LBB29_21
.LBB29_98:                              ;   Parent Loop BB29_22 Depth=1
                                        ; =>  This Inner Loop Header: Depth=2
	s_and_saveexec_b64 s[34:35], s[2:3]
	s_cbranch_execz .LBB29_97
; %bb.99:                               ;   in Loop: Header=BB29_98 Depth=2
	ds_read_b64 v[4:5], v3
	s_and_b64 vcc, exec, s[22:23]
	s_cbranch_vccz .LBB29_101
; %bb.100:                              ;   in Loop: Header=BB29_98 Depth=2
	v_add_u32_e32 v6, s27, v8
	v_mad_u64_u32 v[6:7], s[36:37], v6, s45, v[0:1]
	s_cbranch_execnz .LBB29_96
	s_branch .LBB29_102
.LBB29_101:                             ;   in Loop: Header=BB29_98 Depth=2
                                        ; implicit-def: $vgpr6
.LBB29_102:                             ;   in Loop: Header=BB29_98 Depth=2
	v_add_u32_e32 v6, v19, v8
	s_branch .LBB29_96
.LBB29_103:                             ;   in Loop: Header=BB29_22 Depth=1
                                        ; implicit-def: $sgpr26
                                        ; implicit-def: $vgpr19
	s_cbranch_execz .LBB29_22
.LBB29_104:
	v_cmp_gt_i32_e64 s[0:1], s45, v1
	s_and_saveexec_b64 s[4:5], s[0:1]
	s_cbranch_execz .LBB29_117
; %bb.105:
	s_mul_i32 s26, s33, s45
	v_add_u32_e32 v2, s26, v0
	s_cmp_lg_u32 s46, 0
	v_mul_lo_u32 v6, v2, s45
	v_mul_u32_u24_e32 v2, 0x88, v0
	s_movk_i32 s16, 0x1100
	s_cselect_b64 s[8:9], -1, 0
	v_cmp_gt_i32_e64 s[2:3], s45, v0
	v_add3_u32 v7, v2, v14, s16
	s_mov_b64 s[16:17], 0
	v_mov_b32_e32 v8, v1
	s_branch .LBB29_107
.LBB29_106:                             ;   in Loop: Header=BB29_107 Depth=1
	s_or_b64 exec, exec, s[22:23]
	v_add_u32_e32 v8, 4, v8
	v_cmp_le_i32_e32 vcc, s45, v8
	s_waitcnt vmcnt(0)
	ds_write_b64 v7, v[4:5]
	s_or_b64 s[16:17], vcc, s[16:17]
	v_add_u32_e32 v7, 32, v7
	s_andn2_b64 exec, exec, s[16:17]
	s_cbranch_execz .LBB29_117
.LBB29_107:                             ; =>This Inner Loop Header: Depth=1
	s_and_b64 vcc, exec, s[8:9]
	s_cbranch_vccz .LBB29_112
; %bb.108:                              ;   in Loop: Header=BB29_107 Depth=1
	s_mov_b64 s[22:23], 0
	s_mov_b64 s[18:19], 0
                                        ; implicit-def: $vgpr2
	s_and_saveexec_b64 s[24:25], s[2:3]
	s_xor_b64 s[24:25], exec, s[24:25]
; %bb.109:                              ;   in Loop: Header=BB29_107 Depth=1
	v_add_u32_e32 v2, s26, v8
	s_mov_b64 s[18:19], exec
	v_mad_u64_u32 v[2:3], s[28:29], v2, s45, v[0:1]
; %bb.110:                              ;   in Loop: Header=BB29_107 Depth=1
	s_or_b64 exec, exec, s[24:25]
	s_and_b64 vcc, exec, s[22:23]
	s_cbranch_vccnz .LBB29_113
.LBB29_111:                             ;   in Loop: Header=BB29_107 Depth=1
	v_pk_mov_b32 v[4:5], s[22:23], s[22:23] op_sel:[0,1]
	s_and_saveexec_b64 s[22:23], s[18:19]
	s_cbranch_execz .LBB29_106
	s_branch .LBB29_116
.LBB29_112:                             ;   in Loop: Header=BB29_107 Depth=1
	s_mov_b64 s[22:23], -1
	s_mov_b64 s[18:19], 0
                                        ; implicit-def: $vgpr2
	s_cbranch_execz .LBB29_111
.LBB29_113:                             ;   in Loop: Header=BB29_107 Depth=1
                                        ; implicit-def: $vgpr2
	s_and_saveexec_b64 s[22:23], s[2:3]
; %bb.114:                              ;   in Loop: Header=BB29_107 Depth=1
	v_add_u32_e32 v2, v6, v8
	s_or_b64 s[18:19], s[18:19], exec
; %bb.115:                              ;   in Loop: Header=BB29_107 Depth=1
	s_or_b64 exec, exec, s[22:23]
	s_mov_b64 s[22:23], 0
	v_pk_mov_b32 v[4:5], s[22:23], s[22:23] op_sel:[0,1]
	s_and_saveexec_b64 s[22:23], s[18:19]
	s_cbranch_execz .LBB29_106
.LBB29_116:                             ;   in Loop: Header=BB29_107 Depth=1
	v_ashrrev_i32_e32 v3, 31, v2
	v_lshlrev_b64 v[2:3], 3, v[2:3]
	v_mov_b32_e32 v4, s21
	v_add_co_u32_e32 v2, vcc, s20, v2
	v_addc_co_u32_e32 v3, vcc, v4, v3, vcc
	global_load_dwordx2 v[4:5], v[2:3], off
	s_branch .LBB29_106
.LBB29_117:
	s_or_b64 exec, exec, s[4:5]
; %bb.118:
	s_cmp_lt_i32 s45, 1
	s_waitcnt lgkmcnt(0)
	s_cbranch_scc1 .LBB29_131
; %bb.119:
	v_or_b32_e32 v2, v1, v0
	v_cmp_ne_u32_e64 s[2:3], 0, v2
	v_lshlrev_b32_e32 v2, 3, v0
	s_movk_i32 s22, 0x88
	v_mad_u32_u24 v2, v0, s22, v2
	v_mul_u32_u24_e32 v7, 0x88, v0
	s_movk_i32 s4, 0x1980
	v_add_u32_e32 v6, 0x1100, v2
	v_add_u32_e32 v8, 0x1980, v2
	v_mov_b32_e32 v2, 0x1100
	v_add3_u32 v10, v7, v14, s4
	s_mov_b32 s4, 0
	s_mov_b32 s18, 0
	s_add_i32 s19, s12, s13
	v_mad_u32_u24 v9, v1, s22, v2
	s_brev_b32 s5, 8
	v_mov_b32_e32 v11, 0x260
	v_mov_b32_e32 v12, 0x3ff00000
	;; [unrolled: 1-line block ×4, first 2 shown]
	s_branch .LBB29_121
.LBB29_120:                             ;   in Loop: Header=BB29_121 Depth=1
	s_or_b64 exec, exec, s[8:9]
	s_add_i32 s18, s18, 1
	s_cmp_eq_u32 s18, s45
	v_add_u32_e32 v9, 8, v9
	s_waitcnt lgkmcnt(0)
	s_cbranch_scc1 .LBB29_131
.LBB29_121:                             ; =>This Loop Header: Depth=1
                                        ;     Child Loop BB29_130 Depth 2
	v_cmp_eq_u32_e32 vcc, s18, v0
	s_and_saveexec_b64 s[8:9], vcc
	s_cbranch_execz .LBB29_123
; %bb.122:                              ;   in Loop: Header=BB29_121 Depth=1
	ds_read_b64 v[2:3], v6
	ds_read_b64 v[4:5], v8
	s_waitcnt lgkmcnt(0)
	v_add_f64 v[2:3], v[2:3], -v[4:5]
	v_xor_b32_e32 v4, 0x80000000, v3
	v_cmp_gt_f64_e32 vcc, 0, v[2:3]
	v_cndmask_b32_e32 v3, v3, v4, vcc
	v_cndmask_b32_e32 v2, v2, v2, vcc
	v_cmp_gt_f64_e32 vcc, s[4:5], v[2:3]
	v_cndmask_b32_e64 v4, 0, 1, vcc
	v_lshlrev_b32_e32 v4, 8, v4
	v_ldexp_f64 v[2:3], v[2:3], v4
	v_rsq_f64_e32 v[4:5], v[2:3]
	v_cndmask_b32_e32 v20, 0, v15, vcc
	v_cmp_class_f64_e32 vcc, v[2:3], v11
	v_mul_f64 v[16:17], v[2:3], v[4:5]
	v_mul_f64 v[4:5], v[4:5], 0.5
	v_fma_f64 v[18:19], -v[4:5], v[16:17], 0.5
	v_fmac_f64_e32 v[16:17], v[16:17], v[18:19]
	v_fmac_f64_e32 v[4:5], v[4:5], v[18:19]
	v_fma_f64 v[18:19], -v[16:17], v[16:17], v[2:3]
	v_fmac_f64_e32 v[16:17], v[18:19], v[4:5]
	v_fma_f64 v[18:19], -v[16:17], v[16:17], v[2:3]
	v_fmac_f64_e32 v[16:17], v[18:19], v[4:5]
	v_ldexp_f64 v[4:5], v[16:17], v20
	v_cndmask_b32_e32 v3, v5, v3, vcc
	v_cndmask_b32_e32 v2, v4, v2, vcc
	ds_write_b64 v6, v[2:3]
.LBB29_123:                             ;   in Loop: Header=BB29_121 Depth=1
	s_or_b64 exec, exec, s[8:9]
	s_lshl_b32 s8, s18, 3
	s_mul_i32 s9, s18, 0x88
	s_add_i32 s9, s9, s8
	v_mov_b32_e32 v2, s9
	s_waitcnt lgkmcnt(0)
	ds_read_b64 v[4:5], v2 offset:4352
	v_mov_b32_e32 v2, s8
	v_mad_u32_u24 v16, v0, s22, v2
	ds_read_b64 v[2:3], v16 offset:4352
	s_waitcnt lgkmcnt(1)
	v_cmp_neq_f64_e32 vcc, 0, v[4:5]
	s_or_b64 s[8:9], vcc, s[2:3]
	v_cndmask_b32_e32 v5, v12, v5, vcc
	s_xor_b64 s[16:17], s[8:9], -1
	v_cndmask_b32_e32 v4, 0, v4, vcc
	s_and_saveexec_b64 s[8:9], s[16:17]
	s_cbranch_execz .LBB29_127
; %bb.124:                              ;   in Loop: Header=BB29_121 Depth=1
	v_mbcnt_lo_u32_b32 v4, exec_lo, 0
	v_mbcnt_hi_u32_b32 v4, exec_hi, v4
	v_cmp_eq_u32_e32 vcc, 0, v4
	s_and_saveexec_b64 s[16:17], vcc
	s_cbranch_execz .LBB29_126
; %bb.125:                              ;   in Loop: Header=BB29_121 Depth=1
	v_mov_b32_e32 v4, s19
	global_atomic_smin v13, v4, s[14:15]
.LBB29_126:                             ;   in Loop: Header=BB29_121 Depth=1
	s_or_b64 exec, exec, s[16:17]
	v_mov_b32_e32 v4, 0
	v_mov_b32_e32 v5, 0x3ff00000
.LBB29_127:                             ;   in Loop: Header=BB29_121 Depth=1
	s_or_b64 exec, exec, s[8:9]
	v_cmp_lt_u32_e32 vcc, s18, v0
	s_and_saveexec_b64 s[8:9], vcc
	s_cbranch_execz .LBB29_120
; %bb.128:                              ;   in Loop: Header=BB29_121 Depth=1
	v_lshl_add_u32 v17, s18, 3, v7
	ds_read_b64 v[18:19], v17 offset:6528
	v_add_u32_e32 v24, 0x1100, v16
	s_waitcnt lgkmcnt(0)
	v_add_f64 v[2:3], v[2:3], -v[18:19]
	v_div_scale_f64 v[18:19], s[16:17], v[4:5], v[4:5], v[2:3]
	v_rcp_f64_e32 v[20:21], v[18:19]
	v_div_scale_f64 v[16:17], vcc, v[2:3], v[4:5], v[2:3]
	v_fma_f64 v[22:23], -v[18:19], v[20:21], 1.0
	v_fmac_f64_e32 v[20:21], v[20:21], v[22:23]
	v_fma_f64 v[22:23], -v[18:19], v[20:21], 1.0
	v_fmac_f64_e32 v[20:21], v[20:21], v[22:23]
	v_mul_f64 v[22:23], v[16:17], v[20:21]
	v_fma_f64 v[16:17], -v[18:19], v[22:23], v[16:17]
	v_div_fmas_f64 v[16:17], v[16:17], v[20:21], v[22:23]
	v_div_fixup_f64 v[2:3], v[16:17], v[4:5], v[2:3]
	ds_write_b64 v24, v[2:3]
	s_waitcnt lgkmcnt(0)
	s_and_b64 exec, exec, s[0:1]
	s_cbranch_execz .LBB29_120
; %bb.129:                              ;   in Loop: Header=BB29_121 Depth=1
	s_mov_b64 s[16:17], 0
	v_mov_b32_e32 v4, v10
	v_mov_b32_e32 v5, v9
	v_mov_b32_e32 v16, v1
.LBB29_130:                             ;   Parent Loop BB29_121 Depth=1
                                        ; =>  This Inner Loop Header: Depth=2
	ds_read_b64 v[18:19], v5
	ds_read_b64 v[20:21], v4
	v_add_u32_e32 v16, 4, v16
	v_cmp_le_i32_e32 vcc, s45, v16
	v_add_u32_e32 v5, 0x220, v5
	s_or_b64 s[16:17], vcc, s[16:17]
	s_waitcnt lgkmcnt(0)
	v_fmac_f64_e32 v[20:21], v[2:3], v[18:19]
	ds_write_b64 v4, v[20:21]
	v_add_u32_e32 v4, 32, v4
	s_andn2_b64 exec, exec, s[16:17]
	s_cbranch_execnz .LBB29_130
	s_branch .LBB29_120
.LBB29_131:
	s_and_saveexec_b64 s[2:3], s[0:1]
	s_cbranch_execz .LBB29_140
; %bb.132:
	s_mul_i32 s33, s33, s45
	v_add_u32_e32 v2, s33, v0
	s_cmp_lg_u32 s46, 0
	v_mul_lo_u32 v6, v2, s45
	v_mul_u32_u24_e32 v2, 0x88, v0
	s_movk_i32 s8, 0x1100
	v_cmp_gt_i32_e64 s[0:1], s45, v0
	s_cselect_b64 s[4:5], -1, 0
	v_add3_u32 v7, v2, v14, s8
	s_mov_b64 s[8:9], 0
	v_mov_b32_e32 v8, v1
	s_branch .LBB29_135
.LBB29_133:                             ;   in Loop: Header=BB29_135 Depth=1
	v_ashrrev_i32_e32 v5, 31, v4
	v_lshlrev_b64 v[4:5], 3, v[4:5]
	v_mov_b32_e32 v9, s21
	v_add_co_u32_e32 v4, vcc, s20, v4
	v_addc_co_u32_e32 v5, vcc, v9, v5, vcc
	s_waitcnt lgkmcnt(0)
	global_store_dwordx2 v[4:5], v[2:3], off
.LBB29_134:                             ;   in Loop: Header=BB29_135 Depth=1
	s_or_b64 exec, exec, s[16:17]
	v_add_u32_e32 v8, 4, v8
	v_cmp_le_i32_e32 vcc, s45, v8
	s_or_b64 s[8:9], vcc, s[8:9]
	v_add_u32_e32 v7, 32, v7
	s_andn2_b64 exec, exec, s[8:9]
	s_cbranch_execz .LBB29_140
.LBB29_135:                             ; =>This Inner Loop Header: Depth=1
	s_and_saveexec_b64 s[16:17], s[0:1]
	s_cbranch_execz .LBB29_134
; %bb.136:                              ;   in Loop: Header=BB29_135 Depth=1
	ds_read_b64 v[2:3], v7
	s_and_b64 vcc, exec, s[4:5]
	s_cbranch_vccz .LBB29_138
; %bb.137:                              ;   in Loop: Header=BB29_135 Depth=1
	v_add_u32_e32 v4, s33, v8
	v_mad_u64_u32 v[4:5], s[18:19], v4, s45, v[0:1]
	s_cbranch_execnz .LBB29_133
	s_branch .LBB29_139
.LBB29_138:                             ;   in Loop: Header=BB29_135 Depth=1
                                        ; implicit-def: $vgpr4
.LBB29_139:                             ;   in Loop: Header=BB29_135 Depth=1
	v_add_u32_e32 v4, v6, v8
	s_branch .LBB29_133
.LBB29_140:
	s_or_b64 exec, exec, s[2:3]
	v_or_b32_e32 v2, v1, v0
	v_cmp_eq_u32_e64 s[0:1], 0, v2
.LBB29_141:
	s_and_saveexec_b64 s[2:3], s[0:1]
	s_cbranch_execnz .LBB29_149
.LBB29_142:
	s_endpgm
.LBB29_143:
	s_mov_b64 s[0:1], 0
	s_cbranch_execz .LBB29_141
; %bb.144:
	v_or_b32_e32 v0, v1, v0
	v_cmp_eq_u32_e32 vcc, 0, v0
	s_and_saveexec_b64 s[2:3], vcc
	s_cbranch_execz .LBB29_148
; %bb.145:
	v_mbcnt_lo_u32_b32 v0, exec_lo, 0
	v_mbcnt_hi_u32_b32 v0, exec_hi, v0
	v_cmp_eq_u32_e32 vcc, 0, v0
	s_and_saveexec_b64 s[4:5], vcc
	s_cbranch_execz .LBB29_147
; %bb.146:
	s_add_i32 s8, s12, s13
	v_mov_b32_e32 v0, 0
	v_mov_b32_e32 v1, s8
	global_atomic_smin v0, v1, s[14:15]
.LBB29_147:
	s_or_b64 exec, exec, s[4:5]
	s_or_b64 s[0:1], s[0:1], exec
.LBB29_148:
	s_or_b64 exec, exec, s[2:3]
	s_and_saveexec_b64 s[2:3], s[0:1]
	s_cbranch_execz .LBB29_142
.LBB29_149:
	s_add_u32 s0, s10, s6
	s_addc_u32 s1, s11, s7
	v_mov_b32_e32 v0, 0
	v_mov_b32_e32 v1, 1
	s_waitcnt vmcnt(0)
	global_store_dword v0, v1, s[0:1]
	s_endpgm
	.section	.rodata,"a",@progbits
	.p2align	6, 0x0
	.amdhsa_kernel _ZN9rocsparseL18bsric0_9_16_kernelILi64ELi32ELi16EdEEv20rocsparse_direction_iiPKiS3_PT2_S3_PiS3_S6_21rocsparse_index_base_
		.amdhsa_group_segment_fixed_size 9088
		.amdhsa_private_segment_fixed_size 0
		.amdhsa_kernarg_size 76
		.amdhsa_user_sgpr_count 6
		.amdhsa_user_sgpr_private_segment_buffer 1
		.amdhsa_user_sgpr_dispatch_ptr 0
		.amdhsa_user_sgpr_queue_ptr 0
		.amdhsa_user_sgpr_kernarg_segment_ptr 1
		.amdhsa_user_sgpr_dispatch_id 0
		.amdhsa_user_sgpr_flat_scratch_init 0
		.amdhsa_user_sgpr_kernarg_preload_length 0
		.amdhsa_user_sgpr_kernarg_preload_offset 0
		.amdhsa_user_sgpr_private_segment_size 0
		.amdhsa_uses_dynamic_stack 0
		.amdhsa_system_sgpr_private_segment_wavefront_offset 0
		.amdhsa_system_sgpr_workgroup_id_x 1
		.amdhsa_system_sgpr_workgroup_id_y 0
		.amdhsa_system_sgpr_workgroup_id_z 0
		.amdhsa_system_sgpr_workgroup_info 0
		.amdhsa_system_vgpr_workitem_id 1
		.amdhsa_next_free_vgpr 70
		.amdhsa_next_free_sgpr 54
		.amdhsa_accum_offset 72
		.amdhsa_reserve_vcc 1
		.amdhsa_reserve_flat_scratch 0
		.amdhsa_float_round_mode_32 0
		.amdhsa_float_round_mode_16_64 0
		.amdhsa_float_denorm_mode_32 3
		.amdhsa_float_denorm_mode_16_64 3
		.amdhsa_dx10_clamp 1
		.amdhsa_ieee_mode 1
		.amdhsa_fp16_overflow 0
		.amdhsa_tg_split 0
		.amdhsa_exception_fp_ieee_invalid_op 0
		.amdhsa_exception_fp_denorm_src 0
		.amdhsa_exception_fp_ieee_div_zero 0
		.amdhsa_exception_fp_ieee_overflow 0
		.amdhsa_exception_fp_ieee_underflow 0
		.amdhsa_exception_fp_ieee_inexact 0
		.amdhsa_exception_int_div_zero 0
	.end_amdhsa_kernel
	.section	.text._ZN9rocsparseL18bsric0_9_16_kernelILi64ELi32ELi16EdEEv20rocsparse_direction_iiPKiS3_PT2_S3_PiS3_S6_21rocsparse_index_base_,"axG",@progbits,_ZN9rocsparseL18bsric0_9_16_kernelILi64ELi32ELi16EdEEv20rocsparse_direction_iiPKiS3_PT2_S3_PiS3_S6_21rocsparse_index_base_,comdat
.Lfunc_end29:
	.size	_ZN9rocsparseL18bsric0_9_16_kernelILi64ELi32ELi16EdEEv20rocsparse_direction_iiPKiS3_PT2_S3_PiS3_S6_21rocsparse_index_base_, .Lfunc_end29-_ZN9rocsparseL18bsric0_9_16_kernelILi64ELi32ELi16EdEEv20rocsparse_direction_iiPKiS3_PT2_S3_PiS3_S6_21rocsparse_index_base_
                                        ; -- End function
	.section	.AMDGPU.csdata,"",@progbits
; Kernel info:
; codeLenInByte = 5440
; NumSgprs: 58
; NumVgprs: 70
; NumAgprs: 0
; TotalNumVgprs: 70
; ScratchSize: 0
; MemoryBound: 0
; FloatMode: 240
; IeeeMode: 1
; LDSByteSize: 9088 bytes/workgroup (compile time only)
; SGPRBlocks: 7
; VGPRBlocks: 8
; NumSGPRsForWavesPerEU: 58
; NumVGPRsForWavesPerEU: 70
; AccumOffset: 72
; Occupancy: 2
; WaveLimiterHint : 1
; COMPUTE_PGM_RSRC2:SCRATCH_EN: 0
; COMPUTE_PGM_RSRC2:USER_SGPR: 6
; COMPUTE_PGM_RSRC2:TRAP_HANDLER: 0
; COMPUTE_PGM_RSRC2:TGID_X_EN: 1
; COMPUTE_PGM_RSRC2:TGID_Y_EN: 0
; COMPUTE_PGM_RSRC2:TGID_Z_EN: 0
; COMPUTE_PGM_RSRC2:TIDIG_COMP_CNT: 1
; COMPUTE_PGM_RSRC3_GFX90A:ACCUM_OFFSET: 17
; COMPUTE_PGM_RSRC3_GFX90A:TG_SPLIT: 0
	.section	.text._ZN9rocsparseL19bsric0_17_32_kernelILi64ELi32ELi32EdEEv20rocsparse_direction_iiPKiS3_PT2_S3_PiS3_S6_21rocsparse_index_base_,"axG",@progbits,_ZN9rocsparseL19bsric0_17_32_kernelILi64ELi32ELi32EdEEv20rocsparse_direction_iiPKiS3_PT2_S3_PiS3_S6_21rocsparse_index_base_,comdat
	.globl	_ZN9rocsparseL19bsric0_17_32_kernelILi64ELi32ELi32EdEEv20rocsparse_direction_iiPKiS3_PT2_S3_PiS3_S6_21rocsparse_index_base_ ; -- Begin function _ZN9rocsparseL19bsric0_17_32_kernelILi64ELi32ELi32EdEEv20rocsparse_direction_iiPKiS3_PT2_S3_PiS3_S6_21rocsparse_index_base_
	.p2align	8
	.type	_ZN9rocsparseL19bsric0_17_32_kernelILi64ELi32ELi32EdEEv20rocsparse_direction_iiPKiS3_PT2_S3_PiS3_S6_21rocsparse_index_base_,@function
_ZN9rocsparseL19bsric0_17_32_kernelILi64ELi32ELi32EdEEv20rocsparse_direction_iiPKiS3_PT2_S3_PiS3_S6_21rocsparse_index_base_: ; @_ZN9rocsparseL19bsric0_17_32_kernelILi64ELi32ELi32EdEEv20rocsparse_direction_iiPKiS3_PT2_S3_PiS3_S6_21rocsparse_index_base_
; %bb.0:
	s_load_dwordx8 s[8:15], s[4:5], 0x28
	s_mov_b32 s7, 0
	s_lshl_b64 s[0:1], s[6:7], 2
	v_and_b32_e32 v1, 0x3ff, v0
	v_bfe_u32 v0, v0, 10, 10
	s_waitcnt lgkmcnt(0)
	s_add_u32 s0, s12, s0
	s_addc_u32 s1, s13, s1
	s_load_dword s12, s[0:1], 0x0
	s_waitcnt lgkmcnt(0)
	s_ashr_i32 s13, s12, 31
	s_lshl_b64 s[6:7], s[12:13], 2
	s_add_u32 s0, s8, s6
	s_addc_u32 s1, s9, s7
	s_load_dword s33, s[0:1], 0x0
	s_load_dword s13, s[4:5], 0x48
	s_waitcnt lgkmcnt(0)
	s_cmp_lg_u32 s33, -1
	s_cbranch_scc0 .LBB30_131
; %bb.1:
	s_load_dwordx4 s[16:19], s[4:5], 0x10
	v_lshlrev_b32_e32 v3, 1, v0
	v_add_u32_e32 v4, v3, v1
	s_waitcnt lgkmcnt(0)
	s_add_u32 s0, s16, s6
	s_addc_u32 s1, s17, s7
	s_load_dword s28, s[0:1], 0x0
	s_waitcnt lgkmcnt(0)
	s_sub_i32 s46, s28, s13
	v_add_u32_e32 v2, s46, v4
	v_cmp_ge_i32_e32 vcc, s33, v2
	s_and_saveexec_b64 s[2:3], vcc
	s_cbranch_execz .LBB30_16
; %bb.2:
	v_add_u32_e32 v4, s28, v4
	v_subrev_u32_e32 v4, s13, v4
	v_add_u32_e32 v4, 64, v4
	s_add_i32 s0, s33, 1
	v_max_i32_e32 v4, s0, v4
	v_not_b32_e32 v5, v1
	v_add3_u32 v4, v4, s13, v5
	v_add_u32_e32 v3, s28, v3
	v_sub_u32_e32 v3, v4, v3
	s_movk_i32 s0, 0x640
	v_cmp_gt_u32_e32 vcc, s0, v3
	s_movk_i32 s0, 0x63f
	v_cmp_lt_u32_e64 s[0:1], s0, v3
	s_and_saveexec_b64 s[20:21], s[0:1]
	s_cbranch_execz .LBB30_13
; %bb.3:
	v_and_b32_e32 v4, 0xffffffc0, v3
	v_add_u32_e32 v4, v2, v4
	v_cmp_ge_i32_e64 s[0:1], v4, v2
	s_mov_b64 s[24:25], -1
	s_and_saveexec_b64 s[22:23], s[0:1]
	s_cbranch_execz .LBB30_12
; %bb.4:
	v_lshrrev_b32_e32 v14, 6, v3
	v_add_u32_e32 v4, -1, v14
	v_add_u32_e32 v3, 64, v2
	v_lshrrev_b32_e32 v5, 1, v4
	v_add_u32_e32 v15, 1, v5
	v_cmp_lt_u32_e64 s[0:1], 13, v4
	v_pk_mov_b32 v[4:5], v[2:3], v[2:3] op_sel:[0,1]
	s_and_saveexec_b64 s[24:25], s[0:1]
	s_cbranch_execz .LBB30_8
; %bb.5:
	v_and_b32_e32 v16, -8, v15
	s_mov_b64 s[26:27], 0
	v_mov_b32_e32 v17, s19
	v_pk_mov_b32 v[4:5], v[2:3], v[2:3] op_sel:[0,1]
.LBB30_6:                               ; =>This Inner Loop Header: Depth=1
	v_ashrrev_i32_e32 v21, 31, v4
	v_mov_b32_e32 v20, v4
	v_lshlrev_b64 v[20:21], 2, v[20:21]
	v_ashrrev_i32_e32 v19, 31, v5
	v_mov_b32_e32 v18, v5
	v_add_co_u32_e64 v20, s[0:1], s18, v20
	v_add_u32_e32 v6, 0x80, v4
	v_lshlrev_b64 v[18:19], 2, v[18:19]
	v_addc_co_u32_e64 v21, s[0:1], v17, v21, s[0:1]
	v_ashrrev_i32_e32 v7, 31, v6
	v_add_co_u32_e64 v18, s[0:1], s18, v18
	v_add_u32_e32 v8, 0x80, v5
	v_addc_co_u32_e64 v19, s[0:1], v17, v19, s[0:1]
	v_lshlrev_b64 v[42:43], 2, v[6:7]
	v_ashrrev_i32_e32 v9, 31, v8
	global_load_dword v3, v[20:21], off
	global_load_dword v7, v[18:19], off
	v_add_co_u32_e64 v18, s[0:1], s18, v42
	v_add_u32_e32 v10, 0x100, v4
	v_lshlrev_b64 v[44:45], 2, v[8:9]
	v_addc_co_u32_e64 v19, s[0:1], v17, v43, s[0:1]
	v_ashrrev_i32_e32 v11, 31, v10
	v_add_co_u32_e64 v20, s[0:1], s18, v44
	v_add_u32_e32 v12, 0x100, v5
	v_lshlrev_b64 v[46:47], 2, v[10:11]
	v_addc_co_u32_e64 v21, s[0:1], v17, v45, s[0:1]
	v_ashrrev_i32_e32 v13, 31, v12
	;; [unrolled: 5-line block ×12, first 2 shown]
	v_add_co_u32_e64 v62, s[0:1], s18, v66
	v_lshlrev_b64 v[68:69], 2, v[40:41]
	v_addc_co_u32_e64 v63, s[0:1], v17, v67, s[0:1]
	v_add_co_u32_e64 v64, s[0:1], s18, v68
	v_addc_co_u32_e64 v65, s[0:1], v17, v69, s[0:1]
	global_load_dword v9, v[20:21], off
	global_load_dword v11, v[18:19], off
	;; [unrolled: 1-line block ×14, first 2 shown]
	v_subrev_u32_e32 v19, s46, v4
	v_add_u32_e32 v16, -8, v16
	v_subrev_u32_e32 v18, s46, v5
	v_lshlrev_b32_e32 v19, 2, v19
	v_subrev_u32_e32 v6, s46, v6
	v_cmp_eq_u32_e64 s[0:1], 0, v16
	s_waitcnt vmcnt(14)
	v_subrev_u32_e32 v7, s13, v7
	v_subrev_u32_e32 v3, s13, v3
	v_add_u32_e32 v5, 0x400, v5
	v_add_u32_e32 v4, 0x400, v4
	v_lshlrev_b32_e32 v18, 2, v18
	v_subrev_u32_e32 v8, s46, v8
	v_subrev_u32_e32 v12, s46, v12
	;; [unrolled: 1-line block ×13, first 2 shown]
	v_lshlrev_b32_e32 v6, 2, v6
	s_or_b64 s[26:27], s[0:1], s[26:27]
	ds_write_b32 v19, v3 offset:25600
	ds_write_b32 v18, v7 offset:25600
	v_lshlrev_b32_e32 v8, 2, v8
	v_lshlrev_b32_e32 v10, 2, v10
	;; [unrolled: 1-line block ×13, first 2 shown]
	s_waitcnt vmcnt(13)
	v_subrev_u32_e32 v3, s13, v9
	s_waitcnt vmcnt(12)
	v_subrev_u32_e32 v7, s13, v11
	;; [unrolled: 2-line block ×14, first 2 shown]
	ds_write_b32 v6, v7 offset:25600
	ds_write_b32 v8, v3 offset:25600
	ds_write_b32 v10, v11 offset:25600
	ds_write_b32 v12, v9 offset:25600
	ds_write_b32 v21, v18 offset:25600
	ds_write_b32 v20, v13 offset:25600
	ds_write_b32 v24, v23 offset:25600
	ds_write_b32 v22, v19 offset:25600
	ds_write_b32 v28, v27 offset:25600
	ds_write_b32 v26, v25 offset:25600
	ds_write_b32 v32, v31 offset:25600
	ds_write_b32 v30, v29 offset:25600
	ds_write_b32 v36, v35 offset:25600
	ds_write_b32 v34, v33 offset:25600
	s_andn2_b64 exec, exec, s[26:27]
	s_cbranch_execnz .LBB30_6
; %bb.7:
	s_or_b64 exec, exec, s[26:27]
.LBB30_8:
	s_or_b64 exec, exec, s[24:25]
	v_and_b32_e32 v3, 7, v15
	v_cmp_ne_u32_e64 s[0:1], 0, v3
	s_and_saveexec_b64 s[24:25], s[0:1]
	s_cbranch_execz .LBB30_11
; %bb.9:
	s_mov_b64 s[26:27], 0
	v_mov_b32_e32 v6, s19
.LBB30_10:                              ; =>This Inner Loop Header: Depth=1
	v_ashrrev_i32_e32 v11, 31, v4
	v_mov_b32_e32 v10, v4
	v_lshlrev_b64 v[10:11], 2, v[10:11]
	v_ashrrev_i32_e32 v9, 31, v5
	v_mov_b32_e32 v8, v5
	v_add_co_u32_e64 v10, s[0:1], s18, v10
	v_lshlrev_b64 v[8:9], 2, v[8:9]
	v_addc_co_u32_e64 v11, s[0:1], v6, v11, s[0:1]
	v_add_co_u32_e64 v8, s[0:1], s18, v8
	v_addc_co_u32_e64 v9, s[0:1], v6, v9, s[0:1]
	global_load_dword v7, v[8:9], off
	global_load_dword v12, v[10:11], off
	v_add_u32_e32 v3, -1, v3
	v_subrev_u32_e32 v9, s46, v4
	v_cmp_eq_u32_e64 s[0:1], 0, v3
	v_subrev_u32_e32 v8, s46, v5
	v_add_u32_e32 v5, 0x80, v5
	v_add_u32_e32 v4, 0x80, v4
	v_lshlrev_b32_e32 v9, 2, v9
	s_or_b64 s[26:27], s[0:1], s[26:27]
	v_lshlrev_b32_e32 v8, 2, v8
	s_waitcnt vmcnt(1)
	v_subrev_u32_e32 v7, s13, v7
	s_waitcnt vmcnt(0)
	v_subrev_u32_e32 v10, s13, v12
	ds_write_b32 v9, v10 offset:25600
	ds_write_b32 v8, v7 offset:25600
	s_andn2_b64 exec, exec, s[26:27]
	s_cbranch_execnz .LBB30_10
.LBB30_11:
	s_or_b64 exec, exec, s[24:25]
	v_add_u32_e32 v3, 1, v14
	v_and_b32_e32 v4, 0x7fffffe, v3
	v_cmp_ne_u32_e64 s[0:1], v3, v4
	v_lshl_add_u32 v2, v4, 6, v2
	s_orn2_b64 s[24:25], s[0:1], exec
.LBB30_12:
	s_or_b64 exec, exec, s[22:23]
	s_andn2_b64 s[0:1], vcc, exec
	s_and_b64 s[22:23], s[24:25], exec
	s_or_b64 vcc, s[0:1], s[22:23]
.LBB30_13:
	s_or_b64 exec, exec, s[20:21]
	s_and_b64 exec, exec, vcc
	s_cbranch_execz .LBB30_16
; %bb.14:
	v_add_u32_e32 v3, s13, v2
	v_subrev_u32_e32 v3, s28, v3
	v_mov_b32_e32 v4, 0x6400
	v_lshl_add_u32 v4, v3, 2, v4
	s_mov_b64 s[0:1], 0
	v_mov_b32_e32 v5, s19
.LBB30_15:                              ; =>This Inner Loop Header: Depth=1
	v_ashrrev_i32_e32 v3, 31, v2
	v_lshlrev_b64 v[6:7], 2, v[2:3]
	v_add_co_u32_e32 v6, vcc, s18, v6
	v_addc_co_u32_e32 v7, vcc, v5, v7, vcc
	global_load_dword v3, v[6:7], off
	v_add_u32_e32 v2, 64, v2
	v_cmp_lt_i32_e32 vcc, s33, v2
	s_or_b64 s[0:1], vcc, s[0:1]
	s_waitcnt vmcnt(0)
	v_subrev_u32_e32 v3, s13, v3
	ds_write_b32 v4, v3
	v_add_u32_e32 v4, 0x100, v4
	s_andn2_b64 exec, exec, s[0:1]
	s_cbranch_execnz .LBB30_15
.LBB30_16:
	s_or_b64 exec, exec, s[2:3]
	s_load_dwordx2 s[20:21], s[4:5], 0x20
	v_cmp_gt_u32_e32 vcc, 32, v1
	v_lshlrev_b32_e32 v14, 3, v1
	s_and_saveexec_b64 s[0:1], vcc
	s_cbranch_execz .LBB30_19
; %bb.17:
	v_mul_u32_u24_e32 v2, 0x108, v0
	s_movk_i32 s2, 0x4200
	v_add3_u32 v5, v2, v14, s2
	v_mov_b32_e32 v2, 0
	v_add_u32_e32 v4, -2, v1
	s_mov_b64 s[2:3], 0
	v_mov_b32_e32 v3, v2
.LBB30_18:                              ; =>This Inner Loop Header: Depth=1
	v_add_u32_e32 v4, 2, v4
	v_cmp_lt_u32_e32 vcc, 29, v4
	ds_write_b64 v5, v[2:3]
	s_or_b64 s[2:3], vcc, s[2:3]
	v_add_u32_e32 v5, 16, v5
	s_andn2_b64 exec, exec, s[2:3]
	s_cbranch_execnz .LBB30_18
.LBB30_19:
	s_or_b64 exec, exec, s[0:1]
	s_load_dword s47, s[4:5], 0x8
	s_load_dword s48, s[4:5], 0x0
	s_cmp_ge_i32 s46, s33
	s_waitcnt lgkmcnt(0)
	v_cmp_gt_i32_e64 s[0:1], s47, v1
	s_cbranch_scc1 .LBB30_92
; %bb.20:
	s_cmp_eq_u32 s48, 0
	v_or_b32_e32 v2, v1, v0
	s_mul_i32 s26, s47, s46
	s_cselect_b64 s[22:23], -1, 0
	s_cmp_lg_u32 s48, 0
	v_cmp_ne_u32_e64 s[4:5], 0, v2
	s_movk_i32 s50, 0x108
	v_add_u32_e32 v2, s26, v0
	s_cselect_b64 s[24:25], -1, 0
	s_cmp_gt_i32 s47, 0
	v_mad_u32_u24 v16, v0, s50, v14
	v_mul_lo_u32 v18, s47, v2
	v_mov_b32_e32 v2, 0x2100
	s_mul_i32 s49, s47, s47
	v_cmp_gt_i32_e64 s[2:3], s47, v0
	v_mul_lo_u32 v15, v0, s47
	v_mul_lo_u32 v17, v1, s47
	s_cselect_b64 s[26:27], -1, 0
	s_lshl_b32 s51, s47, 1
	v_mad_u32_u24 v19, v0, s50, v2
	v_mad_u32_u24 v20, v1, s50, v2
	v_add_u32_e32 v21, 0x4200, v16
	v_add_u32_e32 v22, 0x2100, v16
	v_mov_b32_e32 v2, 0
	v_mul_u32_u24_e32 v23, 0x108, v0
	v_mov_b32_e32 v24, 0x3ff00000
	s_mov_b32 s28, s46
	s_branch .LBB30_22
.LBB30_21:                              ;   in Loop: Header=BB30_22 Depth=1
	s_or_b64 exec, exec, s[30:31]
	s_add_i32 s28, s28, 1
	s_cmp_ge_i32 s28, s33
	s_waitcnt vmcnt(0)
	buffer_wbinvl1_vol
	v_add_u32_e32 v18, s49, v18
	s_cselect_b64 s[30:31], -1, 0
	s_and_b64 vcc, exec, s[30:31]
	s_cbranch_vccnz .LBB30_92
.LBB30_22:                              ; =>This Loop Header: Depth=1
                                        ;     Child Loop BB30_26 Depth 2
                                        ;     Child Loop BB30_39 Depth 2
	;; [unrolled: 1-line block ×4, first 2 shown]
                                        ;       Child Loop BB30_57 Depth 3
                                        ;     Child Loop BB30_70 Depth 2
                                        ;       Child Loop BB30_77 Depth 3
                                        ;       Child Loop BB30_81 Depth 3
                                        ;     Child Loop BB30_86 Depth 2
	s_ashr_i32 s29, s28, 31
	s_lshl_b64 s[30:31], s[28:29], 2
	s_add_u32 s30, s18, s30
	s_addc_u32 s31, s19, s31
	s_load_dword s52, s[30:31], 0x0
	s_waitcnt lgkmcnt(0)
	s_sub_i32 s34, s52, s13
	s_ashr_i32 s35, s34, 31
	s_lshl_b64 s[30:31], s[34:35], 2
	s_add_u32 s36, s8, s30
	s_addc_u32 s37, s9, s31
	s_load_dword s53, s[36:37], 0x0
	s_waitcnt lgkmcnt(0)
	s_cmp_eq_u32 s53, -1
	s_cbranch_scc1 .LBB30_91
; %bb.23:                               ;   in Loop: Header=BB30_22 Depth=1
	s_add_u32 s36, s16, s30
	s_addc_u32 s37, s17, s31
	s_load_dword s35, s[36:37], 0x0
	s_mul_i32 s29, s28, s47
	s_and_saveexec_b64 s[36:37], s[0:1]
	s_cbranch_execz .LBB30_36
; %bb.24:                               ;   in Loop: Header=BB30_22 Depth=1
	s_mov_b64 s[38:39], 0
	v_mov_b32_e32 v8, v16
	v_mov_b32_e32 v9, v1
	s_branch .LBB30_26
.LBB30_25:                              ;   in Loop: Header=BB30_26 Depth=2
	s_or_b64 exec, exec, s[42:43]
	v_add_u32_e32 v9, 2, v9
	v_mov_b32_e32 v3, v2
	v_cmp_le_i32_e32 vcc, s47, v9
	s_waitcnt vmcnt(0)
	ds_write_b64 v8, v[6:7] offset:8448
	ds_write_b64 v8, v[2:3]
	s_or_b64 s[38:39], vcc, s[38:39]
	v_add_u32_e32 v8, 16, v8
	s_andn2_b64 exec, exec, s[38:39]
	s_cbranch_execz .LBB30_36
.LBB30_26:                              ;   Parent Loop BB30_22 Depth=1
                                        ; =>  This Inner Loop Header: Depth=2
	s_and_b64 vcc, exec, s[24:25]
	s_cbranch_vccz .LBB30_30
; %bb.27:                               ;   in Loop: Header=BB30_26 Depth=2
	s_mov_b64 s[42:43], 0
	s_mov_b64 s[40:41], 0
                                        ; implicit-def: $vgpr4
	s_and_saveexec_b64 s[44:45], s[2:3]
	s_xor_b64 s[44:45], exec, s[44:45]
; %bb.28:                               ;   in Loop: Header=BB30_26 Depth=2
	v_add_u32_e32 v3, s29, v9
	s_mov_b64 s[40:41], exec
	v_mad_u64_u32 v[4:5], s[54:55], v3, s47, v[0:1]
; %bb.29:                               ;   in Loop: Header=BB30_26 Depth=2
	s_or_b64 exec, exec, s[44:45]
	s_and_b64 vcc, exec, s[42:43]
	s_cbranch_vccnz .LBB30_31
	s_branch .LBB30_34
.LBB30_30:                              ;   in Loop: Header=BB30_26 Depth=2
	s_mov_b64 s[42:43], -1
	s_mov_b64 s[40:41], 0
                                        ; implicit-def: $vgpr4
	s_cbranch_execz .LBB30_34
.LBB30_31:                              ;   in Loop: Header=BB30_26 Depth=2
                                        ; implicit-def: $vgpr4
	s_and_saveexec_b64 s[42:43], s[2:3]
; %bb.32:                               ;   in Loop: Header=BB30_26 Depth=2
	v_add_u32_e32 v4, v18, v9
	s_or_b64 s[40:41], s[40:41], exec
; %bb.33:                               ;   in Loop: Header=BB30_26 Depth=2
	s_or_b64 exec, exec, s[42:43]
	s_mov_b64 s[42:43], 0
.LBB30_34:                              ;   in Loop: Header=BB30_26 Depth=2
	v_pk_mov_b32 v[6:7], s[42:43], s[42:43] op_sel:[0,1]
	s_and_saveexec_b64 s[42:43], s[40:41]
	s_cbranch_execz .LBB30_25
; %bb.35:                               ;   in Loop: Header=BB30_26 Depth=2
	v_ashrrev_i32_e32 v5, 31, v4
	v_lshlrev_b64 v[4:5], 3, v[4:5]
	v_mov_b32_e32 v3, s21
	v_add_co_u32_e32 v4, vcc, s20, v4
	v_addc_co_u32_e32 v5, vcc, v3, v5, vcc
	global_load_dwordx2 v[6:7], v[4:5], off
	s_branch .LBB30_25
.LBB30_36:                              ;   in Loop: Header=BB30_22 Depth=1
	s_or_b64 exec, exec, s[36:37]
; %bb.37:                               ;   in Loop: Header=BB30_22 Depth=1
	ds_read_b32 v3, v2 offset:25600
	s_waitcnt lgkmcnt(0)
	s_sub_i32 s36, s35, s13
	s_cmp_le_i32 s36, s53
	s_cselect_b64 s[38:39], -1, 0
	s_mov_b32 s37, 0
	v_cmp_ge_i32_e32 vcc, s34, v3
	s_and_b64 s[38:39], s[38:39], vcc
	s_andn2_b64 vcc, exec, s[38:39]
	s_cbranch_vccnz .LBB30_49
; %bb.38:                               ;   in Loop: Header=BB30_22 Depth=1
	s_mov_b32 s35, 0
	s_mov_b32 s40, 0
.LBB30_39:                              ;   Parent Loop BB30_22 Depth=1
                                        ; =>  This Inner Loop Header: Depth=2
	s_ashr_i32 s37, s36, 31
	s_lshl_b64 s[38:39], s[36:37], 2
	s_add_u32 s38, s18, s38
	s_addc_u32 s39, s19, s39
	s_load_dword s37, s[38:39], 0x0
	s_lshl_b32 s38, s40, 2
	v_mov_b32_e32 v3, s38
	ds_read_b32 v3, v3 offset:25600
	s_mov_b64 s[38:39], -1
	s_waitcnt lgkmcnt(0)
	s_sub_i32 s44, s37, s13
                                        ; implicit-def: $sgpr37
                                        ; implicit-def: $sgpr43
                                        ; implicit-def: $sgpr42
	v_cmp_ge_i32_e32 vcc, s44, v3
	v_readfirstlane_b32 s41, v3
	s_cbranch_vccz .LBB30_45
; %bb.40:                               ;   in Loop: Header=BB30_39 Depth=2
	s_cmp_le_i32 s44, s41
                                        ; implicit-def: $sgpr37
                                        ; implicit-def: $sgpr43
                                        ; implicit-def: $sgpr42
	s_cbranch_scc0 .LBB30_42
; %bb.41:                               ;   in Loop: Header=BB30_39 Depth=2
	s_add_i32 s37, s40, s46
	s_mul_i32 s37, s37, s49
	s_lshl_b32 s38, s35, 2
	v_mov_b32_e32 v3, s38
	v_mov_b32_e32 v4, s37
	s_mul_i32 s37, s36, s49
	v_mov_b32_e32 v5, s37
	v_add_u32_e32 v3, 0x6000, v3
	ds_write2_b32 v3, v5, v4 offset0:192 offset1:224
	s_add_i32 s42, s40, 1
	s_add_i32 s43, s36, 1
	;; [unrolled: 1-line block ×3, first 2 shown]
	s_mov_b64 s[38:39], 0
.LBB30_42:                              ;   in Loop: Header=BB30_39 Depth=2
	s_andn2_b64 vcc, exec, s[38:39]
	s_cbranch_vccnz .LBB30_44
; %bb.43:                               ;   in Loop: Header=BB30_39 Depth=2
	s_add_i32 s42, s40, 1
	s_mov_b32 s37, s35
	s_mov_b32 s43, s36
.LBB30_44:                              ;   in Loop: Header=BB30_39 Depth=2
	s_mov_b64 s[38:39], 0
.LBB30_45:                              ;   in Loop: Header=BB30_39 Depth=2
	s_andn2_b64 vcc, exec, s[38:39]
	s_cbranch_vccnz .LBB30_47
; %bb.46:                               ;   in Loop: Header=BB30_39 Depth=2
	s_add_i32 s43, s36, 1
	s_mov_b32 s42, s40
	s_mov_b32 s37, s35
.LBB30_47:                              ;   in Loop: Header=BB30_39 Depth=2
	s_cmp_le_i32 s43, s53
	s_cselect_b64 s[38:39], -1, 0
	s_cmp_le_i32 s41, s34
	s_cselect_b64 s[40:41], -1, 0
	s_and_b64 s[38:39], s[38:39], s[40:41]
	s_and_b64 vcc, exec, s[38:39]
	s_cbranch_vccz .LBB30_49
; %bb.48:                               ;   in Loop: Header=BB30_39 Depth=2
	s_mov_b32 s35, s37
	s_mov_b32 s36, s43
	;; [unrolled: 1-line block ×3, first 2 shown]
	s_branch .LBB30_39
.LBB30_49:                              ;   in Loop: Header=BB30_22 Depth=1
	s_add_u32 s30, s10, s30
	s_addc_u32 s31, s11, s31
	s_waitcnt lgkmcnt(0)
.LBB30_50:                              ;   Parent Loop BB30_22 Depth=1
                                        ; =>  This Inner Loop Header: Depth=2
	global_load_dword v3, v2, s[30:31] glc
	s_waitcnt vmcnt(0)
	v_cmp_eq_u32_e32 vcc, 0, v3
	s_cbranch_vccnz .LBB30_50
; %bb.51:                               ;   in Loop: Header=BB30_22 Depth=1
	s_cmp_lt_i32 s37, 2
	buffer_wbinvl1_vol
	s_cbranch_scc1 .LBB30_67
; %bb.52:                               ;   in Loop: Header=BB30_22 Depth=1
	s_add_i32 s38, s37, -2
	s_mov_b32 s39, 0
	s_branch .LBB30_54
.LBB30_53:                              ;   in Loop: Header=BB30_54 Depth=2
	s_or_b64 exec, exec, s[30:31]
	s_add_i32 s30, s39, 1
	s_cmp_eq_u32 s39, s38
	s_mov_b32 s39, s30
	s_cbranch_scc1 .LBB30_67
.LBB30_54:                              ;   Parent Loop BB30_22 Depth=1
                                        ; =>  This Loop Header: Depth=2
                                        ;       Child Loop BB30_57 Depth 3
	s_and_saveexec_b64 s[30:31], s[0:1]
	s_cbranch_execz .LBB30_53
; %bb.55:                               ;   in Loop: Header=BB30_54 Depth=2
	s_lshl_b32 s34, s39, 2
	v_mov_b32_e32 v3, s34
	v_add_u32_e32 v3, 0x6000, v3
	ds_read2_b32 v[4:5], v3 offset0:192 offset1:224
	s_mov_b64 s[34:35], 0
	v_mov_b32_e32 v28, v1
	s_waitcnt lgkmcnt(0)
	v_add_u32_e32 v3, v5, v15
	v_add_u32_e32 v25, v0, v5
	;; [unrolled: 1-line block ×4, first 2 shown]
	s_branch .LBB30_57
.LBB30_56:                              ;   in Loop: Header=BB30_57 Depth=3
	v_lshlrev_b32_e32 v4, 3, v28
	v_mad_u32_u24 v6, v0, s50, v4
	ds_read_b64 v[4:5], v6
	v_add_u32_e32 v28, 2, v28
	v_cmp_le_i32_e32 vcc, s47, v28
	v_add_u32_e32 v26, 2, v26
	s_or_b64 s[34:35], vcc, s[34:35]
	s_waitcnt lgkmcnt(0)
	v_add_f64 v[4:5], v[10:11], v[4:5]
	v_add_u32_e32 v27, s51, v27
	ds_write_b64 v6, v[4:5]
	s_andn2_b64 exec, exec, s[34:35]
	s_cbranch_execz .LBB30_53
.LBB30_57:                              ;   Parent Loop BB30_22 Depth=1
                                        ;     Parent Loop BB30_54 Depth=2
                                        ; =>    This Inner Loop Header: Depth=3
	s_mov_b32 s40, 0
	v_pk_mov_b32 v[8:9], 0, 0
	v_mov_b32_e32 v4, v26
	v_mov_b32_e32 v6, v25
	s_and_b64 vcc, exec, s[24:25]
	s_cbranch_vccz .LBB30_61
.LBB30_58:                              ;   in Loop: Header=BB30_57 Depth=3
	v_ashrrev_i32_e32 v5, 31, v4
	v_lshlrev_b64 v[10:11], 3, v[4:5]
	v_mov_b32_e32 v5, s21
	v_add_co_u32_e32 v10, vcc, s20, v10
	v_addc_co_u32_e32 v11, vcc, v5, v11, vcc
	global_load_dwordx2 v[10:11], v[10:11], off
	v_pk_mov_b32 v[12:13], 0, 0
	s_and_saveexec_b64 s[36:37], s[2:3]
	s_cbranch_execz .LBB30_60
; %bb.59:                               ;   in Loop: Header=BB30_57 Depth=3
	v_ashrrev_i32_e32 v7, 31, v6
	v_lshlrev_b64 v[12:13], 3, v[6:7]
	v_mov_b32_e32 v5, s21
	v_add_co_u32_e32 v12, vcc, s20, v12
	v_addc_co_u32_e32 v13, vcc, v5, v13, vcc
	global_load_dwordx2 v[12:13], v[12:13], off
.LBB30_60:                              ;   in Loop: Header=BB30_57 Depth=3
	s_or_b64 exec, exec, s[36:37]
	s_waitcnt vmcnt(0)
	v_fma_f64 v[10:11], v[10:11], v[12:13], v[8:9]
	s_branch .LBB30_65
.LBB30_61:                              ;   in Loop: Header=BB30_57 Depth=3
                                        ; implicit-def: $vgpr10_vgpr11
	s_cbranch_execz .LBB30_65
; %bb.62:                               ;   in Loop: Header=BB30_57 Depth=3
	v_add_u32_e32 v10, s40, v27
	v_ashrrev_i32_e32 v11, 31, v10
	v_lshlrev_b64 v[10:11], 3, v[10:11]
	v_mov_b32_e32 v5, s21
	v_add_co_u32_e32 v10, vcc, s20, v10
	v_addc_co_u32_e32 v11, vcc, v5, v11, vcc
	global_load_dwordx2 v[10:11], v[10:11], off
	v_pk_mov_b32 v[12:13], 0, 0
	s_and_saveexec_b64 s[36:37], s[2:3]
	s_cbranch_execz .LBB30_64
; %bb.63:                               ;   in Loop: Header=BB30_57 Depth=3
	v_add_u32_e32 v12, s40, v3
	v_ashrrev_i32_e32 v13, 31, v12
	v_lshlrev_b64 v[12:13], 3, v[12:13]
	v_mov_b32_e32 v5, s21
	v_add_co_u32_e32 v12, vcc, s20, v12
	v_addc_co_u32_e32 v13, vcc, v5, v13, vcc
	global_load_dwordx2 v[12:13], v[12:13], off
.LBB30_64:                              ;   in Loop: Header=BB30_57 Depth=3
	s_or_b64 exec, exec, s[36:37]
	s_waitcnt vmcnt(0)
	v_fmac_f64_e32 v[8:9], v[10:11], v[12:13]
	v_pk_mov_b32 v[10:11], v[8:9], v[8:9] op_sel:[0,1]
.LBB30_65:                              ;   in Loop: Header=BB30_57 Depth=3
	s_add_i32 s40, s40, 1
	v_add_u32_e32 v6, s47, v6
	s_cmp_eq_u32 s47, s40
	v_add_u32_e32 v4, s47, v4
	s_cbranch_scc1 .LBB30_56
; %bb.66:                               ;   in Loop: Header=BB30_57 Depth=3
	v_pk_mov_b32 v[8:9], v[10:11], v[10:11] op_sel:[0,1]
	s_and_b64 vcc, exec, s[24:25]
	s_cbranch_vccz .LBB30_61
	s_branch .LBB30_58
.LBB30_67:                              ;   in Loop: Header=BB30_22 Depth=1
	s_andn2_b64 vcc, exec, s[26:27]
	s_waitcnt lgkmcnt(0)
	s_cbranch_vccnz .LBB30_82
; %bb.68:                               ;   in Loop: Header=BB30_22 Depth=1
	s_mul_i32 s36, s49, s53
	s_mov_b32 s37, 0
	v_mov_b32_e32 v3, v20
	s_mov_b32 s38, s36
	s_branch .LBB30_70
.LBB30_69:                              ;   in Loop: Header=BB30_70 Depth=2
	s_or_b64 exec, exec, s[30:31]
	s_add_i32 s37, s37, 1
	s_add_i32 s38, s38, 1
	s_cmp_eq_u32 s37, s47
	v_add_u32_e32 v3, 8, v3
	s_waitcnt lgkmcnt(0)
	s_cbranch_scc1 .LBB30_82
.LBB30_70:                              ;   Parent Loop BB30_22 Depth=1
                                        ; =>  This Loop Header: Depth=2
                                        ;       Child Loop BB30_77 Depth 3
                                        ;       Child Loop BB30_81 Depth 3
	s_mul_i32 s39, s37, s47
	s_add_i32 s39, s39, s36
	s_add_i32 s30, s39, s37
	s_ashr_i32 s31, s30, 31
	s_lshl_b64 s[30:31], s[30:31], 3
	s_add_u32 s30, s20, s30
	s_addc_u32 s31, s21, s31
	global_load_dwordx2 v[6:7], v2, s[30:31]
	v_lshl_add_u32 v10, s37, 3, v23
	ds_read_b64 v[4:5], v10 offset:8448
	s_waitcnt vmcnt(0)
	v_cmp_neq_f64_e32 vcc, 0, v[6:7]
	s_or_b64 s[30:31], vcc, s[4:5]
	v_cndmask_b32_e32 v7, v24, v7, vcc
	s_xor_b64 s[34:35], s[30:31], -1
	v_cndmask_b32_e32 v6, 0, v6, vcc
	s_and_saveexec_b64 s[30:31], s[34:35]
	s_cbranch_execz .LBB30_74
; %bb.71:                               ;   in Loop: Header=BB30_70 Depth=2
	v_mbcnt_lo_u32_b32 v6, exec_lo, 0
	v_mbcnt_hi_u32_b32 v6, exec_hi, v6
	v_cmp_eq_u32_e32 vcc, 0, v6
	s_and_saveexec_b64 s[34:35], vcc
	s_cbranch_execz .LBB30_73
; %bb.72:                               ;   in Loop: Header=BB30_70 Depth=2
	v_mov_b32_e32 v6, s52
	global_atomic_smin v2, v6, s[14:15]
.LBB30_73:                              ;   in Loop: Header=BB30_70 Depth=2
	s_or_b64 exec, exec, s[34:35]
	v_mov_b32_e32 v6, 0
	v_mov_b32_e32 v7, 0x3ff00000
.LBB30_74:                              ;   in Loop: Header=BB30_70 Depth=2
	s_or_b64 exec, exec, s[30:31]
	ds_read_b64 v[8:9], v10
	s_cmp_eq_u32 s37, 0
	s_cbranch_scc1 .LBB30_79
; %bb.75:                               ;   in Loop: Header=BB30_70 Depth=2
	s_mov_b32 s34, 0
	s_mov_b32 s35, s38
	v_mov_b32_e32 v11, v19
	s_branch .LBB30_77
.LBB30_76:                              ;   in Loop: Header=BB30_77 Depth=3
	s_ashr_i32 s31, s30, 31
	s_lshl_b64 s[30:31], s[30:31], 3
	s_add_u32 s30, s20, s30
	s_addc_u32 s31, s21, s31
	global_load_dwordx2 v[12:13], v2, s[30:31]
	ds_read_b64 v[26:27], v11
	s_add_i32 s34, s34, 1
	s_add_i32 s35, s35, s47
	s_cmp_ge_u32 s34, s37
	v_add_u32_e32 v11, 8, v11
	s_waitcnt vmcnt(0) lgkmcnt(0)
	v_fmac_f64_e32 v[8:9], v[12:13], v[26:27]
	s_cbranch_scc1 .LBB30_79
.LBB30_77:                              ;   Parent Loop BB30_22 Depth=1
                                        ;     Parent Loop BB30_70 Depth=2
                                        ; =>    This Inner Loop Header: Depth=3
	s_andn2_b64 vcc, exec, s[22:23]
	s_mov_b32 s30, s35
	s_cbranch_vccnz .LBB30_76
; %bb.78:                               ;   in Loop: Header=BB30_77 Depth=3
	s_add_i32 s30, s34, s39
	s_branch .LBB30_76
.LBB30_79:                              ;   in Loop: Header=BB30_70 Depth=2
	s_waitcnt lgkmcnt(0)
	v_add_f64 v[4:5], v[4:5], -v[8:9]
	v_div_scale_f64 v[8:9], s[30:31], v[6:7], v[6:7], v[4:5]
	v_rcp_f64_e32 v[12:13], v[8:9]
	v_div_scale_f64 v[26:27], vcc, v[4:5], v[6:7], v[4:5]
	v_add_u32_e32 v10, 0x2100, v10
	v_fma_f64 v[28:29], -v[8:9], v[12:13], 1.0
	v_fmac_f64_e32 v[12:13], v[12:13], v[28:29]
	v_fma_f64 v[28:29], -v[8:9], v[12:13], 1.0
	v_fmac_f64_e32 v[12:13], v[12:13], v[28:29]
	v_mul_f64 v[28:29], v[26:27], v[12:13]
	v_fma_f64 v[8:9], -v[8:9], v[28:29], v[26:27]
	v_div_fmas_f64 v[8:9], v[8:9], v[12:13], v[28:29]
	v_div_fixup_f64 v[4:5], v[8:9], v[6:7], v[4:5]
	ds_write_b64 v10, v[4:5]
	s_waitcnt lgkmcnt(0)
	s_and_saveexec_b64 s[30:31], s[0:1]
	s_cbranch_execz .LBB30_69
; %bb.80:                               ;   in Loop: Header=BB30_70 Depth=2
	s_mov_b64 s[34:35], 0
	v_mov_b32_e32 v6, v21
	v_mov_b32_e32 v7, v3
	;; [unrolled: 1-line block ×3, first 2 shown]
.LBB30_81:                              ;   Parent Loop BB30_22 Depth=1
                                        ;     Parent Loop BB30_70 Depth=2
                                        ; =>    This Inner Loop Header: Depth=3
	ds_read_b64 v[10:11], v7
	ds_read_b64 v[12:13], v6
	v_add_u32_e32 v8, 2, v8
	v_cmp_le_i32_e32 vcc, s47, v8
	v_add_u32_e32 v7, 0x210, v7
	s_or_b64 s[34:35], vcc, s[34:35]
	s_waitcnt lgkmcnt(0)
	v_fmac_f64_e32 v[12:13], v[4:5], v[10:11]
	ds_write_b64 v6, v[12:13]
	v_add_u32_e32 v6, 16, v6
	s_andn2_b64 exec, exec, s[34:35]
	s_cbranch_execnz .LBB30_81
	s_branch .LBB30_69
.LBB30_82:                              ;   in Loop: Header=BB30_22 Depth=1
	s_and_saveexec_b64 s[30:31], s[0:1]
	s_cbranch_execz .LBB30_21
; %bb.83:                               ;   in Loop: Header=BB30_22 Depth=1
	s_mov_b64 s[34:35], 0
	v_mov_b32_e32 v3, v22
	v_mov_b32_e32 v8, v1
	s_branch .LBB30_86
.LBB30_84:                              ;   in Loop: Header=BB30_86 Depth=2
	v_ashrrev_i32_e32 v7, 31, v6
	v_lshlrev_b64 v[6:7], 3, v[6:7]
	v_mov_b32_e32 v9, s21
	v_add_co_u32_e32 v6, vcc, s20, v6
	v_addc_co_u32_e32 v7, vcc, v9, v7, vcc
	s_waitcnt lgkmcnt(0)
	global_store_dwordx2 v[6:7], v[4:5], off
.LBB30_85:                              ;   in Loop: Header=BB30_86 Depth=2
	s_or_b64 exec, exec, s[36:37]
	v_add_u32_e32 v8, 2, v8
	v_cmp_le_i32_e32 vcc, s47, v8
	s_or_b64 s[34:35], vcc, s[34:35]
	v_add_u32_e32 v3, 16, v3
	s_andn2_b64 exec, exec, s[34:35]
	s_cbranch_execz .LBB30_21
.LBB30_86:                              ;   Parent Loop BB30_22 Depth=1
                                        ; =>  This Inner Loop Header: Depth=2
	s_and_saveexec_b64 s[36:37], s[2:3]
	s_cbranch_execz .LBB30_85
; %bb.87:                               ;   in Loop: Header=BB30_86 Depth=2
	ds_read_b64 v[4:5], v3
	s_and_b64 vcc, exec, s[24:25]
	s_cbranch_vccz .LBB30_89
; %bb.88:                               ;   in Loop: Header=BB30_86 Depth=2
	v_add_u32_e32 v6, s29, v8
	v_mad_u64_u32 v[6:7], s[38:39], v6, s47, v[0:1]
	s_cbranch_execnz .LBB30_84
	s_branch .LBB30_90
.LBB30_89:                              ;   in Loop: Header=BB30_86 Depth=2
                                        ; implicit-def: $vgpr6
.LBB30_90:                              ;   in Loop: Header=BB30_86 Depth=2
	v_add_u32_e32 v6, v18, v8
	s_branch .LBB30_84
.LBB30_91:                              ;   in Loop: Header=BB30_22 Depth=1
                                        ; implicit-def: $sgpr28
                                        ; implicit-def: $vgpr18
	s_cbranch_execz .LBB30_22
.LBB30_92:
	v_cmp_gt_i32_e64 s[0:1], s47, v1
	s_and_saveexec_b64 s[4:5], s[0:1]
	s_cbranch_execz .LBB30_105
; %bb.93:
	s_mul_i32 s26, s33, s47
	v_add_u32_e32 v2, s26, v0
	s_cmp_lg_u32 s48, 0
	v_mul_lo_u32 v6, v2, s47
	v_mul_u32_u24_e32 v2, 0x108, v0
	s_movk_i32 s16, 0x2100
	s_cselect_b64 s[8:9], -1, 0
	v_cmp_gt_i32_e64 s[2:3], s47, v0
	v_add3_u32 v7, v2, v14, s16
	s_mov_b64 s[16:17], 0
	v_mov_b32_e32 v8, v1
	s_branch .LBB30_95
.LBB30_94:                              ;   in Loop: Header=BB30_95 Depth=1
	s_or_b64 exec, exec, s[22:23]
	v_add_u32_e32 v8, 2, v8
	v_cmp_le_i32_e32 vcc, s47, v8
	s_waitcnt vmcnt(0)
	ds_write_b64 v7, v[4:5]
	s_or_b64 s[16:17], vcc, s[16:17]
	v_add_u32_e32 v7, 16, v7
	s_andn2_b64 exec, exec, s[16:17]
	s_cbranch_execz .LBB30_105
.LBB30_95:                              ; =>This Inner Loop Header: Depth=1
	s_and_b64 vcc, exec, s[8:9]
	s_cbranch_vccz .LBB30_100
; %bb.96:                               ;   in Loop: Header=BB30_95 Depth=1
	s_mov_b64 s[22:23], 0
	s_mov_b64 s[18:19], 0
                                        ; implicit-def: $vgpr2
	s_and_saveexec_b64 s[24:25], s[2:3]
	s_xor_b64 s[24:25], exec, s[24:25]
; %bb.97:                               ;   in Loop: Header=BB30_95 Depth=1
	v_add_u32_e32 v2, s26, v8
	s_mov_b64 s[18:19], exec
	v_mad_u64_u32 v[2:3], s[28:29], v2, s47, v[0:1]
; %bb.98:                               ;   in Loop: Header=BB30_95 Depth=1
	s_or_b64 exec, exec, s[24:25]
	s_and_b64 vcc, exec, s[22:23]
	s_cbranch_vccnz .LBB30_101
.LBB30_99:                              ;   in Loop: Header=BB30_95 Depth=1
	v_pk_mov_b32 v[4:5], s[22:23], s[22:23] op_sel:[0,1]
	s_and_saveexec_b64 s[22:23], s[18:19]
	s_cbranch_execz .LBB30_94
	s_branch .LBB30_104
.LBB30_100:                             ;   in Loop: Header=BB30_95 Depth=1
	s_mov_b64 s[22:23], -1
	s_mov_b64 s[18:19], 0
                                        ; implicit-def: $vgpr2
	s_cbranch_execz .LBB30_99
.LBB30_101:                             ;   in Loop: Header=BB30_95 Depth=1
                                        ; implicit-def: $vgpr2
	s_and_saveexec_b64 s[22:23], s[2:3]
; %bb.102:                              ;   in Loop: Header=BB30_95 Depth=1
	v_add_u32_e32 v2, v6, v8
	s_or_b64 s[18:19], s[18:19], exec
; %bb.103:                              ;   in Loop: Header=BB30_95 Depth=1
	s_or_b64 exec, exec, s[22:23]
	s_mov_b64 s[22:23], 0
	v_pk_mov_b32 v[4:5], s[22:23], s[22:23] op_sel:[0,1]
	s_and_saveexec_b64 s[22:23], s[18:19]
	s_cbranch_execz .LBB30_94
.LBB30_104:                             ;   in Loop: Header=BB30_95 Depth=1
	v_ashrrev_i32_e32 v3, 31, v2
	v_lshlrev_b64 v[2:3], 3, v[2:3]
	v_mov_b32_e32 v4, s21
	v_add_co_u32_e32 v2, vcc, s20, v2
	v_addc_co_u32_e32 v3, vcc, v4, v3, vcc
	global_load_dwordx2 v[4:5], v[2:3], off
	s_branch .LBB30_94
.LBB30_105:
	s_or_b64 exec, exec, s[4:5]
; %bb.106:
	s_cmp_lt_i32 s47, 1
	s_waitcnt lgkmcnt(0)
	s_cbranch_scc1 .LBB30_119
; %bb.107:
	v_or_b32_e32 v2, v1, v0
	v_cmp_ne_u32_e64 s[2:3], 0, v2
	v_lshlrev_b32_e32 v2, 3, v0
	s_movk_i32 s22, 0x108
	v_mad_u32_u24 v2, v0, s22, v2
	v_mul_u32_u24_e32 v7, 0x108, v0
	s_movk_i32 s4, 0x4200
	v_add_u32_e32 v6, 0x2100, v2
	v_add_u32_e32 v8, 0x4200, v2
	v_mov_b32_e32 v2, 0x2100
	v_add3_u32 v10, v7, v14, s4
	s_mov_b32 s4, 0
	s_mov_b32 s18, 0
	s_add_i32 s19, s12, s13
	v_mad_u32_u24 v9, v1, s22, v2
	s_brev_b32 s5, 8
	v_mov_b32_e32 v11, 0x260
	v_mov_b32_e32 v12, 0x3ff00000
	;; [unrolled: 1-line block ×4, first 2 shown]
	s_branch .LBB30_109
.LBB30_108:                             ;   in Loop: Header=BB30_109 Depth=1
	s_or_b64 exec, exec, s[8:9]
	s_add_i32 s18, s18, 1
	s_cmp_eq_u32 s18, s47
	v_add_u32_e32 v9, 8, v9
	s_waitcnt lgkmcnt(0)
	s_cbranch_scc1 .LBB30_119
.LBB30_109:                             ; =>This Loop Header: Depth=1
                                        ;     Child Loop BB30_118 Depth 2
	v_cmp_eq_u32_e32 vcc, s18, v0
	s_and_saveexec_b64 s[8:9], vcc
	s_cbranch_execz .LBB30_111
; %bb.110:                              ;   in Loop: Header=BB30_109 Depth=1
	ds_read_b64 v[2:3], v6
	ds_read_b64 v[4:5], v8
	s_waitcnt lgkmcnt(0)
	v_add_f64 v[2:3], v[2:3], -v[4:5]
	v_xor_b32_e32 v4, 0x80000000, v3
	v_cmp_gt_f64_e32 vcc, 0, v[2:3]
	v_cndmask_b32_e32 v3, v3, v4, vcc
	v_cndmask_b32_e32 v2, v2, v2, vcc
	v_cmp_gt_f64_e32 vcc, s[4:5], v[2:3]
	v_cndmask_b32_e64 v4, 0, 1, vcc
	v_lshlrev_b32_e32 v4, 8, v4
	v_ldexp_f64 v[2:3], v[2:3], v4
	v_rsq_f64_e32 v[4:5], v[2:3]
	v_cndmask_b32_e32 v20, 0, v15, vcc
	v_cmp_class_f64_e32 vcc, v[2:3], v11
	v_mul_f64 v[16:17], v[2:3], v[4:5]
	v_mul_f64 v[4:5], v[4:5], 0.5
	v_fma_f64 v[18:19], -v[4:5], v[16:17], 0.5
	v_fmac_f64_e32 v[16:17], v[16:17], v[18:19]
	v_fmac_f64_e32 v[4:5], v[4:5], v[18:19]
	v_fma_f64 v[18:19], -v[16:17], v[16:17], v[2:3]
	v_fmac_f64_e32 v[16:17], v[18:19], v[4:5]
	v_fma_f64 v[18:19], -v[16:17], v[16:17], v[2:3]
	v_fmac_f64_e32 v[16:17], v[18:19], v[4:5]
	v_ldexp_f64 v[4:5], v[16:17], v20
	v_cndmask_b32_e32 v3, v5, v3, vcc
	v_cndmask_b32_e32 v2, v4, v2, vcc
	ds_write_b64 v6, v[2:3]
.LBB30_111:                             ;   in Loop: Header=BB30_109 Depth=1
	s_or_b64 exec, exec, s[8:9]
	s_lshl_b32 s8, s18, 3
	s_mul_i32 s9, s18, 0x108
	s_add_i32 s9, s9, s8
	v_mov_b32_e32 v2, s9
	s_waitcnt lgkmcnt(0)
	ds_read_b64 v[4:5], v2 offset:8448
	v_mov_b32_e32 v2, s8
	v_mad_u32_u24 v16, v0, s22, v2
	ds_read_b64 v[2:3], v16 offset:8448
	s_waitcnt lgkmcnt(1)
	v_cmp_neq_f64_e32 vcc, 0, v[4:5]
	s_or_b64 s[8:9], vcc, s[2:3]
	v_cndmask_b32_e32 v5, v12, v5, vcc
	s_xor_b64 s[16:17], s[8:9], -1
	v_cndmask_b32_e32 v4, 0, v4, vcc
	s_and_saveexec_b64 s[8:9], s[16:17]
	s_cbranch_execz .LBB30_115
; %bb.112:                              ;   in Loop: Header=BB30_109 Depth=1
	v_mbcnt_lo_u32_b32 v4, exec_lo, 0
	v_mbcnt_hi_u32_b32 v4, exec_hi, v4
	v_cmp_eq_u32_e32 vcc, 0, v4
	s_and_saveexec_b64 s[16:17], vcc
	s_cbranch_execz .LBB30_114
; %bb.113:                              ;   in Loop: Header=BB30_109 Depth=1
	v_mov_b32_e32 v4, s19
	global_atomic_smin v13, v4, s[14:15]
.LBB30_114:                             ;   in Loop: Header=BB30_109 Depth=1
	s_or_b64 exec, exec, s[16:17]
	v_mov_b32_e32 v4, 0
	v_mov_b32_e32 v5, 0x3ff00000
.LBB30_115:                             ;   in Loop: Header=BB30_109 Depth=1
	s_or_b64 exec, exec, s[8:9]
	v_cmp_lt_u32_e32 vcc, s18, v0
	s_and_saveexec_b64 s[8:9], vcc
	s_cbranch_execz .LBB30_108
; %bb.116:                              ;   in Loop: Header=BB30_109 Depth=1
	v_lshl_add_u32 v17, s18, 3, v7
	ds_read_b64 v[18:19], v17 offset:16896
	v_add_u32_e32 v24, 0x2100, v16
	s_waitcnt lgkmcnt(0)
	v_add_f64 v[2:3], v[2:3], -v[18:19]
	v_div_scale_f64 v[18:19], s[16:17], v[4:5], v[4:5], v[2:3]
	v_rcp_f64_e32 v[20:21], v[18:19]
	v_div_scale_f64 v[16:17], vcc, v[2:3], v[4:5], v[2:3]
	v_fma_f64 v[22:23], -v[18:19], v[20:21], 1.0
	v_fmac_f64_e32 v[20:21], v[20:21], v[22:23]
	v_fma_f64 v[22:23], -v[18:19], v[20:21], 1.0
	v_fmac_f64_e32 v[20:21], v[20:21], v[22:23]
	v_mul_f64 v[22:23], v[16:17], v[20:21]
	v_fma_f64 v[16:17], -v[18:19], v[22:23], v[16:17]
	v_div_fmas_f64 v[16:17], v[16:17], v[20:21], v[22:23]
	v_div_fixup_f64 v[2:3], v[16:17], v[4:5], v[2:3]
	ds_write_b64 v24, v[2:3]
	s_waitcnt lgkmcnt(0)
	s_and_b64 exec, exec, s[0:1]
	s_cbranch_execz .LBB30_108
; %bb.117:                              ;   in Loop: Header=BB30_109 Depth=1
	s_mov_b64 s[16:17], 0
	v_mov_b32_e32 v4, v10
	v_mov_b32_e32 v5, v9
	;; [unrolled: 1-line block ×3, first 2 shown]
.LBB30_118:                             ;   Parent Loop BB30_109 Depth=1
                                        ; =>  This Inner Loop Header: Depth=2
	ds_read_b64 v[18:19], v5
	ds_read_b64 v[20:21], v4
	v_add_u32_e32 v16, 2, v16
	v_cmp_le_i32_e32 vcc, s47, v16
	v_add_u32_e32 v5, 0x210, v5
	s_or_b64 s[16:17], vcc, s[16:17]
	s_waitcnt lgkmcnt(0)
	v_fmac_f64_e32 v[20:21], v[2:3], v[18:19]
	ds_write_b64 v4, v[20:21]
	v_add_u32_e32 v4, 16, v4
	s_andn2_b64 exec, exec, s[16:17]
	s_cbranch_execnz .LBB30_118
	s_branch .LBB30_108
.LBB30_119:
	s_and_saveexec_b64 s[2:3], s[0:1]
	s_cbranch_execz .LBB30_128
; %bb.120:
	s_mul_i32 s33, s33, s47
	v_add_u32_e32 v2, s33, v0
	s_cmp_lg_u32 s48, 0
	v_mul_lo_u32 v6, v2, s47
	v_mul_u32_u24_e32 v2, 0x108, v0
	s_movk_i32 s8, 0x2100
	v_cmp_gt_i32_e64 s[0:1], s47, v0
	s_cselect_b64 s[4:5], -1, 0
	v_add3_u32 v7, v2, v14, s8
	s_mov_b64 s[8:9], 0
	v_mov_b32_e32 v8, v1
	s_branch .LBB30_123
.LBB30_121:                             ;   in Loop: Header=BB30_123 Depth=1
	v_ashrrev_i32_e32 v5, 31, v4
	v_lshlrev_b64 v[4:5], 3, v[4:5]
	v_mov_b32_e32 v9, s21
	v_add_co_u32_e32 v4, vcc, s20, v4
	v_addc_co_u32_e32 v5, vcc, v9, v5, vcc
	s_waitcnt lgkmcnt(0)
	global_store_dwordx2 v[4:5], v[2:3], off
.LBB30_122:                             ;   in Loop: Header=BB30_123 Depth=1
	s_or_b64 exec, exec, s[16:17]
	v_add_u32_e32 v8, 2, v8
	v_cmp_le_i32_e32 vcc, s47, v8
	s_or_b64 s[8:9], vcc, s[8:9]
	v_add_u32_e32 v7, 16, v7
	s_andn2_b64 exec, exec, s[8:9]
	s_cbranch_execz .LBB30_128
.LBB30_123:                             ; =>This Inner Loop Header: Depth=1
	s_and_saveexec_b64 s[16:17], s[0:1]
	s_cbranch_execz .LBB30_122
; %bb.124:                              ;   in Loop: Header=BB30_123 Depth=1
	ds_read_b64 v[2:3], v7
	s_and_b64 vcc, exec, s[4:5]
	s_cbranch_vccz .LBB30_126
; %bb.125:                              ;   in Loop: Header=BB30_123 Depth=1
	v_add_u32_e32 v4, s33, v8
	v_mad_u64_u32 v[4:5], s[18:19], v4, s47, v[0:1]
	s_cbranch_execnz .LBB30_121
	s_branch .LBB30_127
.LBB30_126:                             ;   in Loop: Header=BB30_123 Depth=1
                                        ; implicit-def: $vgpr4
.LBB30_127:                             ;   in Loop: Header=BB30_123 Depth=1
	v_add_u32_e32 v4, v6, v8
	s_branch .LBB30_121
.LBB30_128:
	s_or_b64 exec, exec, s[2:3]
	v_or_b32_e32 v2, v1, v0
	v_cmp_eq_u32_e64 s[0:1], 0, v2
.LBB30_129:
	s_and_saveexec_b64 s[2:3], s[0:1]
	s_cbranch_execnz .LBB30_137
.LBB30_130:
	s_endpgm
.LBB30_131:
	s_mov_b64 s[0:1], 0
	s_cbranch_execz .LBB30_129
; %bb.132:
	v_or_b32_e32 v0, v1, v0
	v_cmp_eq_u32_e32 vcc, 0, v0
	s_and_saveexec_b64 s[2:3], vcc
	s_cbranch_execz .LBB30_136
; %bb.133:
	v_mbcnt_lo_u32_b32 v0, exec_lo, 0
	v_mbcnt_hi_u32_b32 v0, exec_hi, v0
	v_cmp_eq_u32_e32 vcc, 0, v0
	s_and_saveexec_b64 s[4:5], vcc
	s_cbranch_execz .LBB30_135
; %bb.134:
	s_add_i32 s8, s12, s13
	v_mov_b32_e32 v0, 0
	v_mov_b32_e32 v1, s8
	global_atomic_smin v0, v1, s[14:15]
.LBB30_135:
	s_or_b64 exec, exec, s[4:5]
	s_or_b64 s[0:1], s[0:1], exec
.LBB30_136:
	s_or_b64 exec, exec, s[2:3]
	s_and_saveexec_b64 s[2:3], s[0:1]
	s_cbranch_execz .LBB30_130
.LBB30_137:
	s_add_u32 s0, s10, s6
	s_addc_u32 s1, s11, s7
	v_mov_b32_e32 v0, 0
	v_mov_b32_e32 v1, 1
	s_waitcnt vmcnt(0)
	global_store_dword v0, v1, s[0:1]
	s_endpgm
	.section	.rodata,"a",@progbits
	.p2align	6, 0x0
	.amdhsa_kernel _ZN9rocsparseL19bsric0_17_32_kernelILi64ELi32ELi32EdEEv20rocsparse_direction_iiPKiS3_PT2_S3_PiS3_S6_21rocsparse_index_base_
		.amdhsa_group_segment_fixed_size 25728
		.amdhsa_private_segment_fixed_size 0
		.amdhsa_kernarg_size 76
		.amdhsa_user_sgpr_count 6
		.amdhsa_user_sgpr_private_segment_buffer 1
		.amdhsa_user_sgpr_dispatch_ptr 0
		.amdhsa_user_sgpr_queue_ptr 0
		.amdhsa_user_sgpr_kernarg_segment_ptr 1
		.amdhsa_user_sgpr_dispatch_id 0
		.amdhsa_user_sgpr_flat_scratch_init 0
		.amdhsa_user_sgpr_kernarg_preload_length 0
		.amdhsa_user_sgpr_kernarg_preload_offset 0
		.amdhsa_user_sgpr_private_segment_size 0
		.amdhsa_uses_dynamic_stack 0
		.amdhsa_system_sgpr_private_segment_wavefront_offset 0
		.amdhsa_system_sgpr_workgroup_id_x 1
		.amdhsa_system_sgpr_workgroup_id_y 0
		.amdhsa_system_sgpr_workgroup_id_z 0
		.amdhsa_system_sgpr_workgroup_info 0
		.amdhsa_system_vgpr_workitem_id 1
		.amdhsa_next_free_vgpr 70
		.amdhsa_next_free_sgpr 56
		.amdhsa_accum_offset 72
		.amdhsa_reserve_vcc 1
		.amdhsa_reserve_flat_scratch 0
		.amdhsa_float_round_mode_32 0
		.amdhsa_float_round_mode_16_64 0
		.amdhsa_float_denorm_mode_32 3
		.amdhsa_float_denorm_mode_16_64 3
		.amdhsa_dx10_clamp 1
		.amdhsa_ieee_mode 1
		.amdhsa_fp16_overflow 0
		.amdhsa_tg_split 0
		.amdhsa_exception_fp_ieee_invalid_op 0
		.amdhsa_exception_fp_denorm_src 0
		.amdhsa_exception_fp_ieee_div_zero 0
		.amdhsa_exception_fp_ieee_overflow 0
		.amdhsa_exception_fp_ieee_underflow 0
		.amdhsa_exception_fp_ieee_inexact 0
		.amdhsa_exception_int_div_zero 0
	.end_amdhsa_kernel
	.section	.text._ZN9rocsparseL19bsric0_17_32_kernelILi64ELi32ELi32EdEEv20rocsparse_direction_iiPKiS3_PT2_S3_PiS3_S6_21rocsparse_index_base_,"axG",@progbits,_ZN9rocsparseL19bsric0_17_32_kernelILi64ELi32ELi32EdEEv20rocsparse_direction_iiPKiS3_PT2_S3_PiS3_S6_21rocsparse_index_base_,comdat
.Lfunc_end30:
	.size	_ZN9rocsparseL19bsric0_17_32_kernelILi64ELi32ELi32EdEEv20rocsparse_direction_iiPKiS3_PT2_S3_PiS3_S6_21rocsparse_index_base_, .Lfunc_end30-_ZN9rocsparseL19bsric0_17_32_kernelILi64ELi32ELi32EdEEv20rocsparse_direction_iiPKiS3_PT2_S3_PiS3_S6_21rocsparse_index_base_
                                        ; -- End function
	.section	.AMDGPU.csdata,"",@progbits
; Kernel info:
; codeLenInByte = 5220
; NumSgprs: 60
; NumVgprs: 70
; NumAgprs: 0
; TotalNumVgprs: 70
; ScratchSize: 0
; MemoryBound: 0
; FloatMode: 240
; IeeeMode: 1
; LDSByteSize: 25728 bytes/workgroup (compile time only)
; SGPRBlocks: 7
; VGPRBlocks: 8
; NumSGPRsForWavesPerEU: 60
; NumVGPRsForWavesPerEU: 70
; AccumOffset: 72
; Occupancy: 1
; WaveLimiterHint : 1
; COMPUTE_PGM_RSRC2:SCRATCH_EN: 0
; COMPUTE_PGM_RSRC2:USER_SGPR: 6
; COMPUTE_PGM_RSRC2:TRAP_HANDLER: 0
; COMPUTE_PGM_RSRC2:TGID_X_EN: 1
; COMPUTE_PGM_RSRC2:TGID_Y_EN: 0
; COMPUTE_PGM_RSRC2:TGID_Z_EN: 0
; COMPUTE_PGM_RSRC2:TIDIG_COMP_CNT: 1
; COMPUTE_PGM_RSRC3_GFX90A:ACCUM_OFFSET: 17
; COMPUTE_PGM_RSRC3_GFX90A:TG_SPLIT: 0
	.section	.text._ZN9rocsparseL23bsric0_binsearch_kernelILj64ELj64ELb0EdEEv20rocsparse_direction_iiPKiS3_PT2_S3_PiS3_S6_21rocsparse_index_base_,"axG",@progbits,_ZN9rocsparseL23bsric0_binsearch_kernelILj64ELj64ELb0EdEEv20rocsparse_direction_iiPKiS3_PT2_S3_PiS3_S6_21rocsparse_index_base_,comdat
	.globl	_ZN9rocsparseL23bsric0_binsearch_kernelILj64ELj64ELb0EdEEv20rocsparse_direction_iiPKiS3_PT2_S3_PiS3_S6_21rocsparse_index_base_ ; -- Begin function _ZN9rocsparseL23bsric0_binsearch_kernelILj64ELj64ELb0EdEEv20rocsparse_direction_iiPKiS3_PT2_S3_PiS3_S6_21rocsparse_index_base_
	.p2align	8
	.type	_ZN9rocsparseL23bsric0_binsearch_kernelILj64ELj64ELb0EdEEv20rocsparse_direction_iiPKiS3_PT2_S3_PiS3_S6_21rocsparse_index_base_,@function
_ZN9rocsparseL23bsric0_binsearch_kernelILj64ELj64ELb0EdEEv20rocsparse_direction_iiPKiS3_PT2_S3_PiS3_S6_21rocsparse_index_base_: ; @_ZN9rocsparseL23bsric0_binsearch_kernelILj64ELj64ELb0EdEEv20rocsparse_direction_iiPKiS3_PT2_S3_PiS3_S6_21rocsparse_index_base_
; %bb.0:
	s_load_dwordx8 s[16:23], s[4:5], 0x28
	s_ashr_i32 s7, s6, 31
	s_lshl_b64 s[0:1], s[6:7], 2
	s_waitcnt lgkmcnt(0)
	s_add_u32 s0, s20, s0
	s_addc_u32 s1, s21, s1
	s_load_dword s14, s[0:1], 0x0
	s_waitcnt lgkmcnt(0)
	s_ashr_i32 s15, s14, 31
	s_lshl_b64 s[0:1], s[14:15], 2
	s_add_u32 s0, s16, s0
	s_addc_u32 s1, s17, s1
	s_load_dword s54, s[0:1], 0x0
	s_load_dword s33, s[4:5], 0x48
	v_pk_mov_b32 v[2:3], s[14:15], s[14:15] op_sel:[0,1]
	s_mov_b64 s[0:1], 0
	s_waitcnt lgkmcnt(0)
	s_cmp_lg_u32 s54, -1
	s_cselect_b64 s[2:3], -1, 0
	s_and_saveexec_b64 s[6:7], s[2:3]
	s_xor_b64 s[20:21], exec, s[6:7]
	s_cbranch_execnz .LBB31_4
; %bb.1:
	s_andn2_saveexec_b64 s[2:3], s[20:21]
	s_cbranch_execnz .LBB31_70
.LBB31_2:
	s_or_b64 exec, exec, s[2:3]
	s_and_saveexec_b64 s[2:3], s[0:1]
	s_cbranch_execnz .LBB31_77
.LBB31_3:
	s_endpgm
.LBB31_4:
	s_load_dword s55, s[4:5], 0x8
	s_waitcnt lgkmcnt(0)
	v_cmp_gt_i32_e32 vcc, s55, v0
	s_and_saveexec_b64 s[28:29], vcc
	s_cbranch_execz .LBB31_69
; %bb.5:
	s_load_dwordx4 s[24:27], s[4:5], 0x10
	s_load_dword s6, s[4:5], 0x0
	v_lshlrev_b64 v[4:5], 2, s[14:15]
	v_add_u32_e32 v24, s33, v2
	s_load_dwordx2 s[30:31], s[4:5], 0x20
	s_waitcnt lgkmcnt(0)
	v_mov_b32_e32 v1, s25
	v_add_co_u32_e32 v4, vcc, s24, v4
	v_addc_co_u32_e32 v5, vcc, v1, v5, vcc
	global_load_dwordx2 v[4:5], v[4:5], off
	v_mov_b32_e32 v3, s54
	s_mul_i32 s25, s55, s55
	v_mul_lo_u32 v29, v3, s25
	s_cmp_eq_u32 s6, 0
	s_mov_b32 s36, 0
	v_mov_b32_e32 v30, s27
	s_cselect_b64 s[2:3], -1, 0
	s_cmp_lg_u32 s6, 0
	v_cmp_ne_u32_e64 s[0:1], 0, v0
	s_mov_b64 s[34:35], 0
	v_mov_b32_e32 v25, 0
	s_brev_b32 s37, 8
	v_mov_b32_e32 v26, 0x260
	v_mov_b32_e32 v27, 0x3ff00000
	;; [unrolled: 1-line block ×3, first 2 shown]
	s_cselect_b64 s[38:39], -1, 0
	s_waitcnt vmcnt(0)
	v_subrev_u32_e32 v31, s33, v4
	v_xad_u32 v32, s33, -1, v5
	v_add_u32_e32 v2, v32, v31
	v_ashrrev_i32_e32 v2, 1, v2
	v_ashrrev_i32_e32 v3, 31, v2
	v_lshlrev_b64 v[4:5], 2, v[2:3]
	v_mul_lo_u32 v33, s25, v31
	v_add_co_u32_e32 v4, vcc, s26, v4
	v_cmp_gt_i32_e64 s[4:5], s54, v31
	v_cmp_le_i32_e64 s[6:7], s54, v31
	v_cmp_lt_i32_e64 s[8:9], v31, v32
	v_add_u32_e32 v34, v33, v0
	v_addc_co_u32_e32 v5, vcc, v30, v5, vcc
	v_mov_b32_e32 v3, v0
	s_branch .LBB31_7
.LBB31_6:                               ;   in Loop: Header=BB31_7 Depth=1
	v_add_u32_e32 v3, 64, v3
	v_cmp_le_i32_e32 vcc, s55, v3
	s_or_b64 s[34:35], vcc, s[34:35]
	v_add_u32_e32 v34, 64, v34
	s_andn2_b64 exec, exec, s[34:35]
	s_cbranch_execz .LBB31_69
.LBB31_7:                               ; =>This Loop Header: Depth=1
                                        ;     Child Loop BB31_12 Depth 2
                                        ;       Child Loop BB31_15 Depth 3
                                        ;       Child Loop BB31_19 Depth 3
                                        ;         Child Loop BB31_21 Depth 4
                                        ;         Child Loop BB31_28 Depth 4
                                        ;           Child Loop BB31_30 Depth 5
                                        ;           Child Loop BB31_36 Depth 5
                                        ;     Child Loop BB31_43 Depth 2
                                        ;       Child Loop BB31_47 Depth 3
                                        ;       Child Loop BB31_55 Depth 3
                                        ;         Child Loop BB31_57 Depth 4
                                        ;       Child Loop BB31_65 Depth 3
	v_mul_lo_u32 v35, v3, s55
                                        ; implicit-def: $sgpr10_sgpr11
	s_and_saveexec_b64 s[12:13], s[6:7]
	s_xor_b64 s[12:13], exec, s[12:13]
; %bb.8:                                ;   in Loop: Header=BB31_7 Depth=1
	v_mul_lo_u32 v35, v3, s55
	s_mov_b64 s[10:11], 0
; %bb.9:                                ;   in Loop: Header=BB31_7 Depth=1
	s_or_saveexec_b64 s[40:41], s[12:13]
	v_pk_mov_b32 v[6:7], s[10:11], s[10:11] op_sel:[0,1]
	s_xor_b64 exec, exec, s[40:41]
	s_cbranch_execz .LBB31_40
; %bb.10:                               ;   in Loop: Header=BB31_7 Depth=1
	s_mov_b64 s[42:43], 0
	v_pk_mov_b32 v[6:7], 0, 0
	v_mov_b32_e32 v8, v31
	s_branch .LBB31_12
.LBB31_11:                              ;   in Loop: Header=BB31_12 Depth=2
	s_or_b64 exec, exec, s[44:45]
	v_add_u32_e32 v8, 1, v8
	v_cmp_le_i32_e32 vcc, s54, v8
	s_xor_b64 s[10:11], s[10:11], -1
	s_or_b64 s[10:11], s[10:11], vcc
	s_and_b64 s[10:11], exec, s[10:11]
	s_or_b64 s[42:43], s[10:11], s[42:43]
	s_andn2_b64 exec, exec, s[42:43]
	s_cbranch_execz .LBB31_39
.LBB31_12:                              ;   Parent Loop BB31_7 Depth=1
                                        ; =>  This Loop Header: Depth=2
                                        ;       Child Loop BB31_15 Depth 3
                                        ;       Child Loop BB31_19 Depth 3
                                        ;         Child Loop BB31_21 Depth 4
                                        ;         Child Loop BB31_28 Depth 4
                                        ;           Child Loop BB31_30 Depth 5
                                        ;           Child Loop BB31_36 Depth 5
	v_ashrrev_i32_e32 v9, 31, v8
	v_lshlrev_b64 v[10:11], 2, v[8:9]
	v_add_co_u32_e32 v10, vcc, s26, v10
	v_addc_co_u32_e32 v11, vcc, v30, v11, vcc
	global_load_dword v9, v[10:11], off
	v_mov_b32_e32 v15, s17
	s_waitcnt vmcnt(0)
	v_subrev_u32_e32 v10, s33, v9
	v_ashrrev_i32_e32 v11, 31, v10
	v_lshlrev_b64 v[12:13], 2, v[10:11]
	v_add_co_u32_e32 v14, vcc, s16, v12
	v_addc_co_u32_e32 v15, vcc, v15, v13, vcc
	global_load_dword v36, v[14:15], off
	s_waitcnt vmcnt(0)
	v_cmp_ne_u32_e64 s[10:11], -1, v36
	s_and_saveexec_b64 s[44:45], s[10:11]
	s_cbranch_execz .LBB31_11
; %bb.13:                               ;   in Loop: Header=BB31_12 Depth=2
	v_add_co_u32_e32 v14, vcc, s24, v12
	v_addc_co_u32_e32 v15, vcc, v1, v13, vcc
	global_load_dword v11, v[14:15], off
	v_mov_b32_e32 v14, s19
	v_add_co_u32_e32 v12, vcc, s18, v12
	v_addc_co_u32_e32 v13, vcc, v14, v13, vcc
	global_load_dword v14, v[12:13], off glc
	s_waitcnt vmcnt(0)
	v_cmp_eq_u32_e32 vcc, 0, v14
	s_and_saveexec_b64 s[12:13], vcc
	s_cbranch_execz .LBB31_16
; %bb.14:                               ;   in Loop: Header=BB31_12 Depth=2
	s_mov_b64 s[46:47], 0
.LBB31_15:                              ;   Parent Loop BB31_7 Depth=1
                                        ;     Parent Loop BB31_12 Depth=2
                                        ; =>    This Inner Loop Header: Depth=3
	global_load_dword v14, v[12:13], off glc
	s_waitcnt vmcnt(0)
	v_cmp_ne_u32_e32 vcc, 0, v14
	s_or_b64 s[46:47], vcc, s[46:47]
	s_andn2_b64 exec, exec, s[46:47]
	s_cbranch_execnz .LBB31_15
.LBB31_16:                              ;   in Loop: Header=BB31_12 Depth=2
	s_or_b64 exec, exec, s[12:13]
	v_subrev_u32_e32 v37, s33, v11
	v_mul_lo_u32 v38, v10, s55
	v_mul_lo_u32 v10, v8, s25
	;; [unrolled: 1-line block ×3, first 2 shown]
	v_add_u32_e32 v40, v10, v3
	v_add_u32_e32 v41, v10, v35
	v_cmp_le_i32_e64 s[12:13], v37, v36
	v_mul_lo_u32 v42, s25, v37
	s_mov_b32 s56, 0
	buffer_wbinvl1_vol
	s_branch .LBB31_19
.LBB31_17:                              ;   in Loop: Header=BB31_19 Depth=3
	s_or_b64 exec, exec, s[48:49]
.LBB31_18:                              ;   in Loop: Header=BB31_19 Depth=3
	s_or_b64 exec, exec, s[46:47]
	s_waitcnt vmcnt(0)
	v_add_f64 v[14:15], v[14:15], -v[16:17]
	v_div_scale_f64 v[16:17], s[46:47], v[10:11], v[10:11], v[14:15]
	v_rcp_f64_e32 v[18:19], v[16:17]
	v_div_scale_f64 v[20:21], vcc, v[14:15], v[10:11], v[14:15]
	s_add_i32 s56, s56, 1
	v_fma_f64 v[22:23], -v[16:17], v[18:19], 1.0
	v_fmac_f64_e32 v[18:19], v[18:19], v[22:23]
	v_fma_f64 v[22:23], -v[16:17], v[18:19], 1.0
	v_fmac_f64_e32 v[18:19], v[18:19], v[22:23]
	v_mul_f64 v[22:23], v[20:21], v[18:19]
	v_fma_f64 v[16:17], -v[16:17], v[22:23], v[20:21]
	v_div_fmas_f64 v[16:17], v[16:17], v[18:19], v[22:23]
	v_div_fixup_f64 v[10:11], v[16:17], v[10:11], v[14:15]
	v_fmac_f64_e32 v[6:7], v[10:11], v[10:11]
	s_cmp_eq_u32 s56, s55
	v_add_u32_e32 v42, 1, v42
	global_store_dwordx2 v[12:13], v[10:11], off
	s_cbranch_scc1 .LBB31_11
.LBB31_19:                              ;   Parent Loop BB31_7 Depth=1
                                        ;     Parent Loop BB31_12 Depth=2
                                        ; =>    This Loop Header: Depth=3
                                        ;         Child Loop BB31_21 Depth 4
                                        ;         Child Loop BB31_28 Depth 4
                                        ;           Child Loop BB31_30 Depth 5
                                        ;           Child Loop BB31_36 Depth 5
	s_mul_i32 s57, s56, s55
	s_add_i32 s46, s57, s56
	v_add_u32_e32 v10, s46, v39
	v_ashrrev_i32_e32 v11, 31, v10
	v_lshlrev_b64 v[10:11], 3, v[10:11]
	v_mov_b32_e32 v12, s31
	v_add_co_u32_e32 v10, vcc, s30, v10
	v_addc_co_u32_e32 v11, vcc, v12, v11, vcc
	global_load_dwordx2 v[10:11], v[10:11], off
	s_waitcnt vmcnt(0)
	v_cmp_neq_f64_e32 vcc, 0, v[10:11]
	s_or_b64 s[46:47], vcc, s[0:1]
	v_cndmask_b32_e32 v11, v27, v11, vcc
	s_xor_b64 s[48:49], s[46:47], -1
	v_cndmask_b32_e32 v10, 0, v10, vcc
	s_and_saveexec_b64 s[46:47], s[48:49]
	s_cbranch_execz .LBB31_25
; %bb.20:                               ;   in Loop: Header=BB31_19 Depth=3
	s_mov_b64 s[48:49], exec
	s_brev_b32 s50, -2
.LBB31_21:                              ;   Parent Loop BB31_7 Depth=1
                                        ;     Parent Loop BB31_12 Depth=2
                                        ;       Parent Loop BB31_19 Depth=3
                                        ; =>      This Inner Loop Header: Depth=4
	s_ff1_i32_b64 s51, s[48:49]
	v_readlane_b32 s58, v9, s51
	s_lshl_b64 s[52:53], 1, s51
	s_min_i32 s50, s50, s58
	s_andn2_b64 s[48:49], s[48:49], s[52:53]
	s_cmp_lg_u64 s[48:49], 0
	s_cbranch_scc1 .LBB31_21
; %bb.22:                               ;   in Loop: Header=BB31_19 Depth=3
	v_mbcnt_lo_u32_b32 v10, exec_lo, 0
	v_mbcnt_hi_u32_b32 v10, exec_hi, v10
	v_cmp_eq_u32_e32 vcc, 0, v10
	s_and_saveexec_b64 s[48:49], vcc
	s_xor_b64 s[48:49], exec, s[48:49]
	s_cbranch_execz .LBB31_24
; %bb.23:                               ;   in Loop: Header=BB31_19 Depth=3
	v_mov_b32_e32 v10, s50
	global_atomic_smin v25, v10, s[22:23]
.LBB31_24:                              ;   in Loop: Header=BB31_19 Depth=3
	s_or_b64 exec, exec, s[48:49]
	v_mov_b32_e32 v10, 0
	v_mov_b32_e32 v11, 0x3ff00000
.LBB31_25:                              ;   in Loop: Header=BB31_19 Depth=3
	s_or_b64 exec, exec, s[46:47]
	v_add_u32_e32 v12, s57, v40
	v_add_u32_e32 v13, s56, v41
	v_cndmask_b32_e64 v12, v12, v13, s[2:3]
	v_ashrrev_i32_e32 v13, 31, v12
	v_lshlrev_b64 v[12:13], 3, v[12:13]
	v_mov_b32_e32 v14, s31
	v_add_co_u32_e32 v12, vcc, s30, v12
	v_addc_co_u32_e32 v13, vcc, v14, v13, vcc
	global_load_dwordx2 v[14:15], v[12:13], off
	v_pk_mov_b32 v[16:17], 0, 0
	s_and_saveexec_b64 s[46:47], s[12:13]
	s_cbranch_execz .LBB31_18
; %bb.26:                               ;   in Loop: Header=BB31_19 Depth=3
	global_load_dword v43, v[4:5], off
	v_add_u32_e32 v44, s56, v38
	s_mov_b64 s[48:49], 0
	v_pk_mov_b32 v[16:17], 0, 0
	v_mov_b32_e32 v45, v42
	v_mov_b32_e32 v18, v37
	s_branch .LBB31_28
.LBB31_27:                              ;   in Loop: Header=BB31_28 Depth=4
	s_or_b64 exec, exec, s[50:51]
	v_add_u32_e32 v19, 1, v18
	v_cmp_ge_i32_e32 vcc, v18, v36
	v_add_u32_e32 v45, s25, v45
	s_or_b64 s[48:49], vcc, s[48:49]
	v_mov_b32_e32 v18, v19
	s_andn2_b64 exec, exec, s[48:49]
	s_cbranch_execz .LBB31_17
.LBB31_28:                              ;   Parent Loop BB31_7 Depth=1
                                        ;     Parent Loop BB31_12 Depth=2
                                        ;       Parent Loop BB31_19 Depth=3
                                        ; =>      This Loop Header: Depth=4
                                        ;           Child Loop BB31_30 Depth 5
                                        ;           Child Loop BB31_36 Depth 5
	v_ashrrev_i32_e32 v19, 31, v18
	v_lshlrev_b64 v[20:21], 2, v[18:19]
	v_mov_b32_e32 v19, s27
	v_add_co_u32_e32 v20, vcc, s26, v20
	v_addc_co_u32_e32 v21, vcc, v19, v21, vcc
	global_load_dword v19, v[20:21], off
	s_waitcnt vmcnt(1)
	v_mov_b32_e32 v21, v43
	v_mov_b32_e32 v20, v2
	s_and_saveexec_b64 s[50:51], s[8:9]
	s_cbranch_execz .LBB31_32
; %bb.29:                               ;   in Loop: Header=BB31_28 Depth=4
	s_mov_b64 s[52:53], 0
	v_mov_b32_e32 v21, v43
	v_mov_b32_e32 v20, v2
	;; [unrolled: 1-line block ×4, first 2 shown]
.LBB31_30:                              ;   Parent Loop BB31_7 Depth=1
                                        ;     Parent Loop BB31_12 Depth=2
                                        ;       Parent Loop BB31_19 Depth=3
                                        ;         Parent Loop BB31_28 Depth=4
                                        ; =>        This Inner Loop Header: Depth=5
	v_add_u32_e32 v46, 1, v20
	s_waitcnt vmcnt(0)
	v_cmp_lt_i32_e32 vcc, v21, v19
	v_cndmask_b32_e32 v23, v23, v46, vcc
	v_cndmask_b32_e32 v22, v20, v22, vcc
	v_add_u32_e32 v20, v22, v23
	v_ashrrev_i32_e32 v20, 1, v20
	v_ashrrev_i32_e32 v21, 31, v20
	v_lshlrev_b64 v[46:47], 2, v[20:21]
	v_mov_b32_e32 v21, s27
	v_add_co_u32_e32 v46, vcc, s26, v46
	v_addc_co_u32_e32 v47, vcc, v21, v47, vcc
	global_load_dword v21, v[46:47], off
	v_cmp_ge_i32_e32 vcc, v23, v22
	s_or_b64 s[52:53], vcc, s[52:53]
	s_andn2_b64 exec, exec, s[52:53]
	s_cbranch_execnz .LBB31_30
; %bb.31:                               ;   in Loop: Header=BB31_28 Depth=4
	s_or_b64 exec, exec, s[52:53]
.LBB31_32:                              ;   in Loop: Header=BB31_28 Depth=4
	s_or_b64 exec, exec, s[50:51]
	s_waitcnt vmcnt(0)
	v_cmp_eq_u32_e32 vcc, v21, v19
	s_and_saveexec_b64 s[50:51], vcc
	s_cbranch_execz .LBB31_27
; %bb.33:                               ;   in Loop: Header=BB31_28 Depth=4
	v_subrev_u32_e32 v19, s33, v19
	v_mul_lo_u32 v21, v18, s25
	v_mul_lo_u32 v20, v20, s25
	;; [unrolled: 1-line block ×3, first 2 shown]
	v_add_u32_e32 v46, s57, v21
	v_add_u32_e32 v47, v20, v35
	;; [unrolled: 1-line block ×3, first 2 shown]
	s_mov_b32 s58, 0
	v_mov_b32_e32 v49, v45
	s_branch .LBB31_36
.LBB31_34:                              ;   in Loop: Header=BB31_36 Depth=5
	v_ashrrev_i32_e32 v23, 31, v22
	v_lshlrev_b64 v[22:23], 3, v[22:23]
	v_mov_b32_e32 v50, s31
	v_add_co_u32_e32 v22, vcc, s30, v22
	v_ashrrev_i32_e32 v21, 31, v20
	v_addc_co_u32_e32 v23, vcc, v50, v23, vcc
	v_lshlrev_b64 v[20:21], 3, v[20:21]
	v_add_co_u32_e32 v20, vcc, s30, v20
	v_addc_co_u32_e32 v21, vcc, v50, v21, vcc
	global_load_dwordx2 v[22:23], v[22:23], off
	s_nop 0
	global_load_dwordx2 v[20:21], v[20:21], off
	s_waitcnt vmcnt(0)
	v_fmac_f64_e32 v[16:17], v[22:23], v[20:21]
.LBB31_35:                              ;   in Loop: Header=BB31_36 Depth=5
	s_or_b64 exec, exec, s[52:53]
	s_add_i32 s58, s58, 1
	v_add_u32_e32 v48, s55, v48
	s_cmp_lg_u32 s55, s58
	v_add_u32_e32 v49, s55, v49
	s_cbranch_scc0 .LBB31_27
.LBB31_36:                              ;   Parent Loop BB31_7 Depth=1
                                        ;     Parent Loop BB31_12 Depth=2
                                        ;       Parent Loop BB31_19 Depth=3
                                        ;         Parent Loop BB31_28 Depth=4
                                        ; =>        This Inner Loop Header: Depth=5
	v_add_u32_e32 v20, s58, v19
	v_cmp_lt_i32_e32 vcc, v20, v44
	s_and_saveexec_b64 s[52:53], vcc
	s_cbranch_execz .LBB31_35
; %bb.37:                               ;   in Loop: Header=BB31_36 Depth=5
	s_andn2_b64 vcc, exec, s[2:3]
	v_mov_b32_e32 v20, v48
	v_mov_b32_e32 v22, v49
	s_cbranch_vccnz .LBB31_34
; %bb.38:                               ;   in Loop: Header=BB31_36 Depth=5
	v_add_u32_e32 v22, s58, v46
	v_add_u32_e32 v20, s58, v47
	s_branch .LBB31_34
.LBB31_39:                              ;   in Loop: Header=BB31_7 Depth=1
	s_or_b64 exec, exec, s[42:43]
.LBB31_40:                              ;   in Loop: Header=BB31_7 Depth=1
	s_or_b64 exec, exec, s[40:41]
	v_add_u32_e32 v20, v35, v29
	s_mov_b32 s44, 0
	v_mov_b32_e32 v21, v33
	s_branch .LBB31_43
.LBB31_41:                              ;   in Loop: Header=BB31_43 Depth=2
	s_waitcnt vmcnt(0)
	v_add_f64 v[12:13], v[12:13], -v[14:15]
	v_div_scale_f64 v[14:15], s[12:13], v[8:9], v[8:9], v[12:13]
	v_rcp_f64_e32 v[16:17], v[14:15]
	v_div_scale_f64 v[18:19], vcc, v[12:13], v[8:9], v[12:13]
	v_fma_f64 v[22:23], -v[14:15], v[16:17], 1.0
	v_fmac_f64_e32 v[16:17], v[16:17], v[22:23]
	v_fma_f64 v[22:23], -v[14:15], v[16:17], 1.0
	v_fmac_f64_e32 v[16:17], v[16:17], v[22:23]
	v_mul_f64 v[22:23], v[18:19], v[16:17]
	v_fma_f64 v[14:15], -v[14:15], v[22:23], v[18:19]
	v_div_fmas_f64 v[14:15], v[14:15], v[16:17], v[22:23]
	v_div_fixup_f64 v[8:9], v[14:15], v[8:9], v[12:13]
	v_fmac_f64_e32 v[6:7], v[8:9], v[8:9]
	global_store_dwordx2 v[10:11], v[8:9], off
.LBB31_42:                              ;   in Loop: Header=BB31_43 Depth=2
	s_or_b64 exec, exec, s[10:11]
	s_add_i32 s44, s44, 1
	s_cmp_eq_u32 s44, s55
	v_add_u32_e32 v21, 1, v21
	s_waitcnt vmcnt(0)
	buffer_wbinvl1_vol
	s_cbranch_scc1 .LBB31_6
.LBB31_43:                              ;   Parent Loop BB31_7 Depth=1
                                        ; =>  This Loop Header: Depth=2
                                        ;       Child Loop BB31_47 Depth 3
                                        ;       Child Loop BB31_55 Depth 3
                                        ;         Child Loop BB31_57 Depth 4
                                        ;       Child Loop BB31_65 Depth 3
	s_mul_i32 s45, s44, s55
	v_add_u32_e32 v22, s45, v29
	v_add_u32_e32 v8, s44, v22
	v_ashrrev_i32_e32 v9, 31, v8
	v_cmp_eq_u32_e32 vcc, s44, v3
	v_lshlrev_b64 v[8:9], 3, v[8:9]
	s_and_saveexec_b64 s[10:11], vcc
	s_cbranch_execz .LBB31_45
; %bb.44:                               ;   in Loop: Header=BB31_43 Depth=2
	v_mov_b32_e32 v11, s31
	v_add_co_u32_e32 v10, vcc, s30, v8
	v_addc_co_u32_e32 v11, vcc, v11, v9, vcc
	global_load_dwordx2 v[12:13], v[10:11], off
	s_waitcnt vmcnt(0)
	v_add_f64 v[12:13], v[12:13], -v[6:7]
	v_xor_b32_e32 v14, 0x80000000, v13
	v_cmp_gt_f64_e32 vcc, 0, v[12:13]
	v_cndmask_b32_e32 v13, v13, v14, vcc
	v_cndmask_b32_e32 v12, v12, v12, vcc
	v_cmp_gt_f64_e32 vcc, s[36:37], v[12:13]
	v_cndmask_b32_e64 v14, 0, 1, vcc
	v_lshlrev_b32_e32 v14, 8, v14
	v_ldexp_f64 v[12:13], v[12:13], v14
	v_rsq_f64_e32 v[14:15], v[12:13]
	v_cndmask_b32_e32 v23, 0, v28, vcc
	v_cmp_class_f64_e32 vcc, v[12:13], v26
	v_mul_f64 v[16:17], v[12:13], v[14:15]
	v_mul_f64 v[14:15], v[14:15], 0.5
	v_fma_f64 v[18:19], -v[14:15], v[16:17], 0.5
	v_fmac_f64_e32 v[16:17], v[16:17], v[18:19]
	v_fmac_f64_e32 v[14:15], v[14:15], v[18:19]
	v_fma_f64 v[18:19], -v[16:17], v[16:17], v[12:13]
	v_fmac_f64_e32 v[16:17], v[18:19], v[14:15]
	v_fma_f64 v[18:19], -v[16:17], v[16:17], v[12:13]
	v_fmac_f64_e32 v[16:17], v[18:19], v[14:15]
	v_ldexp_f64 v[14:15], v[16:17], v23
	v_cndmask_b32_e32 v13, v15, v13, vcc
	v_cndmask_b32_e32 v12, v14, v12, vcc
	global_store_dwordx2 v[10:11], v[12:13], off
.LBB31_45:                              ;   in Loop: Header=BB31_43 Depth=2
	s_or_b64 exec, exec, s[10:11]
	v_mov_b32_e32 v10, s31
	v_add_co_u32_e32 v8, vcc, s30, v8
	v_addc_co_u32_e32 v9, vcc, v10, v9, vcc
	s_waitcnt vmcnt(0)
	buffer_wbinvl1_vol
	global_load_dwordx2 v[8:9], v[8:9], off
	s_waitcnt vmcnt(0)
	v_cmp_neq_f64_e32 vcc, 0, v[8:9]
	s_or_b64 s[10:11], vcc, s[0:1]
	v_cndmask_b32_e32 v9, v27, v9, vcc
	s_xor_b64 s[12:13], s[10:11], -1
	v_cndmask_b32_e32 v8, 0, v8, vcc
	s_and_saveexec_b64 s[10:11], s[12:13]
	s_cbranch_execz .LBB31_51
; %bb.46:                               ;   in Loop: Header=BB31_43 Depth=2
	s_mov_b64 s[12:13], exec
	s_brev_b32 s40, -2
.LBB31_47:                              ;   Parent Loop BB31_7 Depth=1
                                        ;     Parent Loop BB31_43 Depth=2
                                        ; =>    This Inner Loop Header: Depth=3
	s_ff1_i32_b64 s41, s[12:13]
	v_readlane_b32 s46, v24, s41
	s_lshl_b64 s[42:43], 1, s41
	s_min_i32 s40, s40, s46
	s_andn2_b64 s[12:13], s[12:13], s[42:43]
	s_cmp_lg_u64 s[12:13], 0
	s_cbranch_scc1 .LBB31_47
; %bb.48:                               ;   in Loop: Header=BB31_43 Depth=2
	v_mbcnt_lo_u32_b32 v8, exec_lo, 0
	v_mbcnt_hi_u32_b32 v8, exec_hi, v8
	v_cmp_eq_u32_e32 vcc, 0, v8
	s_and_saveexec_b64 s[12:13], vcc
	s_xor_b64 s[12:13], exec, s[12:13]
	s_cbranch_execz .LBB31_50
; %bb.49:                               ;   in Loop: Header=BB31_43 Depth=2
	v_mov_b32_e32 v8, s40
	global_atomic_smin v25, v8, s[22:23]
.LBB31_50:                              ;   in Loop: Header=BB31_43 Depth=2
	s_or_b64 exec, exec, s[12:13]
	v_mov_b32_e32 v8, 0
	v_mov_b32_e32 v9, 0x3ff00000
.LBB31_51:                              ;   in Loop: Header=BB31_43 Depth=2
	s_or_b64 exec, exec, s[10:11]
	v_cmp_lt_i32_e32 vcc, s44, v3
	s_and_saveexec_b64 s[10:11], vcc
	s_cbranch_execz .LBB31_42
; %bb.52:                               ;   in Loop: Header=BB31_43 Depth=2
	v_add_u32_e32 v10, v22, v3
	v_add_u32_e32 v11, s44, v20
	v_cndmask_b32_e64 v10, v10, v11, s[2:3]
	v_ashrrev_i32_e32 v11, 31, v10
	v_lshlrev_b64 v[10:11], 3, v[10:11]
	v_mov_b32_e32 v12, s31
	v_add_co_u32_e32 v10, vcc, s30, v10
	v_addc_co_u32_e32 v11, vcc, v12, v11, vcc
	global_load_dwordx2 v[12:13], v[10:11], off
	v_pk_mov_b32 v[14:15], 0, 0
	s_and_saveexec_b64 s[12:13], s[4:5]
	s_cbranch_execz .LBB31_62
; %bb.53:                               ;   in Loop: Header=BB31_43 Depth=2
	s_mov_b64 s[40:41], 0
	v_pk_mov_b32 v[14:15], 0, 0
	v_mov_b32_e32 v23, v21
	v_mov_b32_e32 v36, v34
	;; [unrolled: 1-line block ×3, first 2 shown]
	s_branch .LBB31_55
.LBB31_54:                              ;   in Loop: Header=BB31_55 Depth=3
	v_add_u32_e32 v37, 1, v37
	v_cmp_le_i32_e32 vcc, s54, v37
	v_add_u32_e32 v36, s25, v36
	s_or_b64 s[40:41], vcc, s[40:41]
	v_add_u32_e32 v23, s25, v23
	s_andn2_b64 exec, exec, s[40:41]
	s_cbranch_execz .LBB31_61
.LBB31_55:                              ;   Parent Loop BB31_7 Depth=1
                                        ;     Parent Loop BB31_43 Depth=2
                                        ; =>    This Loop Header: Depth=3
                                        ;         Child Loop BB31_57 Depth 4
	v_mul_lo_u32 v16, v37, s25
	v_add_u32_e32 v38, s45, v16
	v_add_u32_e32 v39, v16, v35
	s_mov_b32 s46, 0
	s_mov_b32 s47, s55
	;; [unrolled: 1-line block ×3, first 2 shown]
	s_branch .LBB31_57
.LBB31_56:                              ;   in Loop: Header=BB31_57 Depth=4
	v_ashrrev_i32_e32 v19, 31, v18
	v_lshlrev_b64 v[18:19], 3, v[18:19]
	v_mov_b32_e32 v40, s31
	v_add_co_u32_e32 v18, vcc, s30, v18
	v_ashrrev_i32_e32 v17, 31, v16
	v_addc_co_u32_e32 v19, vcc, v40, v19, vcc
	v_lshlrev_b64 v[16:17], 3, v[16:17]
	v_add_co_u32_e32 v16, vcc, s30, v16
	v_addc_co_u32_e32 v17, vcc, v40, v17, vcc
	global_load_dwordx2 v[18:19], v[18:19], off
	s_nop 0
	global_load_dwordx2 v[16:17], v[16:17], off
	s_add_i32 s48, s48, 1
	s_add_i32 s46, s46, s55
	s_add_i32 s47, s47, -1
	s_cmp_eq_u32 s47, 0
	s_waitcnt vmcnt(0)
	v_fmac_f64_e32 v[14:15], v[18:19], v[16:17]
	s_cbranch_scc1 .LBB31_54
.LBB31_57:                              ;   Parent Loop BB31_7 Depth=1
                                        ;     Parent Loop BB31_43 Depth=2
                                        ;       Parent Loop BB31_55 Depth=3
                                        ; =>      This Inner Loop Header: Depth=4
	s_and_b64 vcc, exec, s[38:39]
	s_cbranch_vccz .LBB31_59
; %bb.58:                               ;   in Loop: Header=BB31_57 Depth=4
	v_add_u32_e32 v18, s46, v23
	v_add_u32_e32 v16, s46, v36
	s_cbranch_execnz .LBB31_56
	s_branch .LBB31_60
.LBB31_59:                              ;   in Loop: Header=BB31_57 Depth=4
                                        ; implicit-def: $vgpr18
                                        ; implicit-def: $vgpr16
.LBB31_60:                              ;   in Loop: Header=BB31_57 Depth=4
	v_add_u32_e32 v18, s48, v38
	v_add_u32_e32 v16, s48, v39
	s_branch .LBB31_56
.LBB31_61:                              ;   in Loop: Header=BB31_43 Depth=2
	s_or_b64 exec, exec, s[40:41]
.LBB31_62:                              ;   in Loop: Header=BB31_43 Depth=2
	s_or_b64 exec, exec, s[12:13]
	s_cmp_eq_u32 s44, 0
	s_cbranch_scc1 .LBB31_41
; %bb.63:                               ;   in Loop: Header=BB31_43 Depth=2
	s_mov_b32 s40, 0
	v_mov_b32_e32 v23, v29
	s_branch .LBB31_65
.LBB31_64:                              ;   in Loop: Header=BB31_65 Depth=3
	v_ashrrev_i32_e32 v19, 31, v18
	v_lshlrev_b64 v[18:19], 3, v[18:19]
	v_mov_b32_e32 v36, s31
	v_add_co_u32_e32 v18, vcc, s30, v18
	v_ashrrev_i32_e32 v17, 31, v16
	v_addc_co_u32_e32 v19, vcc, v36, v19, vcc
	v_lshlrev_b64 v[16:17], 3, v[16:17]
	v_add_co_u32_e32 v16, vcc, s30, v16
	v_addc_co_u32_e32 v17, vcc, v36, v17, vcc
	global_load_dwordx2 v[36:37], v[18:19], off
	global_load_dwordx2 v[38:39], v[16:17], off
	s_add_i32 s40, s40, 1
	s_cmp_ge_u32 s40, s44
	v_add_u32_e32 v23, s55, v23
	s_waitcnt vmcnt(0)
	v_fmac_f64_e32 v[14:15], v[36:37], v[38:39]
	s_cbranch_scc1 .LBB31_41
.LBB31_65:                              ;   Parent Loop BB31_7 Depth=1
                                        ;     Parent Loop BB31_43 Depth=2
                                        ; =>    This Inner Loop Header: Depth=3
	s_and_b64 vcc, exec, s[38:39]
	s_cbranch_vccz .LBB31_67
; %bb.66:                               ;   in Loop: Header=BB31_65 Depth=3
	v_add_u32_e32 v18, s44, v23
	v_add_u32_e32 v16, v3, v23
	s_cbranch_execnz .LBB31_64
	s_branch .LBB31_68
.LBB31_67:                              ;   in Loop: Header=BB31_65 Depth=3
                                        ; implicit-def: $vgpr18
                                        ; implicit-def: $vgpr16
.LBB31_68:                              ;   in Loop: Header=BB31_65 Depth=3
	v_add_u32_e32 v18, s40, v22
	v_add_u32_e32 v16, s40, v20
	s_branch .LBB31_64
.LBB31_69:
	s_or_b64 exec, exec, s[28:29]
	v_cmp_eq_u32_e32 vcc, 63, v0
	s_and_b64 s[0:1], vcc, exec
                                        ; implicit-def: $vgpr0
                                        ; implicit-def: $vgpr2_vgpr3
	s_andn2_saveexec_b64 s[2:3], s[20:21]
	s_cbranch_execz .LBB31_2
.LBB31_70:
	v_cmp_eq_u32_e32 vcc, 63, v0
	s_mov_b64 s[6:7], s[0:1]
	s_and_saveexec_b64 s[4:5], vcc
	s_cbranch_execz .LBB31_76
; %bb.71:
	s_mov_b64 s[6:7], exec
	v_add_u32_e32 v0, s33, v2
	s_brev_b32 s8, -2
.LBB31_72:                              ; =>This Inner Loop Header: Depth=1
	s_ff1_i32_b64 s9, s[6:7]
	v_readlane_b32 s12, v0, s9
	s_lshl_b64 s[10:11], 1, s9
	s_min_i32 s8, s8, s12
	s_andn2_b64 s[6:7], s[6:7], s[10:11]
	s_cmp_lg_u64 s[6:7], 0
	s_cbranch_scc1 .LBB31_72
; %bb.73:
	v_mbcnt_lo_u32_b32 v0, exec_lo, 0
	v_mbcnt_hi_u32_b32 v0, exec_hi, v0
	v_cmp_eq_u32_e32 vcc, 0, v0
	s_and_saveexec_b64 s[6:7], vcc
	s_xor_b64 s[6:7], exec, s[6:7]
	s_cbranch_execz .LBB31_75
; %bb.74:
	v_mov_b32_e32 v0, 0
	v_mov_b32_e32 v1, s8
	global_atomic_smin v0, v1, s[22:23]
.LBB31_75:
	s_or_b64 exec, exec, s[6:7]
	s_or_b64 s[6:7], s[0:1], exec
.LBB31_76:
	s_or_b64 exec, exec, s[4:5]
	s_andn2_b64 s[0:1], s[0:1], exec
	s_and_b64 s[4:5], s[6:7], exec
	s_or_b64 s[0:1], s[0:1], s[4:5]
	s_or_b64 exec, exec, s[2:3]
	s_and_saveexec_b64 s[2:3], s[0:1]
	s_cbranch_execz .LBB31_3
.LBB31_77:
	v_lshlrev_b64 v[0:1], 2, s[14:15]
	v_mov_b32_e32 v2, s19
	v_add_co_u32_e32 v0, vcc, s18, v0
	v_addc_co_u32_e32 v1, vcc, v2, v1, vcc
	v_mov_b32_e32 v2, 1
	s_waitcnt vmcnt(0)
	global_store_dword v[0:1], v2, off
	s_endpgm
	.section	.rodata,"a",@progbits
	.p2align	6, 0x0
	.amdhsa_kernel _ZN9rocsparseL23bsric0_binsearch_kernelILj64ELj64ELb0EdEEv20rocsparse_direction_iiPKiS3_PT2_S3_PiS3_S6_21rocsparse_index_base_
		.amdhsa_group_segment_fixed_size 0
		.amdhsa_private_segment_fixed_size 0
		.amdhsa_kernarg_size 76
		.amdhsa_user_sgpr_count 6
		.amdhsa_user_sgpr_private_segment_buffer 1
		.amdhsa_user_sgpr_dispatch_ptr 0
		.amdhsa_user_sgpr_queue_ptr 0
		.amdhsa_user_sgpr_kernarg_segment_ptr 1
		.amdhsa_user_sgpr_dispatch_id 0
		.amdhsa_user_sgpr_flat_scratch_init 0
		.amdhsa_user_sgpr_kernarg_preload_length 0
		.amdhsa_user_sgpr_kernarg_preload_offset 0
		.amdhsa_user_sgpr_private_segment_size 0
		.amdhsa_uses_dynamic_stack 0
		.amdhsa_system_sgpr_private_segment_wavefront_offset 0
		.amdhsa_system_sgpr_workgroup_id_x 1
		.amdhsa_system_sgpr_workgroup_id_y 0
		.amdhsa_system_sgpr_workgroup_id_z 0
		.amdhsa_system_sgpr_workgroup_info 0
		.amdhsa_system_vgpr_workitem_id 0
		.amdhsa_next_free_vgpr 51
		.amdhsa_next_free_sgpr 59
		.amdhsa_accum_offset 52
		.amdhsa_reserve_vcc 1
		.amdhsa_reserve_flat_scratch 0
		.amdhsa_float_round_mode_32 0
		.amdhsa_float_round_mode_16_64 0
		.amdhsa_float_denorm_mode_32 3
		.amdhsa_float_denorm_mode_16_64 3
		.amdhsa_dx10_clamp 1
		.amdhsa_ieee_mode 1
		.amdhsa_fp16_overflow 0
		.amdhsa_tg_split 0
		.amdhsa_exception_fp_ieee_invalid_op 0
		.amdhsa_exception_fp_denorm_src 0
		.amdhsa_exception_fp_ieee_div_zero 0
		.amdhsa_exception_fp_ieee_overflow 0
		.amdhsa_exception_fp_ieee_underflow 0
		.amdhsa_exception_fp_ieee_inexact 0
		.amdhsa_exception_int_div_zero 0
	.end_amdhsa_kernel
	.section	.text._ZN9rocsparseL23bsric0_binsearch_kernelILj64ELj64ELb0EdEEv20rocsparse_direction_iiPKiS3_PT2_S3_PiS3_S6_21rocsparse_index_base_,"axG",@progbits,_ZN9rocsparseL23bsric0_binsearch_kernelILj64ELj64ELb0EdEEv20rocsparse_direction_iiPKiS3_PT2_S3_PiS3_S6_21rocsparse_index_base_,comdat
.Lfunc_end31:
	.size	_ZN9rocsparseL23bsric0_binsearch_kernelILj64ELj64ELb0EdEEv20rocsparse_direction_iiPKiS3_PT2_S3_PiS3_S6_21rocsparse_index_base_, .Lfunc_end31-_ZN9rocsparseL23bsric0_binsearch_kernelILj64ELj64ELb0EdEEv20rocsparse_direction_iiPKiS3_PT2_S3_PiS3_S6_21rocsparse_index_base_
                                        ; -- End function
	.section	.AMDGPU.csdata,"",@progbits
; Kernel info:
; codeLenInByte = 2736
; NumSgprs: 63
; NumVgprs: 51
; NumAgprs: 0
; TotalNumVgprs: 51
; ScratchSize: 0
; MemoryBound: 0
; FloatMode: 240
; IeeeMode: 1
; LDSByteSize: 0 bytes/workgroup (compile time only)
; SGPRBlocks: 7
; VGPRBlocks: 6
; NumSGPRsForWavesPerEU: 63
; NumVGPRsForWavesPerEU: 51
; AccumOffset: 52
; Occupancy: 8
; WaveLimiterHint : 1
; COMPUTE_PGM_RSRC2:SCRATCH_EN: 0
; COMPUTE_PGM_RSRC2:USER_SGPR: 6
; COMPUTE_PGM_RSRC2:TRAP_HANDLER: 0
; COMPUTE_PGM_RSRC2:TGID_X_EN: 1
; COMPUTE_PGM_RSRC2:TGID_Y_EN: 0
; COMPUTE_PGM_RSRC2:TGID_Z_EN: 0
; COMPUTE_PGM_RSRC2:TIDIG_COMP_CNT: 0
; COMPUTE_PGM_RSRC3_GFX90A:ACCUM_OFFSET: 12
; COMPUTE_PGM_RSRC3_GFX90A:TG_SPLIT: 0
	.section	.text._ZN9rocsparseL17bsric0_2_8_kernelILi64ELi64ELi8EdEEv20rocsparse_direction_iiPKiS3_PT2_S3_PiS3_S6_21rocsparse_index_base_,"axG",@progbits,_ZN9rocsparseL17bsric0_2_8_kernelILi64ELi64ELi8EdEEv20rocsparse_direction_iiPKiS3_PT2_S3_PiS3_S6_21rocsparse_index_base_,comdat
	.globl	_ZN9rocsparseL17bsric0_2_8_kernelILi64ELi64ELi8EdEEv20rocsparse_direction_iiPKiS3_PT2_S3_PiS3_S6_21rocsparse_index_base_ ; -- Begin function _ZN9rocsparseL17bsric0_2_8_kernelILi64ELi64ELi8EdEEv20rocsparse_direction_iiPKiS3_PT2_S3_PiS3_S6_21rocsparse_index_base_
	.p2align	8
	.type	_ZN9rocsparseL17bsric0_2_8_kernelILi64ELi64ELi8EdEEv20rocsparse_direction_iiPKiS3_PT2_S3_PiS3_S6_21rocsparse_index_base_,@function
_ZN9rocsparseL17bsric0_2_8_kernelILi64ELi64ELi8EdEEv20rocsparse_direction_iiPKiS3_PT2_S3_PiS3_S6_21rocsparse_index_base_: ; @_ZN9rocsparseL17bsric0_2_8_kernelILi64ELi64ELi8EdEEv20rocsparse_direction_iiPKiS3_PT2_S3_PiS3_S6_21rocsparse_index_base_
; %bb.0:
	s_load_dwordx8 s[8:15], s[4:5], 0x28
	s_mov_b32 s7, 0
	s_lshl_b64 s[0:1], s[6:7], 2
	v_and_b32_e32 v14, 0x3ff, v0
	v_bfe_u32 v15, v0, 10, 10
	s_waitcnt lgkmcnt(0)
	s_add_u32 s0, s12, s0
	s_addc_u32 s1, s13, s1
	s_load_dword s12, s[0:1], 0x0
	s_waitcnt lgkmcnt(0)
	s_ashr_i32 s13, s12, 31
	s_lshl_b64 s[6:7], s[12:13], 2
	s_add_u32 s0, s8, s6
	s_addc_u32 s1, s9, s7
	s_load_dword s33, s[0:1], 0x0
	s_load_dword s13, s[4:5], 0x48
	s_waitcnt lgkmcnt(0)
	s_cmp_lg_u32 s33, -1
	s_cbranch_scc0 .LBB32_106
; %bb.1:
	s_load_dwordx4 s[16:19], s[4:5], 0x10
	s_load_dwordx2 s[20:21], s[4:5], 0x20
	v_lshlrev_b32_e32 v16, 3, v15
	v_add_u32_e32 v1, v16, v14
	s_waitcnt lgkmcnt(0)
	s_add_u32 s0, s16, s6
	s_addc_u32 s1, s17, s7
	s_load_dword s26, s[0:1], 0x0
	s_waitcnt lgkmcnt(0)
	s_sub_i32 s44, s26, s13
	v_add_u32_e32 v0, s44, v1
	v_cmp_ge_i32_e32 vcc, s33, v0
	s_and_saveexec_b64 s[0:1], vcc
	s_cbranch_execz .LBB32_14
; %bb.2:
	v_add_u32_e32 v1, s26, v1
	v_subrev_u32_e32 v1, s13, v1
	v_add_u32_e32 v1, 64, v1
	s_add_i32 s2, s33, 1
	v_max_i32_e32 v1, s2, v1
	v_not_b32_e32 v2, v14
	v_add3_u32 v1, v1, s13, v2
	v_add_u32_e32 v2, s26, v16
	v_sub_u32_e32 v1, v1, v2
	v_cmp_lt_u32_e32 vcc, 63, v1
	s_mov_b64 s[22:23], -1
	s_and_saveexec_b64 s[2:3], vcc
	s_cbranch_execz .LBB32_11
; %bb.3:
	v_lshrrev_b32_e32 v12, 6, v1
	v_add_u32_e32 v2, -1, v12
	v_add_u32_e32 v1, 64, v0
	v_lshrrev_b32_e32 v3, 1, v2
	v_add_u32_e32 v13, 1, v3
	v_cmp_lt_u32_e32 vcc, 13, v2
	v_pk_mov_b32 v[2:3], v[0:1], v[0:1] op_sel:[0,1]
	s_and_saveexec_b64 s[22:23], vcc
	s_cbranch_execz .LBB32_7
; %bb.4:
	v_and_b32_e32 v17, -8, v13
	s_mov_b64 s[24:25], 0
	v_mov_b32_e32 v18, s19
	v_pk_mov_b32 v[2:3], v[0:1], v[0:1] op_sel:[0,1]
.LBB32_5:                               ; =>This Inner Loop Header: Depth=1
	v_ashrrev_i32_e32 v23, 31, v2
	v_mov_b32_e32 v22, v2
	v_lshlrev_b64 v[22:23], 2, v[22:23]
	v_ashrrev_i32_e32 v21, 31, v3
	v_mov_b32_e32 v20, v3
	v_add_co_u32_e32 v22, vcc, s18, v22
	v_add_u32_e32 v4, 0x80, v2
	v_lshlrev_b64 v[20:21], 2, v[20:21]
	v_addc_co_u32_e32 v23, vcc, v18, v23, vcc
	v_ashrrev_i32_e32 v5, 31, v4
	v_add_co_u32_e32 v20, vcc, s18, v20
	v_add_u32_e32 v6, 0x80, v3
	v_addc_co_u32_e32 v21, vcc, v18, v21, vcc
	v_lshlrev_b64 v[44:45], 2, v[4:5]
	v_ashrrev_i32_e32 v7, 31, v6
	global_load_dword v1, v[22:23], off
	global_load_dword v5, v[20:21], off
	v_add_co_u32_e32 v20, vcc, s18, v44
	v_add_u32_e32 v8, 0x100, v2
	v_lshlrev_b64 v[46:47], 2, v[6:7]
	v_addc_co_u32_e32 v21, vcc, v18, v45, vcc
	v_ashrrev_i32_e32 v9, 31, v8
	v_add_co_u32_e32 v22, vcc, s18, v46
	v_add_u32_e32 v10, 0x100, v3
	v_lshlrev_b64 v[48:49], 2, v[8:9]
	v_addc_co_u32_e32 v23, vcc, v18, v47, vcc
	v_ashrrev_i32_e32 v11, 31, v10
	;; [unrolled: 5-line block ×12, first 2 shown]
	v_add_co_u32_e32 v64, vcc, s18, v68
	v_lshlrev_b64 v[70:71], 2, v[42:43]
	v_addc_co_u32_e32 v65, vcc, v18, v69, vcc
	v_add_co_u32_e32 v66, vcc, s18, v70
	v_addc_co_u32_e32 v67, vcc, v18, v71, vcc
	global_load_dword v7, v[22:23], off
	global_load_dword v9, v[20:21], off
	;; [unrolled: 1-line block ×14, first 2 shown]
	v_subrev_u32_e32 v21, s44, v2
	v_add_u32_e32 v17, -8, v17
	v_subrev_u32_e32 v20, s44, v3
	v_lshlrev_b32_e32 v21, 2, v21
	v_subrev_u32_e32 v4, s44, v4
	v_cmp_eq_u32_e32 vcc, 0, v17
	s_waitcnt vmcnt(14)
	v_subrev_u32_e32 v5, s13, v5
	v_subrev_u32_e32 v1, s13, v1
	v_add_u32_e32 v3, 0x400, v3
	v_add_u32_e32 v2, 0x400, v2
	v_lshlrev_b32_e32 v20, 2, v20
	v_subrev_u32_e32 v6, s44, v6
	v_subrev_u32_e32 v10, s44, v10
	;; [unrolled: 1-line block ×13, first 2 shown]
	v_lshlrev_b32_e32 v4, 2, v4
	s_or_b64 s[24:25], vcc, s[24:25]
	ds_write_b32 v21, v1 offset:2816
	ds_write_b32 v20, v5 offset:2816
	v_lshlrev_b32_e32 v6, 2, v6
	v_lshlrev_b32_e32 v8, 2, v8
	;; [unrolled: 1-line block ×13, first 2 shown]
	s_waitcnt vmcnt(13)
	v_subrev_u32_e32 v1, s13, v7
	s_waitcnt vmcnt(12)
	v_subrev_u32_e32 v5, s13, v9
	s_waitcnt vmcnt(11)
	v_subrev_u32_e32 v7, s13, v11
	s_waitcnt vmcnt(10)
	v_subrev_u32_e32 v9, s13, v19
	s_waitcnt vmcnt(9)
	v_subrev_u32_e32 v11, s13, v25
	s_waitcnt vmcnt(8)
	v_subrev_u32_e32 v19, s13, v27
	s_waitcnt vmcnt(7)
	v_subrev_u32_e32 v20, s13, v29
	s_waitcnt vmcnt(6)
	v_subrev_u32_e32 v21, s13, v31
	s_waitcnt vmcnt(5)
	v_subrev_u32_e32 v25, s13, v33
	s_waitcnt vmcnt(4)
	v_subrev_u32_e32 v27, s13, v35
	s_waitcnt vmcnt(3)
	v_subrev_u32_e32 v29, s13, v37
	s_waitcnt vmcnt(2)
	v_subrev_u32_e32 v31, s13, v39
	s_waitcnt vmcnt(1)
	v_subrev_u32_e32 v33, s13, v41
	s_waitcnt vmcnt(0)
	v_subrev_u32_e32 v35, s13, v43
	ds_write_b32 v4, v5 offset:2816
	ds_write_b32 v6, v1 offset:2816
	;; [unrolled: 1-line block ×14, first 2 shown]
	s_andn2_b64 exec, exec, s[24:25]
	s_cbranch_execnz .LBB32_5
; %bb.6:
	s_or_b64 exec, exec, s[24:25]
.LBB32_7:
	s_or_b64 exec, exec, s[22:23]
	v_and_b32_e32 v1, 7, v13
	v_cmp_ne_u32_e32 vcc, 0, v1
	s_and_saveexec_b64 s[22:23], vcc
	s_cbranch_execz .LBB32_10
; %bb.8:
	s_mov_b64 s[24:25], 0
	v_mov_b32_e32 v4, s19
.LBB32_9:                               ; =>This Inner Loop Header: Depth=1
	v_ashrrev_i32_e32 v9, 31, v2
	v_mov_b32_e32 v8, v2
	v_lshlrev_b64 v[8:9], 2, v[8:9]
	v_ashrrev_i32_e32 v7, 31, v3
	v_mov_b32_e32 v6, v3
	v_add_co_u32_e32 v8, vcc, s18, v8
	v_lshlrev_b64 v[6:7], 2, v[6:7]
	v_addc_co_u32_e32 v9, vcc, v4, v9, vcc
	v_add_co_u32_e32 v6, vcc, s18, v6
	v_addc_co_u32_e32 v7, vcc, v4, v7, vcc
	global_load_dword v5, v[6:7], off
	global_load_dword v10, v[8:9], off
	v_add_u32_e32 v1, -1, v1
	v_subrev_u32_e32 v7, s44, v2
	v_cmp_eq_u32_e32 vcc, 0, v1
	v_subrev_u32_e32 v6, s44, v3
	v_add_u32_e32 v3, 0x80, v3
	v_add_u32_e32 v2, 0x80, v2
	v_lshlrev_b32_e32 v7, 2, v7
	s_or_b64 s[24:25], vcc, s[24:25]
	v_lshlrev_b32_e32 v6, 2, v6
	s_waitcnt vmcnt(1)
	v_subrev_u32_e32 v5, s13, v5
	s_waitcnt vmcnt(0)
	v_subrev_u32_e32 v8, s13, v10
	ds_write_b32 v7, v8 offset:2816
	ds_write_b32 v6, v5 offset:2816
	s_andn2_b64 exec, exec, s[24:25]
	s_cbranch_execnz .LBB32_9
.LBB32_10:
	s_or_b64 exec, exec, s[22:23]
	v_add_u32_e32 v1, 1, v12
	v_and_b32_e32 v2, 0x7fffffe, v1
	v_cmp_ne_u32_e32 vcc, v1, v2
	v_lshl_add_u32 v0, v2, 6, v0
	s_orn2_b64 s[22:23], vcc, exec
.LBB32_11:
	s_or_b64 exec, exec, s[2:3]
	s_and_b64 exec, exec, s[22:23]
	s_cbranch_execz .LBB32_14
; %bb.12:
	v_add_u32_e32 v1, s13, v0
	v_subrev_u32_e32 v1, s26, v1
	v_mov_b32_e32 v2, 0xb00
	v_lshl_add_u32 v4, v1, 2, v2
	v_ashrrev_i32_e32 v1, 31, v0
	v_lshlrev_b64 v[2:3], 2, v[0:1]
	v_mov_b32_e32 v1, s19
	v_add_co_u32_e32 v2, vcc, s18, v2
	v_addc_co_u32_e32 v3, vcc, v1, v3, vcc
	s_mov_b64 s[2:3], 0
.LBB32_13:                              ; =>This Inner Loop Header: Depth=1
	global_load_dword v1, v[2:3], off
	v_add_co_u32_e32 v2, vcc, 0x100, v2
	v_add_u32_e32 v0, 64, v0
	v_addc_co_u32_e32 v3, vcc, 0, v3, vcc
	v_cmp_lt_i32_e32 vcc, s33, v0
	s_or_b64 s[2:3], vcc, s[2:3]
	s_waitcnt vmcnt(0)
	v_subrev_u32_e32 v1, s13, v1
	ds_write_b32 v4, v1
	v_add_u32_e32 v4, 0x100, v4
	s_andn2_b64 exec, exec, s[2:3]
	s_cbranch_execnz .LBB32_13
.LBB32_14:
	s_or_b64 exec, exec, s[0:1]
	s_load_dword s46, s[4:5], 0x0
	s_load_dword s45, s[4:5], 0x8
	v_lshlrev_b32_e32 v17, 3, v14
	s_movk_i32 s47, 0x48
	v_mad_u32_u24 v18, v15, s47, v17
	v_mov_b32_e32 v0, 0
	v_add_u32_e32 v3, 0x6c0, v18
	v_mov_b32_e32 v1, v0
	s_cmp_ge_i32 s44, s33
	ds_write_b64 v18, v[0:1] offset:1728
	s_waitcnt lgkmcnt(0)
	s_cbranch_scc1 .LBB32_84
; %bb.15:
	s_cmp_eq_u32 s46, 0
	s_cselect_b64 vcc, -1, 0
	s_cmp_lg_u32 s46, 0
	v_cmp_gt_i32_e64 s[0:1], s45, v14
	v_cmp_gt_i32_e64 s[2:3], s45, v15
	s_cselect_b64 s[22:23], -1, 0
	s_and_b64 s[24:25], s[0:1], s[2:3]
	s_cmp_gt_i32 s45, 0
	s_cselect_b64 s[26:27], -1, 0
	s_cmp_lg_u32 s45, 1
	v_mov_b32_e32 v1, 0x480
	s_cselect_b64 s[28:29], -1, 0
	s_and_b32 s49, s45, 0x7ffffffe
	v_mad_u32_u24 v1, v15, s47, v1
	v_or_b32_e32 v2, v14, v15
	s_bitcmp1_b32 s45, 0
	v_add_u32_e32 v19, v1, v17
	s_mul_i32 s48, s45, s45
	v_mul_lo_u32 v20, v14, s45
	v_mul_lo_u32 v21, v15, s45
	v_add_u32_e32 v22, 0x240, v18
	v_cmp_ne_u32_e64 s[4:5], 0, v2
	v_cndmask_b32_e32 v2, v15, v14, vcc
	v_cndmask_b32_e32 v23, v14, v15, vcc
	s_cselect_b64 s[30:31], -1, 0
	v_mov_b32_e32 v24, 0x3ff00000
	s_mov_b32 s34, s44
	s_branch .LBB32_18
.LBB32_16:                              ;   in Loop: Header=BB32_18 Depth=1
	s_or_b64 exec, exec, s[36:37]
	s_add_i32 s34, s34, 1
	s_cmp_ge_i32 s34, s33
	s_cselect_b64 s[40:41], -1, 0
	s_waitcnt vmcnt(0)
	buffer_wbinvl1_vol
.LBB32_17:                              ;   in Loop: Header=BB32_18 Depth=1
	s_and_b64 vcc, exec, s[40:41]
	s_cbranch_vccnz .LBB32_84
.LBB32_18:                              ; =>This Loop Header: Depth=1
                                        ;     Child Loop BB32_23 Depth 2
                                        ;     Child Loop BB32_34 Depth 2
	;; [unrolled: 1-line block ×3, first 2 shown]
                                        ;       Child Loop BB32_65 Depth 3
                                        ;       Child Loop BB32_71 Depth 3
                                        ;     Child Loop BB32_80 Depth 2
	s_ashr_i32 s35, s34, 31
	s_lshl_b64 s[36:37], s[34:35], 2
	s_add_u32 s36, s18, s36
	s_addc_u32 s37, s19, s37
	s_load_dword s35, s[36:37], 0x0
	s_waitcnt lgkmcnt(0)
	s_sub_i32 s38, s35, s13
	s_ashr_i32 s39, s38, 31
	s_lshl_b64 s[36:37], s[38:39], 2
	s_add_u32 s40, s8, s36
	s_addc_u32 s41, s9, s37
	s_load_dword s39, s[40:41], 0x0
	s_mov_b64 s[40:41], -1
	s_waitcnt lgkmcnt(0)
	s_cmp_eq_u32 s39, -1
	s_cbranch_scc1 .LBB32_17
; %bb.19:                               ;   in Loop: Header=BB32_18 Depth=1
	s_add_u32 s40, s16, s36
	s_addc_u32 s41, s17, s37
	v_pk_mov_b32 v[4:5], 0, 0
	s_and_saveexec_b64 s[42:43], s[24:25]
	s_cbranch_execz .LBB32_21
; %bb.20:                               ;   in Loop: Header=BB32_18 Depth=1
	s_mul_i32 s50, s34, s45
	v_add_u32_e32 v4, s50, v23
	v_mad_u64_u32 v[4:5], s[50:51], v4, s45, v[2:3]
	v_ashrrev_i32_e32 v5, 31, v4
	v_lshlrev_b64 v[4:5], 3, v[4:5]
	v_mov_b32_e32 v6, s21
	v_add_co_u32_e32 v4, vcc, s20, v4
	v_addc_co_u32_e32 v5, vcc, v6, v5, vcc
	global_load_dwordx2 v[4:5], v[4:5], off
.LBB32_21:                              ;   in Loop: Header=BB32_18 Depth=1
	s_or_b64 exec, exec, s[42:43]
	s_load_dword s40, s[40:41], 0x0
	ds_read_b32 v6, v0 offset:2816
	s_mov_b32 s41, 0
	s_waitcnt vmcnt(0)
	ds_write_b64 v19, v[4:5]
	s_waitcnt lgkmcnt(0)
	s_sub_i32 s40, s40, s13
	s_cmp_le_i32 s40, s39
	v_cmp_ge_i32_e32 vcc, s38, v6
	s_cselect_b64 s[42:43], -1, 0
	s_and_b64 s[42:43], s[42:43], vcc
	s_andn2_b64 vcc, exec, s[42:43]
	s_cbranch_vccnz .LBB32_33
; %bb.22:                               ;   in Loop: Header=BB32_18 Depth=1
	s_mov_b32 s50, 0
	s_mov_b32 s51, 0
.LBB32_23:                              ;   Parent Loop BB32_18 Depth=1
                                        ; =>  This Inner Loop Header: Depth=2
	s_ashr_i32 s41, s40, 31
	s_lshl_b64 s[42:43], s[40:41], 2
	s_add_u32 s42, s18, s42
	s_addc_u32 s43, s19, s43
	s_load_dword s41, s[42:43], 0x0
	s_lshl_b32 s42, s51, 2
	v_mov_b32_e32 v4, s42
	ds_read_b32 v4, v4 offset:2816
	s_mov_b64 s[42:43], -1
	s_waitcnt lgkmcnt(0)
	s_sub_i32 s55, s41, s13
                                        ; implicit-def: $sgpr41
                                        ; implicit-def: $sgpr54
                                        ; implicit-def: $sgpr53
	v_cmp_ge_i32_e32 vcc, s55, v4
	v_readfirstlane_b32 s52, v4
	s_cbranch_vccz .LBB32_29
; %bb.24:                               ;   in Loop: Header=BB32_23 Depth=2
	s_cmp_le_i32 s55, s52
                                        ; implicit-def: $sgpr41
                                        ; implicit-def: $sgpr54
                                        ; implicit-def: $sgpr53
	s_cbranch_scc0 .LBB32_26
; %bb.25:                               ;   in Loop: Header=BB32_23 Depth=2
	s_add_i32 s41, s51, s44
	s_mul_i32 s41, s41, s48
	s_lshl_b32 s42, s50, 2
	v_mov_b32_e32 v5, s41
	s_mul_i32 s41, s40, s48
	v_mov_b32_e32 v4, s42
	v_mov_b32_e32 v6, s41
	ds_write2st64_b32 v4, v6, v5 offset0:9 offset1:10
	s_add_i32 s53, s51, 1
	s_add_i32 s54, s40, 1
	;; [unrolled: 1-line block ×3, first 2 shown]
	s_mov_b64 s[42:43], 0
.LBB32_26:                              ;   in Loop: Header=BB32_23 Depth=2
	s_andn2_b64 vcc, exec, s[42:43]
	s_cbranch_vccnz .LBB32_28
; %bb.27:                               ;   in Loop: Header=BB32_23 Depth=2
	s_add_i32 s53, s51, 1
	s_mov_b32 s41, s50
	s_mov_b32 s54, s40
.LBB32_28:                              ;   in Loop: Header=BB32_23 Depth=2
	s_mov_b64 s[42:43], 0
.LBB32_29:                              ;   in Loop: Header=BB32_23 Depth=2
	s_andn2_b64 vcc, exec, s[42:43]
	s_cbranch_vccnz .LBB32_31
; %bb.30:                               ;   in Loop: Header=BB32_23 Depth=2
	s_add_i32 s54, s40, 1
	s_mov_b32 s53, s51
	s_mov_b32 s41, s50
.LBB32_31:                              ;   in Loop: Header=BB32_23 Depth=2
	s_cmp_le_i32 s54, s39
	s_cselect_b64 s[42:43], -1, 0
	s_cmp_le_i32 s52, s38
	s_cselect_b64 s[50:51], -1, 0
	s_and_b64 s[42:43], s[42:43], s[50:51]
	s_and_b64 vcc, exec, s[42:43]
	s_cbranch_vccz .LBB32_33
; %bb.32:                               ;   in Loop: Header=BB32_23 Depth=2
	s_mov_b32 s50, s41
	s_mov_b32 s40, s54
	;; [unrolled: 1-line block ×3, first 2 shown]
	s_branch .LBB32_23
.LBB32_33:                              ;   in Loop: Header=BB32_18 Depth=1
	s_add_u32 s36, s10, s36
	s_addc_u32 s37, s11, s37
	s_waitcnt lgkmcnt(0)
.LBB32_34:                              ;   Parent Loop BB32_18 Depth=1
                                        ; =>  This Inner Loop Header: Depth=2
	global_load_dword v4, v0, s[36:37] glc
	s_waitcnt vmcnt(0)
	v_cmp_eq_u32_e32 vcc, 0, v4
	s_cbranch_vccnz .LBB32_34
; %bb.35:                               ;   in Loop: Header=BB32_18 Depth=1
	v_pk_mov_b32 v[10:11], 0, 0
	v_pk_mov_b32 v[4:5], v[10:11], v[10:11] op_sel:[0,1]
	buffer_wbinvl1_vol
	s_and_saveexec_b64 s[36:37], s[24:25]
	s_cbranch_execz .LBB32_37
; %bb.36:                               ;   in Loop: Header=BB32_18 Depth=1
	s_mul_i32 s39, s39, s45
	v_add_u32_e32 v4, s39, v23
	v_mad_u64_u32 v[4:5], s[38:39], v4, s45, v[2:3]
	v_ashrrev_i32_e32 v5, 31, v4
	v_lshlrev_b64 v[4:5], 3, v[4:5]
	v_mov_b32_e32 v6, s21
	v_add_co_u32_e32 v4, vcc, s20, v4
	v_addc_co_u32_e32 v5, vcc, v6, v5, vcc
	global_load_dwordx2 v[4:5], v[4:5], off
.LBB32_37:                              ;   in Loop: Header=BB32_18 Depth=1
	s_or_b64 exec, exec, s[36:37]
	s_cmp_lt_i32 s41, 2
	s_waitcnt vmcnt(0)
	ds_write_b64 v18, v[4:5]
	s_waitcnt lgkmcnt(0)
	s_cbranch_scc1 .LBB32_56
; %bb.38:                               ;   in Loop: Header=BB32_18 Depth=1
	s_add_i32 s38, s41, -2
	s_mov_b32 s39, 0
	v_pk_mov_b32 v[4:5], 0, 0
	s_andn2_b64 vcc, exec, s[26:27]
	s_cbranch_vccnz .LBB32_53
.LBB32_39:                              ;   in Loop: Header=BB32_18 Depth=1
	s_lshl_b32 s36, s39, 2
	v_mov_b32_e32 v6, s36
	ds_read2st64_b32 v[8:9], v6 offset0:9 offset1:10
	s_mov_b32 s40, 0
	s_waitcnt lgkmcnt(0)
	v_add_u32_e32 v25, v8, v20
	v_add_u32_e32 v26, v9, v21
	;; [unrolled: 1-line block ×4, first 2 shown]
	s_and_b64 vcc, exec, s[22:23]
	s_cbranch_vccz .LBB32_45
.LBB32_40:                              ;   in Loop: Header=BB32_18 Depth=1
	v_pk_mov_b32 v[10:11], 0, 0
	v_pk_mov_b32 v[12:13], v[10:11], v[10:11] op_sel:[0,1]
	s_and_saveexec_b64 s[36:37], s[0:1]
	s_cbranch_execz .LBB32_42
; %bb.41:                               ;   in Loop: Header=BB32_18 Depth=1
	v_ashrrev_i32_e32 v9, 31, v8
	v_lshlrev_b64 v[12:13], 3, v[8:9]
	v_mov_b32_e32 v7, s21
	v_add_co_u32_e32 v12, vcc, s20, v12
	v_addc_co_u32_e32 v13, vcc, v7, v13, vcc
	global_load_dwordx2 v[12:13], v[12:13], off
.LBB32_42:                              ;   in Loop: Header=BB32_18 Depth=1
	s_or_b64 exec, exec, s[36:37]
	s_and_saveexec_b64 s[36:37], s[2:3]
	s_cbranch_execz .LBB32_44
; %bb.43:                               ;   in Loop: Header=BB32_18 Depth=1
	v_ashrrev_i32_e32 v7, 31, v6
	v_lshlrev_b64 v[10:11], 3, v[6:7]
	v_mov_b32_e32 v7, s21
	v_add_co_u32_e32 v10, vcc, s20, v10
	v_addc_co_u32_e32 v11, vcc, v7, v11, vcc
	global_load_dwordx2 v[10:11], v[10:11], off
.LBB32_44:                              ;   in Loop: Header=BB32_18 Depth=1
	s_or_b64 exec, exec, s[36:37]
	s_waitcnt vmcnt(0)
	v_fma_f64 v[10:11], v[12:13], v[10:11], v[4:5]
	s_branch .LBB32_51
.LBB32_45:                              ;   in Loop: Header=BB32_18 Depth=1
                                        ; implicit-def: $vgpr10_vgpr11
	s_cbranch_execz .LBB32_51
; %bb.46:                               ;   in Loop: Header=BB32_18 Depth=1
	v_pk_mov_b32 v[10:11], 0, 0
	v_pk_mov_b32 v[12:13], v[10:11], v[10:11] op_sel:[0,1]
	s_and_saveexec_b64 s[36:37], s[0:1]
	s_cbranch_execz .LBB32_48
; %bb.47:                               ;   in Loop: Header=BB32_18 Depth=1
	v_add_u32_e32 v12, s40, v25
	v_ashrrev_i32_e32 v13, 31, v12
	v_lshlrev_b64 v[12:13], 3, v[12:13]
	v_mov_b32_e32 v7, s21
	v_add_co_u32_e32 v12, vcc, s20, v12
	v_addc_co_u32_e32 v13, vcc, v7, v13, vcc
	global_load_dwordx2 v[12:13], v[12:13], off
.LBB32_48:                              ;   in Loop: Header=BB32_18 Depth=1
	s_or_b64 exec, exec, s[36:37]
	s_and_saveexec_b64 s[36:37], s[2:3]
	s_cbranch_execz .LBB32_50
; %bb.49:                               ;   in Loop: Header=BB32_18 Depth=1
	v_add_u32_e32 v10, s40, v26
	v_ashrrev_i32_e32 v11, 31, v10
	v_lshlrev_b64 v[10:11], 3, v[10:11]
	v_mov_b32_e32 v7, s21
	v_add_co_u32_e32 v10, vcc, s20, v10
	v_addc_co_u32_e32 v11, vcc, v7, v11, vcc
	global_load_dwordx2 v[10:11], v[10:11], off
.LBB32_50:                              ;   in Loop: Header=BB32_18 Depth=1
	s_or_b64 exec, exec, s[36:37]
	s_waitcnt vmcnt(0)
	v_fmac_f64_e32 v[4:5], v[12:13], v[10:11]
	v_pk_mov_b32 v[10:11], v[4:5], v[4:5] op_sel:[0,1]
.LBB32_51:                              ;   in Loop: Header=BB32_18 Depth=1
	s_add_i32 s40, s40, 1
	v_add_u32_e32 v6, s45, v6
	s_cmp_eq_u32 s45, s40
	v_add_u32_e32 v8, s45, v8
	s_cbranch_scc1 .LBB32_54
; %bb.52:                               ;   in Loop: Header=BB32_18 Depth=1
	v_pk_mov_b32 v[4:5], v[10:11], v[10:11] op_sel:[0,1]
	s_and_b64 vcc, exec, s[22:23]
	s_cbranch_vccz .LBB32_45
	s_branch .LBB32_40
.LBB32_53:                              ;   in Loop: Header=BB32_18 Depth=1
	v_pk_mov_b32 v[10:11], v[4:5], v[4:5] op_sel:[0,1]
.LBB32_54:                              ;   in Loop: Header=BB32_18 Depth=1
	s_add_i32 s36, s39, 1
	s_cmp_eq_u32 s39, s38
	s_cbranch_scc1 .LBB32_56
; %bb.55:                               ;   in Loop: Header=BB32_18 Depth=1
	v_pk_mov_b32 v[4:5], v[10:11], v[10:11] op_sel:[0,1]
	s_mov_b32 s39, s36
	s_andn2_b64 vcc, exec, s[26:27]
	s_cbranch_vccz .LBB32_39
	s_branch .LBB32_53
.LBB32_56:                              ;   in Loop: Header=BB32_18 Depth=1
	s_andn2_b64 vcc, exec, s[26:27]
	ds_write_b64 v22, v[10:11]
	s_waitcnt lgkmcnt(0)
	s_cbranch_vccnz .LBB32_82
; %bb.57:                               ;   in Loop: Header=BB32_18 Depth=1
	s_andn2_b64 vcc, exec, s[28:29]
	s_mov_b32 s42, 0
	s_cbranch_vccnz .LBB32_73
; %bb.58:                               ;   in Loop: Header=BB32_18 Depth=1
	s_mov_b32 s40, 0
	s_mov_b32 s41, 0
.LBB32_59:                              ;   Parent Loop BB32_18 Depth=1
                                        ; =>  This Loop Header: Depth=2
                                        ;       Child Loop BB32_65 Depth 3
                                        ;       Child Loop BB32_71 Depth 3
	s_lshl_b32 s36, s41, 3
	s_mul_i32 s37, s41, 0x48
	s_add_i32 s42, s36, s37
	v_mov_b32_e32 v4, s42
	ds_read_b64 v[6:7], v4
	v_mov_b32_e32 v4, s36
	v_mad_u32_u24 v10, v15, s47, v4
	ds_read_b64 v[4:5], v10 offset:1152
	s_waitcnt lgkmcnt(1)
	v_cmp_neq_f64_e32 vcc, 0, v[6:7]
	s_or_b64 s[36:37], vcc, s[4:5]
	v_cndmask_b32_e32 v7, v24, v7, vcc
	s_xor_b64 s[38:39], s[36:37], -1
	v_cndmask_b32_e32 v6, 0, v6, vcc
	s_and_saveexec_b64 s[36:37], s[38:39]
	s_cbranch_execz .LBB32_63
; %bb.60:                               ;   in Loop: Header=BB32_59 Depth=2
	v_mbcnt_lo_u32_b32 v6, exec_lo, 0
	v_mbcnt_hi_u32_b32 v6, exec_hi, v6
	v_cmp_eq_u32_e32 vcc, 0, v6
	s_and_saveexec_b64 s[38:39], vcc
	s_cbranch_execz .LBB32_62
; %bb.61:                               ;   in Loop: Header=BB32_59 Depth=2
	v_mov_b32_e32 v6, s35
	global_atomic_smin v0, v6, s[14:15]
.LBB32_62:                              ;   in Loop: Header=BB32_59 Depth=2
	s_or_b64 exec, exec, s[38:39]
	v_mov_b32_e32 v6, 0
	v_mov_b32_e32 v7, 0x3ff00000
.LBB32_63:                              ;   in Loop: Header=BB32_59 Depth=2
	s_or_b64 exec, exec, s[36:37]
	v_mul_u32_u24_e32 v8, 0x48, v15
	v_lshl_add_u32 v11, s41, 3, v8
	ds_read_b64 v[8:9], v11 offset:576
	s_cmp_eq_u32 s41, 0
	s_cbranch_scc1 .LBB32_66
; %bb.64:                               ;   in Loop: Header=BB32_59 Depth=2
	s_mov_b32 s36, 0
	v_mov_b32_e32 v12, v1
	s_mov_b32 s37, s40
.LBB32_65:                              ;   Parent Loop BB32_18 Depth=1
                                        ;     Parent Loop BB32_59 Depth=2
                                        ; =>    This Inner Loop Header: Depth=3
	v_mov_b32_e32 v13, s37
	ds_read_b64 v[26:27], v12
	ds_read_b64 v[28:29], v13
	s_add_i32 s36, s36, 1
	s_add_i32 s37, s37, 8
	v_add_u32_e32 v12, 8, v12
	s_cmp_ge_u32 s36, s41
	s_waitcnt lgkmcnt(0)
	v_fmac_f64_e32 v[8:9], v[28:29], v[26:27]
	s_cbranch_scc0 .LBB32_65
.LBB32_66:                              ;   in Loop: Header=BB32_59 Depth=2
	s_waitcnt lgkmcnt(0)
	v_add_f64 v[4:5], v[4:5], -v[8:9]
	v_div_scale_f64 v[8:9], s[36:37], v[6:7], v[6:7], v[4:5]
	v_rcp_f64_e32 v[12:13], v[8:9]
	v_div_scale_f64 v[26:27], vcc, v[4:5], v[6:7], v[4:5]
	v_add_u32_e32 v10, 0x480, v10
	v_fma_f64 v[28:29], -v[8:9], v[12:13], 1.0
	v_fmac_f64_e32 v[12:13], v[12:13], v[28:29]
	v_fma_f64 v[28:29], -v[8:9], v[12:13], 1.0
	v_fmac_f64_e32 v[12:13], v[12:13], v[28:29]
	v_mul_f64 v[28:29], v[26:27], v[12:13]
	v_fma_f64 v[8:9], -v[8:9], v[28:29], v[26:27]
	v_div_fmas_f64 v[8:9], v[8:9], v[12:13], v[28:29]
	v_div_fixup_f64 v[4:5], v[8:9], v[6:7], v[4:5]
	v_mul_u32_u24_e32 v6, 0x48, v14
	v_lshl_add_u32 v12, s41, 3, v6
	ds_write_b64 v10, v[4:5]
	s_waitcnt lgkmcnt(0)
	ds_read_b64 v[6:7], v12 offset:1152
	ds_read_b64 v[8:9], v3
	v_add_u32_e32 v11, 0x240, v11
	s_waitcnt lgkmcnt(0)
	v_fmac_f64_e32 v[8:9], v[4:5], v[6:7]
	v_mov_b32_e32 v4, s42
	ds_write_b64 v3, v[8:9]
	s_waitcnt lgkmcnt(0)
	ds_read_b64 v[6:7], v4 offset:80
	ds_read_b64 v[4:5], v10 offset:8
	s_waitcnt lgkmcnt(1)
	v_cmp_neq_f64_e32 vcc, 0, v[6:7]
	s_or_b64 s[36:37], vcc, s[4:5]
	v_cndmask_b32_e32 v7, v24, v7, vcc
	s_xor_b64 s[38:39], s[36:37], -1
	v_cndmask_b32_e32 v6, 0, v6, vcc
	s_and_saveexec_b64 s[36:37], s[38:39]
	s_cbranch_execz .LBB32_70
; %bb.67:                               ;   in Loop: Header=BB32_59 Depth=2
	v_mbcnt_lo_u32_b32 v6, exec_lo, 0
	v_mbcnt_hi_u32_b32 v6, exec_hi, v6
	v_cmp_eq_u32_e32 vcc, 0, v6
	s_and_saveexec_b64 s[38:39], vcc
	s_cbranch_execz .LBB32_69
; %bb.68:                               ;   in Loop: Header=BB32_59 Depth=2
	v_mov_b32_e32 v6, s35
	global_atomic_smin v0, v6, s[14:15]
.LBB32_69:                              ;   in Loop: Header=BB32_59 Depth=2
	s_or_b64 exec, exec, s[38:39]
	v_mov_b32_e32 v6, 0
	v_mov_b32_e32 v7, 0x3ff00000
.LBB32_70:                              ;   in Loop: Header=BB32_59 Depth=2
	s_or_b64 exec, exec, s[36:37]
	ds_read_b64 v[8:9], v11 offset:8
	v_add_u32_e32 v11, 0x480, v12
	s_mov_b32 s36, 0
	s_mov_b32 s37, -1
.LBB32_71:                              ;   Parent Loop BB32_18 Depth=1
                                        ;     Parent Loop BB32_59 Depth=2
                                        ; =>    This Inner Loop Header: Depth=3
	s_add_i32 s38, s40, s36
	v_add_u32_e32 v12, s36, v1
	v_mov_b32_e32 v25, s38
	ds_read_b64 v[12:13], v12
	ds_read_b64 v[26:27], v25 offset:72
	s_add_i32 s36, s36, 8
	s_add_i32 s37, s37, 1
	s_cmp_lt_u32 s37, s41
	s_waitcnt lgkmcnt(0)
	v_fmac_f64_e32 v[8:9], v[26:27], v[12:13]
	s_cbranch_scc1 .LBB32_71
; %bb.72:                               ;   in Loop: Header=BB32_59 Depth=2
	v_add_f64 v[4:5], v[4:5], -v[8:9]
	v_div_scale_f64 v[8:9], s[36:37], v[6:7], v[6:7], v[4:5]
	v_rcp_f64_e32 v[12:13], v[8:9]
	v_div_scale_f64 v[26:27], vcc, v[4:5], v[6:7], v[4:5]
	s_add_i32 s41, s41, 2
	v_fma_f64 v[28:29], -v[8:9], v[12:13], 1.0
	v_fmac_f64_e32 v[12:13], v[12:13], v[28:29]
	v_fma_f64 v[28:29], -v[8:9], v[12:13], 1.0
	v_fmac_f64_e32 v[12:13], v[12:13], v[28:29]
	v_mul_f64 v[28:29], v[26:27], v[12:13]
	v_fma_f64 v[8:9], -v[8:9], v[28:29], v[26:27]
	v_div_fmas_f64 v[8:9], v[8:9], v[12:13], v[28:29]
	v_div_fixup_f64 v[4:5], v[8:9], v[6:7], v[4:5]
	ds_write_b64 v10, v[4:5] offset:8
	s_waitcnt lgkmcnt(0)
	ds_read_b64 v[6:7], v11 offset:8
	ds_read_b64 v[8:9], v3
	s_addk_i32 s40, 0x90
	s_cmp_eq_u32 s41, s49
	s_mov_b32 s42, s49
	s_waitcnt lgkmcnt(0)
	v_fmac_f64_e32 v[8:9], v[4:5], v[6:7]
	ds_write_b64 v3, v[8:9]
	s_waitcnt lgkmcnt(0)
	s_cbranch_scc0 .LBB32_59
.LBB32_73:                              ;   in Loop: Header=BB32_18 Depth=1
	s_andn2_b64 vcc, exec, s[30:31]
	s_cbranch_vccnz .LBB32_82
; %bb.74:                               ;   in Loop: Header=BB32_18 Depth=1
	s_lshl_b32 s36, s42, 3
	s_mul_i32 s40, s42, 0x48
	s_add_i32 s37, s36, s40
	v_mov_b32_e32 v4, s37
	ds_read_b64 v[6:7], v4
	v_mov_b32_e32 v4, s36
	v_mad_u32_u24 v10, v15, s47, v4
	ds_read_b64 v[4:5], v10 offset:1152
	s_waitcnt lgkmcnt(1)
	v_cmp_neq_f64_e32 vcc, 0, v[6:7]
	s_or_b64 s[36:37], vcc, s[4:5]
	v_cndmask_b32_e32 v7, v24, v7, vcc
	s_xor_b64 s[38:39], s[36:37], -1
	v_cndmask_b32_e32 v6, 0, v6, vcc
	s_and_saveexec_b64 s[36:37], s[38:39]
	s_cbranch_execz .LBB32_78
; %bb.75:                               ;   in Loop: Header=BB32_18 Depth=1
	v_mbcnt_lo_u32_b32 v6, exec_lo, 0
	v_mbcnt_hi_u32_b32 v6, exec_hi, v6
	v_cmp_eq_u32_e32 vcc, 0, v6
	s_and_saveexec_b64 s[38:39], vcc
	s_cbranch_execz .LBB32_77
; %bb.76:                               ;   in Loop: Header=BB32_18 Depth=1
	v_mov_b32_e32 v6, s35
	global_atomic_smin v0, v6, s[14:15]
.LBB32_77:                              ;   in Loop: Header=BB32_18 Depth=1
	s_or_b64 exec, exec, s[38:39]
	v_mov_b32_e32 v6, 0
	v_mov_b32_e32 v7, 0x3ff00000
.LBB32_78:                              ;   in Loop: Header=BB32_18 Depth=1
	s_or_b64 exec, exec, s[36:37]
	v_mul_u32_u24_e32 v8, 0x48, v15
	v_lshl_add_u32 v8, s42, 3, v8
	ds_read_b64 v[8:9], v8 offset:576
	s_cmp_eq_u32 s42, 0
	s_cbranch_scc1 .LBB32_81
; %bb.79:                               ;   in Loop: Header=BB32_18 Depth=1
	s_mov_b32 s35, 0
	v_mov_b32_e32 v11, v1
.LBB32_80:                              ;   Parent Loop BB32_18 Depth=1
                                        ; =>  This Inner Loop Header: Depth=2
	v_mov_b32_e32 v25, s40
	ds_read_b64 v[12:13], v11
	ds_read_b64 v[26:27], v25
	s_add_i32 s35, s35, 1
	s_add_i32 s40, s40, 8
	v_add_u32_e32 v11, 8, v11
	s_cmp_lt_u32 s35, s42
	s_waitcnt lgkmcnt(0)
	v_fmac_f64_e32 v[8:9], v[26:27], v[12:13]
	s_cbranch_scc1 .LBB32_80
.LBB32_81:                              ;   in Loop: Header=BB32_18 Depth=1
	s_waitcnt lgkmcnt(0)
	v_add_f64 v[4:5], v[4:5], -v[8:9]
	v_div_scale_f64 v[8:9], s[36:37], v[6:7], v[6:7], v[4:5]
	v_rcp_f64_e32 v[12:13], v[8:9]
	v_div_scale_f64 v[26:27], vcc, v[4:5], v[6:7], v[4:5]
	v_add_u32_e32 v10, 0x480, v10
	v_fma_f64 v[28:29], -v[8:9], v[12:13], 1.0
	v_fmac_f64_e32 v[12:13], v[12:13], v[28:29]
	v_fma_f64 v[28:29], -v[8:9], v[12:13], 1.0
	v_fmac_f64_e32 v[12:13], v[12:13], v[28:29]
	v_mul_f64 v[28:29], v[26:27], v[12:13]
	v_fma_f64 v[8:9], -v[8:9], v[28:29], v[26:27]
	v_div_fmas_f64 v[8:9], v[8:9], v[12:13], v[28:29]
	v_div_fixup_f64 v[4:5], v[8:9], v[6:7], v[4:5]
	v_mul_u32_u24_e32 v6, 0x48, v14
	v_lshl_add_u32 v6, s42, 3, v6
	ds_write_b64 v10, v[4:5]
	s_waitcnt lgkmcnt(0)
	ds_read_b64 v[6:7], v6 offset:1152
	ds_read_b64 v[8:9], v3
	s_waitcnt lgkmcnt(0)
	v_fmac_f64_e32 v[8:9], v[4:5], v[6:7]
	ds_write_b64 v3, v[8:9]
	s_waitcnt lgkmcnt(0)
.LBB32_82:                              ;   in Loop: Header=BB32_18 Depth=1
	s_and_saveexec_b64 s[36:37], s[24:25]
	s_cbranch_execz .LBB32_16
; %bb.83:                               ;   in Loop: Header=BB32_18 Depth=1
	s_mul_i32 s35, s34, s45
	v_add_u32_e32 v6, s35, v23
	ds_read_b64 v[4:5], v19
	v_mad_u64_u32 v[6:7], s[38:39], v6, s45, v[2:3]
	v_ashrrev_i32_e32 v7, 31, v6
	v_lshlrev_b64 v[6:7], 3, v[6:7]
	v_mov_b32_e32 v8, s21
	v_add_co_u32_e32 v6, vcc, s20, v6
	v_addc_co_u32_e32 v7, vcc, v8, v7, vcc
	s_waitcnt lgkmcnt(0)
	global_store_dwordx2 v[6:7], v[4:5], off
	s_branch .LBB32_16
.LBB32_84:
	s_cmp_eq_u32 s46, 0
	v_max_i32_e32 v0, v14, v15
	s_cselect_b64 s[0:1], -1, 0
	v_cmp_gt_i32_e64 s[2:3], s45, v0
	v_pk_mov_b32 v[0:1], 0, 0
	s_and_saveexec_b64 s[4:5], s[2:3]
	s_cbranch_execz .LBB32_86
; %bb.85:
	v_cndmask_b32_e64 v1, v14, v15, s[0:1]
	s_mul_i32 s8, s33, s45
	v_cndmask_b32_e64 v0, v15, v14, s[0:1]
	v_add_u32_e32 v1, s8, v1
	v_mad_u64_u32 v[0:1], s[8:9], v1, s45, v[0:1]
	v_ashrrev_i32_e32 v1, 31, v0
	v_lshlrev_b64 v[0:1], 3, v[0:1]
	v_mov_b32_e32 v2, s21
	v_add_co_u32_e32 v0, vcc, s20, v0
	v_addc_co_u32_e32 v1, vcc, v2, v1, vcc
	global_load_dwordx2 v[0:1], v[0:1], off
.LBB32_86:
	s_or_b64 exec, exec, s[4:5]
	s_movk_i32 s8, 0x48
	v_mad_u32_u24 v2, v15, s8, v17
	s_cmp_lt_i32 s45, 1
	s_waitcnt vmcnt(0)
	ds_write_b64 v2, v[0:1] offset:1152
	s_waitcnt lgkmcnt(0)
	s_cbranch_scc1 .LBB32_118
; %bb.87:
	v_or_b32_e32 v0, v14, v15
	v_cmp_ne_u32_e64 s[4:5], 0, v0
	s_add_i32 s22, s12, s13
	v_mad_u32_u24 v0, v15, s8, v16
	s_mov_b32 s16, 0
	v_add_u32_e32 v4, 0x480, v0
	s_cmp_eq_u32 s45, 1
	v_add_u32_e32 v5, 0x6c0, v0
	s_cbranch_scc1 .LBB32_108
; %bb.88:
	v_mov_b32_e32 v0, 0x480
	v_mad_u32_u24 v6, v14, s8, v0
	v_mad_u32_u24 v7, v15, s8, v0
	s_mov_b32 s8, 0
	s_and_b32 s23, s45, 0x7ffffffe
	s_movk_i32 s24, 0x480
	s_brev_b32 s9, 8
	v_mov_b32_e32 v8, 0x260
	v_mov_b32_e32 v9, 0x3ff00000
	;; [unrolled: 1-line block ×4, first 2 shown]
	s_branch .LBB32_90
.LBB32_89:                              ;   in Loop: Header=BB32_90 Depth=1
	s_or_b64 exec, exec, s[16:17]
	s_addk_i32 s24, 0xa0
	s_add_i32 s16, s26, 1
	v_add_u32_e32 v6, 16, v6
	s_cmp_eq_u32 s16, s23
	v_add_u32_e32 v7, 16, v7
	s_waitcnt lgkmcnt(0)
	s_cbranch_scc1 .LBB32_107
.LBB32_90:                              ; =>This Inner Loop Header: Depth=1
	s_mov_b32 s25, s16
	v_cmp_eq_u32_e32 vcc, s25, v15
	s_and_saveexec_b64 s[16:17], vcc
	s_cbranch_execz .LBB32_92
; %bb.91:                               ;   in Loop: Header=BB32_90 Depth=1
	ds_read_b64 v[0:1], v4
	ds_read_b64 v[12:13], v5
	s_waitcnt lgkmcnt(0)
	v_add_f64 v[0:1], v[0:1], -v[12:13]
	v_xor_b32_e32 v12, 0x80000000, v1
	v_cmp_gt_f64_e32 vcc, 0, v[0:1]
	v_cndmask_b32_e32 v1, v1, v12, vcc
	v_cndmask_b32_e32 v0, v0, v0, vcc
	v_cmp_gt_f64_e32 vcc, s[8:9], v[0:1]
	v_cndmask_b32_e64 v12, 0, 1, vcc
	v_lshlrev_b32_e32 v12, 8, v12
	v_ldexp_f64 v[0:1], v[0:1], v12
	v_rsq_f64_e32 v[12:13], v[0:1]
	v_cndmask_b32_e32 v20, 0, v11, vcc
	v_cmp_class_f64_e32 vcc, v[0:1], v8
	v_mul_f64 v[16:17], v[0:1], v[12:13]
	v_mul_f64 v[12:13], v[12:13], 0.5
	v_fma_f64 v[18:19], -v[12:13], v[16:17], 0.5
	v_fmac_f64_e32 v[16:17], v[16:17], v[18:19]
	v_fmac_f64_e32 v[12:13], v[12:13], v[18:19]
	v_fma_f64 v[18:19], -v[16:17], v[16:17], v[0:1]
	v_fmac_f64_e32 v[16:17], v[18:19], v[12:13]
	v_fma_f64 v[18:19], -v[16:17], v[16:17], v[0:1]
	v_fmac_f64_e32 v[16:17], v[18:19], v[12:13]
	v_ldexp_f64 v[12:13], v[16:17], v20
	v_cndmask_b32_e32 v1, v13, v1, vcc
	v_cndmask_b32_e32 v0, v12, v0, vcc
	ds_write_b64 v4, v[0:1]
.LBB32_92:                              ;   in Loop: Header=BB32_90 Depth=1
	s_or_b64 exec, exec, s[16:17]
	v_mov_b32_e32 v0, s24
	s_waitcnt lgkmcnt(0)
	ds_read_b64 v[0:1], v0
	s_waitcnt lgkmcnt(0)
	v_cmp_neq_f64_e32 vcc, 0, v[0:1]
	s_or_b64 s[16:17], vcc, s[4:5]
	v_cndmask_b32_e32 v1, v9, v1, vcc
	s_xor_b64 s[18:19], s[16:17], -1
	v_cndmask_b32_e32 v0, 0, v0, vcc
	s_and_saveexec_b64 s[16:17], s[18:19]
	s_cbranch_execz .LBB32_96
; %bb.93:                               ;   in Loop: Header=BB32_90 Depth=1
	v_mbcnt_lo_u32_b32 v0, exec_lo, 0
	v_mbcnt_hi_u32_b32 v0, exec_hi, v0
	v_cmp_eq_u32_e32 vcc, 0, v0
	s_and_saveexec_b64 s[18:19], vcc
	s_cbranch_execz .LBB32_95
; %bb.94:                               ;   in Loop: Header=BB32_90 Depth=1
	v_mov_b32_e32 v0, s22
	global_atomic_smin v10, v0, s[14:15]
.LBB32_95:                              ;   in Loop: Header=BB32_90 Depth=1
	s_or_b64 exec, exec, s[18:19]
	v_mov_b32_e32 v0, 0
	v_mov_b32_e32 v1, 0x3ff00000
.LBB32_96:                              ;   in Loop: Header=BB32_90 Depth=1
	s_or_b64 exec, exec, s[16:17]
	v_cmp_lt_u32_e32 vcc, s25, v15
	s_and_saveexec_b64 s[16:17], vcc
	s_cbranch_execz .LBB32_98
; %bb.97:                               ;   in Loop: Header=BB32_90 Depth=1
	ds_read2_b64 v[16:19], v7 offset1:72
	s_waitcnt lgkmcnt(0)
	v_add_f64 v[12:13], v[16:17], -v[18:19]
	v_div_scale_f64 v[16:17], s[18:19], v[0:1], v[0:1], v[12:13]
	v_rcp_f64_e32 v[18:19], v[16:17]
	v_div_scale_f64 v[20:21], vcc, v[12:13], v[0:1], v[12:13]
	v_fma_f64 v[22:23], -v[16:17], v[18:19], 1.0
	v_fmac_f64_e32 v[18:19], v[18:19], v[22:23]
	v_fma_f64 v[22:23], -v[16:17], v[18:19], 1.0
	v_fmac_f64_e32 v[18:19], v[18:19], v[22:23]
	v_mul_f64 v[22:23], v[20:21], v[18:19]
	v_fma_f64 v[16:17], -v[16:17], v[22:23], v[20:21]
	v_div_fmas_f64 v[16:17], v[16:17], v[18:19], v[22:23]
	v_div_fixup_f64 v[0:1], v[16:17], v[0:1], v[12:13]
	ds_write_b64 v7, v[0:1]
	s_waitcnt lgkmcnt(0)
	ds_read_b64 v[12:13], v6
	ds_read_b64 v[16:17], v3
	s_waitcnt lgkmcnt(0)
	v_fmac_f64_e32 v[16:17], v[0:1], v[12:13]
	ds_write_b64 v3, v[16:17]
.LBB32_98:                              ;   in Loop: Header=BB32_90 Depth=1
	s_or_b64 exec, exec, s[16:17]
	s_add_i32 s26, s25, 1
	v_cmp_eq_u32_e32 vcc, s26, v15
	s_waitcnt lgkmcnt(0)
	s_and_saveexec_b64 s[16:17], vcc
	s_cbranch_execz .LBB32_100
; %bb.99:                               ;   in Loop: Header=BB32_90 Depth=1
	ds_read_b64 v[0:1], v4
	ds_read_b64 v[12:13], v5
	s_waitcnt lgkmcnt(0)
	v_add_f64 v[0:1], v[0:1], -v[12:13]
	v_xor_b32_e32 v12, 0x80000000, v1
	v_cmp_gt_f64_e32 vcc, 0, v[0:1]
	v_cndmask_b32_e32 v1, v1, v12, vcc
	v_cndmask_b32_e32 v0, v0, v0, vcc
	v_cmp_gt_f64_e32 vcc, s[8:9], v[0:1]
	v_cndmask_b32_e64 v12, 0, 1, vcc
	v_lshlrev_b32_e32 v12, 8, v12
	v_ldexp_f64 v[0:1], v[0:1], v12
	v_rsq_f64_e32 v[12:13], v[0:1]
	v_cndmask_b32_e32 v20, 0, v11, vcc
	v_cmp_class_f64_e32 vcc, v[0:1], v8
	v_mul_f64 v[16:17], v[0:1], v[12:13]
	v_mul_f64 v[12:13], v[12:13], 0.5
	v_fma_f64 v[18:19], -v[12:13], v[16:17], 0.5
	v_fmac_f64_e32 v[16:17], v[16:17], v[18:19]
	v_fmac_f64_e32 v[12:13], v[12:13], v[18:19]
	v_fma_f64 v[18:19], -v[16:17], v[16:17], v[0:1]
	v_fmac_f64_e32 v[16:17], v[18:19], v[12:13]
	v_fma_f64 v[18:19], -v[16:17], v[16:17], v[0:1]
	v_fmac_f64_e32 v[16:17], v[18:19], v[12:13]
	v_ldexp_f64 v[12:13], v[16:17], v20
	v_cndmask_b32_e32 v1, v13, v1, vcc
	v_cndmask_b32_e32 v0, v12, v0, vcc
	ds_write_b64 v4, v[0:1]
.LBB32_100:                             ;   in Loop: Header=BB32_90 Depth=1
	s_or_b64 exec, exec, s[16:17]
	v_mov_b32_e32 v0, s24
	s_waitcnt lgkmcnt(0)
	ds_read_b64 v[0:1], v0 offset:80
	s_waitcnt lgkmcnt(0)
	v_cmp_neq_f64_e32 vcc, 0, v[0:1]
	s_or_b64 s[16:17], vcc, s[4:5]
	v_cndmask_b32_e32 v1, v9, v1, vcc
	s_xor_b64 s[18:19], s[16:17], -1
	v_cndmask_b32_e32 v0, 0, v0, vcc
	s_and_saveexec_b64 s[16:17], s[18:19]
	s_cbranch_execz .LBB32_104
; %bb.101:                              ;   in Loop: Header=BB32_90 Depth=1
	v_mbcnt_lo_u32_b32 v0, exec_lo, 0
	v_mbcnt_hi_u32_b32 v0, exec_hi, v0
	v_cmp_eq_u32_e32 vcc, 0, v0
	s_and_saveexec_b64 s[18:19], vcc
	s_cbranch_execz .LBB32_103
; %bb.102:                              ;   in Loop: Header=BB32_90 Depth=1
	v_mov_b32_e32 v0, s22
	global_atomic_smin v10, v0, s[14:15]
.LBB32_103:                             ;   in Loop: Header=BB32_90 Depth=1
	s_or_b64 exec, exec, s[18:19]
	v_mov_b32_e32 v0, 0
	v_mov_b32_e32 v1, 0x3ff00000
.LBB32_104:                             ;   in Loop: Header=BB32_90 Depth=1
	s_or_b64 exec, exec, s[16:17]
	v_cmp_lt_u32_e32 vcc, s26, v15
	s_and_saveexec_b64 s[16:17], vcc
	s_cbranch_execz .LBB32_89
; %bb.105:                              ;   in Loop: Header=BB32_90 Depth=1
	ds_read2_b64 v[16:19], v7 offset0:1 offset1:73
	s_waitcnt lgkmcnt(0)
	v_add_f64 v[12:13], v[16:17], -v[18:19]
	v_div_scale_f64 v[16:17], s[18:19], v[0:1], v[0:1], v[12:13]
	v_rcp_f64_e32 v[18:19], v[16:17]
	v_div_scale_f64 v[20:21], vcc, v[12:13], v[0:1], v[12:13]
	v_fma_f64 v[22:23], -v[16:17], v[18:19], 1.0
	v_fmac_f64_e32 v[18:19], v[18:19], v[22:23]
	v_fma_f64 v[22:23], -v[16:17], v[18:19], 1.0
	v_fmac_f64_e32 v[18:19], v[18:19], v[22:23]
	v_mul_f64 v[22:23], v[20:21], v[18:19]
	v_fma_f64 v[16:17], -v[16:17], v[22:23], v[20:21]
	v_div_fmas_f64 v[16:17], v[16:17], v[18:19], v[22:23]
	v_div_fixup_f64 v[0:1], v[16:17], v[0:1], v[12:13]
	ds_write_b64 v7, v[0:1] offset:8
	s_waitcnt lgkmcnt(0)
	ds_read_b64 v[12:13], v6 offset:8
	ds_read_b64 v[16:17], v3
	s_waitcnt lgkmcnt(0)
	v_fmac_f64_e32 v[16:17], v[0:1], v[12:13]
	ds_write_b64 v3, v[16:17]
	s_branch .LBB32_89
.LBB32_106:
	s_mov_b64 s[0:1], 0
	s_cbranch_execnz .LBB32_121
	s_branch .LBB32_126
.LBB32_107:
	s_add_i32 s16, s25, 2
.LBB32_108:
	s_bitcmp0_b32 s45, 0
	s_cbranch_scc1 .LBB32_118
; %bb.109:
	v_cmp_eq_u32_e32 vcc, s16, v15
	s_and_saveexec_b64 s[8:9], vcc
	s_cbranch_execz .LBB32_111
; %bb.110:
	ds_read_b64 v[0:1], v4
	ds_read_b64 v[6:7], v5
	s_mov_b32 s18, 0
	s_brev_b32 s19, 8
	s_waitcnt lgkmcnt(0)
	v_add_f64 v[0:1], v[0:1], -v[6:7]
	v_xor_b32_e32 v5, 0x80000000, v1
	v_cmp_gt_f64_e32 vcc, 0, v[0:1]
	v_cndmask_b32_e32 v1, v1, v5, vcc
	v_cndmask_b32_e32 v0, v0, v0, vcc
	v_cmp_gt_f64_e32 vcc, s[18:19], v[0:1]
	v_cndmask_b32_e64 v5, 0, 1, vcc
	v_lshlrev_b32_e32 v5, 8, v5
	v_ldexp_f64 v[0:1], v[0:1], v5
	v_rsq_f64_e32 v[6:7], v[0:1]
	v_mov_b32_e32 v5, 0xffffff80
	v_cndmask_b32_e32 v5, 0, v5, vcc
	v_mul_f64 v[8:9], v[0:1], v[6:7]
	v_mul_f64 v[6:7], v[6:7], 0.5
	v_fma_f64 v[10:11], -v[6:7], v[8:9], 0.5
	v_fmac_f64_e32 v[8:9], v[8:9], v[10:11]
	v_fma_f64 v[12:13], -v[8:9], v[8:9], v[0:1]
	v_fmac_f64_e32 v[6:7], v[6:7], v[10:11]
	v_fmac_f64_e32 v[8:9], v[12:13], v[6:7]
	v_fma_f64 v[10:11], -v[8:9], v[8:9], v[0:1]
	v_fmac_f64_e32 v[8:9], v[10:11], v[6:7]
	v_ldexp_f64 v[6:7], v[8:9], v5
	v_mov_b32_e32 v5, 0x260
	v_cmp_class_f64_e32 vcc, v[0:1], v5
	v_cndmask_b32_e32 v1, v7, v1, vcc
	v_cndmask_b32_e32 v0, v6, v0, vcc
	ds_write_b64 v4, v[0:1]
.LBB32_111:
	s_or_b64 exec, exec, s[8:9]
	s_lshl_b32 s17, s16, 3
	s_mul_i32 s8, s16, 0x48
	s_add_i32 s8, s8, s17
	v_mov_b32_e32 v0, s8
	s_waitcnt lgkmcnt(0)
	ds_read_b64 v[0:1], v0 offset:1152
	v_mov_b32_e32 v4, 0x3ff00000
	s_waitcnt lgkmcnt(0)
	v_cmp_neq_f64_e32 vcc, 0, v[0:1]
	s_or_b64 s[4:5], vcc, s[4:5]
	v_cndmask_b32_e32 v1, v4, v1, vcc
	s_xor_b64 s[8:9], s[4:5], -1
	v_cndmask_b32_e32 v0, 0, v0, vcc
	s_and_saveexec_b64 s[4:5], s[8:9]
	s_cbranch_execz .LBB32_115
; %bb.112:
	v_mbcnt_lo_u32_b32 v0, exec_lo, 0
	v_mbcnt_hi_u32_b32 v0, exec_hi, v0
	v_cmp_eq_u32_e32 vcc, 0, v0
	s_and_saveexec_b64 s[8:9], vcc
	s_cbranch_execz .LBB32_114
; %bb.113:
	v_mov_b32_e32 v0, 0
	v_mov_b32_e32 v1, s22
	global_atomic_smin v0, v1, s[14:15]
.LBB32_114:
	s_or_b64 exec, exec, s[8:9]
	v_mov_b32_e32 v0, 0
	v_mov_b32_e32 v1, 0x3ff00000
.LBB32_115:
	s_or_b64 exec, exec, s[4:5]
	v_cmp_lt_u32_e32 vcc, s16, v15
	s_and_saveexec_b64 s[4:5], vcc
	s_cbranch_execz .LBB32_117
; %bb.116:
	s_add_i32 s8, s17, 0x480
	s_movk_i32 s16, 0x48
	v_mov_b32_e32 v16, s8
	v_mov_b32_e32 v4, s17
	v_mad_u32_u24 v17, v15, s16, v16
	v_mad_u32_u24 v6, v15, s16, v4
	ds_read_b64 v[4:5], v17
	ds_read_b64 v[6:7], v6 offset:1728
	s_waitcnt lgkmcnt(0)
	v_add_f64 v[4:5], v[4:5], -v[6:7]
	v_div_scale_f64 v[6:7], s[8:9], v[0:1], v[0:1], v[4:5]
	v_rcp_f64_e32 v[8:9], v[6:7]
	v_div_scale_f64 v[10:11], vcc, v[4:5], v[0:1], v[4:5]
	v_fma_f64 v[12:13], -v[6:7], v[8:9], 1.0
	v_fmac_f64_e32 v[8:9], v[8:9], v[12:13]
	v_fma_f64 v[12:13], -v[6:7], v[8:9], 1.0
	v_fmac_f64_e32 v[8:9], v[8:9], v[12:13]
	v_mul_f64 v[12:13], v[10:11], v[8:9]
	v_fma_f64 v[6:7], -v[6:7], v[12:13], v[10:11]
	v_div_fmas_f64 v[6:7], v[6:7], v[8:9], v[12:13]
	v_div_fixup_f64 v[0:1], v[6:7], v[0:1], v[4:5]
	v_mad_u32_u24 v4, v14, s16, v16
	ds_write_b64 v17, v[0:1]
	s_waitcnt lgkmcnt(0)
	ds_read_b64 v[4:5], v4
	ds_read_b64 v[6:7], v3
	s_waitcnt lgkmcnt(0)
	v_fmac_f64_e32 v[6:7], v[0:1], v[4:5]
	ds_write_b64 v3, v[6:7]
.LBB32_117:
	s_or_b64 exec, exec, s[4:5]
	s_waitcnt lgkmcnt(0)
.LBB32_118:
	s_and_saveexec_b64 s[4:5], s[2:3]
	s_cbranch_execz .LBB32_120
; %bb.119:
	s_mul_i32 s33, s33, s45
	v_cndmask_b32_e64 v3, v14, v15, s[0:1]
	v_add_u32_e32 v0, 0x480, v2
	v_cndmask_b32_e64 v2, v15, v14, s[0:1]
	v_add_u32_e32 v3, s33, v3
	ds_read_b64 v[0:1], v0
	v_mad_u64_u32 v[2:3], s[0:1], v3, s45, v[2:3]
	v_ashrrev_i32_e32 v3, 31, v2
	v_lshlrev_b64 v[2:3], 3, v[2:3]
	v_mov_b32_e32 v4, s21
	v_add_co_u32_e32 v2, vcc, s20, v2
	v_addc_co_u32_e32 v3, vcc, v4, v3, vcc
	s_waitcnt lgkmcnt(0)
	global_store_dwordx2 v[2:3], v[0:1], off
.LBB32_120:
	s_or_b64 exec, exec, s[4:5]
	v_or_b32_e32 v0, v14, v15
	v_cmp_eq_u32_e64 s[0:1], 0, v0
	s_branch .LBB32_126
.LBB32_121:
	v_or_b32_e32 v0, v14, v15
	v_cmp_eq_u32_e32 vcc, 0, v0
	s_and_saveexec_b64 s[2:3], vcc
	s_cbranch_execz .LBB32_125
; %bb.122:
	v_mbcnt_lo_u32_b32 v0, exec_lo, 0
	v_mbcnt_hi_u32_b32 v0, exec_hi, v0
	v_cmp_eq_u32_e32 vcc, 0, v0
	s_and_saveexec_b64 s[4:5], vcc
	s_cbranch_execz .LBB32_124
; %bb.123:
	s_add_i32 s8, s12, s13
	v_mov_b32_e32 v0, 0
	v_mov_b32_e32 v1, s8
	global_atomic_smin v0, v1, s[14:15]
.LBB32_124:
	s_or_b64 exec, exec, s[4:5]
	s_or_b64 s[0:1], s[0:1], exec
.LBB32_125:
	s_or_b64 exec, exec, s[2:3]
.LBB32_126:
	s_and_saveexec_b64 s[2:3], s[0:1]
	s_cbranch_execnz .LBB32_128
; %bb.127:
	s_endpgm
.LBB32_128:
	s_add_u32 s0, s10, s6
	s_addc_u32 s1, s11, s7
	v_mov_b32_e32 v0, 0
	v_mov_b32_e32 v1, 1
	s_waitcnt vmcnt(0)
	global_store_dword v0, v1, s[0:1]
	s_endpgm
	.section	.rodata,"a",@progbits
	.p2align	6, 0x0
	.amdhsa_kernel _ZN9rocsparseL17bsric0_2_8_kernelILi64ELi64ELi8EdEEv20rocsparse_direction_iiPKiS3_PT2_S3_PiS3_S6_21rocsparse_index_base_
		.amdhsa_group_segment_fixed_size 3072
		.amdhsa_private_segment_fixed_size 0
		.amdhsa_kernarg_size 76
		.amdhsa_user_sgpr_count 6
		.amdhsa_user_sgpr_private_segment_buffer 1
		.amdhsa_user_sgpr_dispatch_ptr 0
		.amdhsa_user_sgpr_queue_ptr 0
		.amdhsa_user_sgpr_kernarg_segment_ptr 1
		.amdhsa_user_sgpr_dispatch_id 0
		.amdhsa_user_sgpr_flat_scratch_init 0
		.amdhsa_user_sgpr_kernarg_preload_length 0
		.amdhsa_user_sgpr_kernarg_preload_offset 0
		.amdhsa_user_sgpr_private_segment_size 0
		.amdhsa_uses_dynamic_stack 0
		.amdhsa_system_sgpr_private_segment_wavefront_offset 0
		.amdhsa_system_sgpr_workgroup_id_x 1
		.amdhsa_system_sgpr_workgroup_id_y 0
		.amdhsa_system_sgpr_workgroup_id_z 0
		.amdhsa_system_sgpr_workgroup_info 0
		.amdhsa_system_vgpr_workitem_id 1
		.amdhsa_next_free_vgpr 72
		.amdhsa_next_free_sgpr 56
		.amdhsa_accum_offset 72
		.amdhsa_reserve_vcc 1
		.amdhsa_reserve_flat_scratch 0
		.amdhsa_float_round_mode_32 0
		.amdhsa_float_round_mode_16_64 0
		.amdhsa_float_denorm_mode_32 3
		.amdhsa_float_denorm_mode_16_64 3
		.amdhsa_dx10_clamp 1
		.amdhsa_ieee_mode 1
		.amdhsa_fp16_overflow 0
		.amdhsa_tg_split 0
		.amdhsa_exception_fp_ieee_invalid_op 0
		.amdhsa_exception_fp_denorm_src 0
		.amdhsa_exception_fp_ieee_div_zero 0
		.amdhsa_exception_fp_ieee_overflow 0
		.amdhsa_exception_fp_ieee_underflow 0
		.amdhsa_exception_fp_ieee_inexact 0
		.amdhsa_exception_int_div_zero 0
	.end_amdhsa_kernel
	.section	.text._ZN9rocsparseL17bsric0_2_8_kernelILi64ELi64ELi8EdEEv20rocsparse_direction_iiPKiS3_PT2_S3_PiS3_S6_21rocsparse_index_base_,"axG",@progbits,_ZN9rocsparseL17bsric0_2_8_kernelILi64ELi64ELi8EdEEv20rocsparse_direction_iiPKiS3_PT2_S3_PiS3_S6_21rocsparse_index_base_,comdat
.Lfunc_end32:
	.size	_ZN9rocsparseL17bsric0_2_8_kernelILi64ELi64ELi8EdEEv20rocsparse_direction_iiPKiS3_PT2_S3_PiS3_S6_21rocsparse_index_base_, .Lfunc_end32-_ZN9rocsparseL17bsric0_2_8_kernelILi64ELi64ELi8EdEEv20rocsparse_direction_iiPKiS3_PT2_S3_PiS3_S6_21rocsparse_index_base_
                                        ; -- End function
	.section	.AMDGPU.csdata,"",@progbits
; Kernel info:
; codeLenInByte = 6104
; NumSgprs: 60
; NumVgprs: 72
; NumAgprs: 0
; TotalNumVgprs: 72
; ScratchSize: 0
; MemoryBound: 0
; FloatMode: 240
; IeeeMode: 1
; LDSByteSize: 3072 bytes/workgroup (compile time only)
; SGPRBlocks: 7
; VGPRBlocks: 8
; NumSGPRsForWavesPerEU: 60
; NumVGPRsForWavesPerEU: 72
; AccumOffset: 72
; Occupancy: 6
; WaveLimiterHint : 1
; COMPUTE_PGM_RSRC2:SCRATCH_EN: 0
; COMPUTE_PGM_RSRC2:USER_SGPR: 6
; COMPUTE_PGM_RSRC2:TRAP_HANDLER: 0
; COMPUTE_PGM_RSRC2:TGID_X_EN: 1
; COMPUTE_PGM_RSRC2:TGID_Y_EN: 0
; COMPUTE_PGM_RSRC2:TGID_Z_EN: 0
; COMPUTE_PGM_RSRC2:TIDIG_COMP_CNT: 1
; COMPUTE_PGM_RSRC3_GFX90A:ACCUM_OFFSET: 17
; COMPUTE_PGM_RSRC3_GFX90A:TG_SPLIT: 0
	.section	.text._ZN9rocsparseL18bsric0_9_16_kernelILi64ELi64ELi16EdEEv20rocsparse_direction_iiPKiS3_PT2_S3_PiS3_S6_21rocsparse_index_base_,"axG",@progbits,_ZN9rocsparseL18bsric0_9_16_kernelILi64ELi64ELi16EdEEv20rocsparse_direction_iiPKiS3_PT2_S3_PiS3_S6_21rocsparse_index_base_,comdat
	.globl	_ZN9rocsparseL18bsric0_9_16_kernelILi64ELi64ELi16EdEEv20rocsparse_direction_iiPKiS3_PT2_S3_PiS3_S6_21rocsparse_index_base_ ; -- Begin function _ZN9rocsparseL18bsric0_9_16_kernelILi64ELi64ELi16EdEEv20rocsparse_direction_iiPKiS3_PT2_S3_PiS3_S6_21rocsparse_index_base_
	.p2align	8
	.type	_ZN9rocsparseL18bsric0_9_16_kernelILi64ELi64ELi16EdEEv20rocsparse_direction_iiPKiS3_PT2_S3_PiS3_S6_21rocsparse_index_base_,@function
_ZN9rocsparseL18bsric0_9_16_kernelILi64ELi64ELi16EdEEv20rocsparse_direction_iiPKiS3_PT2_S3_PiS3_S6_21rocsparse_index_base_: ; @_ZN9rocsparseL18bsric0_9_16_kernelILi64ELi64ELi16EdEEv20rocsparse_direction_iiPKiS3_PT2_S3_PiS3_S6_21rocsparse_index_base_
; %bb.0:
	s_load_dwordx8 s[8:15], s[4:5], 0x28
	s_mov_b32 s7, 0
	s_lshl_b64 s[0:1], s[6:7], 2
	v_and_b32_e32 v1, 0x3ff, v0
	v_bfe_u32 v0, v0, 10, 10
	s_waitcnt lgkmcnt(0)
	s_add_u32 s0, s12, s0
	s_addc_u32 s1, s13, s1
	s_load_dword s12, s[0:1], 0x0
	s_waitcnt lgkmcnt(0)
	s_ashr_i32 s13, s12, 31
	s_lshl_b64 s[6:7], s[12:13], 2
	s_add_u32 s0, s8, s6
	s_addc_u32 s1, s9, s7
	s_load_dword s33, s[0:1], 0x0
	s_load_dword s13, s[4:5], 0x48
	s_waitcnt lgkmcnt(0)
	s_cmp_lg_u32 s33, -1
	s_cbranch_scc0 .LBB33_143
; %bb.1:
	s_load_dwordx4 s[16:19], s[4:5], 0x10
	v_lshlrev_b32_e32 v3, 2, v0
	v_add_u32_e32 v4, v3, v1
	s_waitcnt lgkmcnt(0)
	s_add_u32 s0, s16, s6
	s_addc_u32 s1, s17, s7
	s_load_dword s28, s[0:1], 0x0
	s_waitcnt lgkmcnt(0)
	s_sub_i32 s44, s28, s13
	v_add_u32_e32 v2, s44, v4
	v_cmp_ge_i32_e32 vcc, s33, v2
	s_and_saveexec_b64 s[2:3], vcc
	s_cbranch_execz .LBB33_16
; %bb.2:
	v_add_u32_e32 v4, s28, v4
	v_subrev_u32_e32 v4, s13, v4
	v_add_u32_e32 v4, 64, v4
	s_add_i32 s0, s33, 1
	v_max_i32_e32 v4, s0, v4
	v_not_b32_e32 v5, v1
	v_add3_u32 v4, v4, s13, v5
	v_add_u32_e32 v3, s28, v3
	v_sub_u32_e32 v3, v4, v3
	s_movk_i32 s0, 0x640
	v_cmp_gt_u32_e32 vcc, s0, v3
	s_movk_i32 s0, 0x63f
	v_cmp_lt_u32_e64 s[0:1], s0, v3
	s_and_saveexec_b64 s[20:21], s[0:1]
	s_cbranch_execz .LBB33_13
; %bb.3:
	v_and_b32_e32 v4, 0xffffffc0, v3
	v_add_u32_e32 v4, v2, v4
	v_cmp_ge_i32_e64 s[0:1], v4, v2
	s_mov_b64 s[24:25], -1
	s_and_saveexec_b64 s[22:23], s[0:1]
	s_cbranch_execz .LBB33_12
; %bb.4:
	v_lshrrev_b32_e32 v14, 6, v3
	v_add_u32_e32 v4, -1, v14
	v_add_u32_e32 v3, 64, v2
	v_lshrrev_b32_e32 v5, 1, v4
	v_add_u32_e32 v15, 1, v5
	v_cmp_lt_u32_e64 s[0:1], 13, v4
	v_pk_mov_b32 v[4:5], v[2:3], v[2:3] op_sel:[0,1]
	s_and_saveexec_b64 s[24:25], s[0:1]
	s_cbranch_execz .LBB33_8
; %bb.5:
	v_and_b32_e32 v16, -8, v15
	s_mov_b64 s[26:27], 0
	v_mov_b32_e32 v17, s19
	v_pk_mov_b32 v[4:5], v[2:3], v[2:3] op_sel:[0,1]
.LBB33_6:                               ; =>This Inner Loop Header: Depth=1
	v_ashrrev_i32_e32 v21, 31, v4
	v_mov_b32_e32 v20, v4
	v_lshlrev_b64 v[20:21], 2, v[20:21]
	v_ashrrev_i32_e32 v19, 31, v5
	v_mov_b32_e32 v18, v5
	v_add_co_u32_e64 v20, s[0:1], s18, v20
	v_add_u32_e32 v6, 0x80, v4
	v_lshlrev_b64 v[18:19], 2, v[18:19]
	v_addc_co_u32_e64 v21, s[0:1], v17, v21, s[0:1]
	v_ashrrev_i32_e32 v7, 31, v6
	v_add_co_u32_e64 v18, s[0:1], s18, v18
	v_add_u32_e32 v8, 0x80, v5
	v_addc_co_u32_e64 v19, s[0:1], v17, v19, s[0:1]
	v_lshlrev_b64 v[42:43], 2, v[6:7]
	v_ashrrev_i32_e32 v9, 31, v8
	global_load_dword v3, v[20:21], off
	global_load_dword v7, v[18:19], off
	v_add_co_u32_e64 v18, s[0:1], s18, v42
	v_add_u32_e32 v10, 0x100, v4
	v_lshlrev_b64 v[44:45], 2, v[8:9]
	v_addc_co_u32_e64 v19, s[0:1], v17, v43, s[0:1]
	v_ashrrev_i32_e32 v11, 31, v10
	v_add_co_u32_e64 v20, s[0:1], s18, v44
	v_add_u32_e32 v12, 0x100, v5
	v_lshlrev_b64 v[46:47], 2, v[10:11]
	v_addc_co_u32_e64 v21, s[0:1], v17, v45, s[0:1]
	v_ashrrev_i32_e32 v13, 31, v12
	;; [unrolled: 5-line block ×12, first 2 shown]
	v_add_co_u32_e64 v62, s[0:1], s18, v66
	v_lshlrev_b64 v[68:69], 2, v[40:41]
	v_addc_co_u32_e64 v63, s[0:1], v17, v67, s[0:1]
	v_add_co_u32_e64 v64, s[0:1], s18, v68
	v_addc_co_u32_e64 v65, s[0:1], v17, v69, s[0:1]
	global_load_dword v9, v[20:21], off
	global_load_dword v11, v[18:19], off
	global_load_dword v13, v[44:45], off
	global_load_dword v23, v[42:43], off
	global_load_dword v25, v[48:49], off
	global_load_dword v27, v[46:47], off
	global_load_dword v29, v[52:53], off
	global_load_dword v31, v[50:51], off
	global_load_dword v33, v[56:57], off
	global_load_dword v35, v[54:55], off
	global_load_dword v37, v[60:61], off
	global_load_dword v39, v[58:59], off
	global_load_dword v41, v[64:65], off
	global_load_dword v66, v[62:63], off
	v_subrev_u32_e32 v19, s44, v4
	v_add_u32_e32 v16, -8, v16
	v_subrev_u32_e32 v18, s44, v5
	v_lshlrev_b32_e32 v19, 2, v19
	v_subrev_u32_e32 v6, s44, v6
	v_cmp_eq_u32_e64 s[0:1], 0, v16
	s_waitcnt vmcnt(14)
	v_subrev_u32_e32 v7, s13, v7
	v_subrev_u32_e32 v3, s13, v3
	v_add_u32_e32 v5, 0x400, v5
	v_add_u32_e32 v4, 0x400, v4
	v_lshlrev_b32_e32 v18, 2, v18
	v_subrev_u32_e32 v8, s44, v8
	v_subrev_u32_e32 v12, s44, v12
	;; [unrolled: 1-line block ×13, first 2 shown]
	v_lshlrev_b32_e32 v6, 2, v6
	s_or_b64 s[26:27], s[0:1], s[26:27]
	ds_write_b32 v19, v3 offset:9216
	ds_write_b32 v18, v7 offset:9216
	v_lshlrev_b32_e32 v8, 2, v8
	v_lshlrev_b32_e32 v10, 2, v10
	;; [unrolled: 1-line block ×13, first 2 shown]
	s_waitcnt vmcnt(13)
	v_subrev_u32_e32 v3, s13, v9
	s_waitcnt vmcnt(12)
	v_subrev_u32_e32 v7, s13, v11
	;; [unrolled: 2-line block ×14, first 2 shown]
	ds_write_b32 v6, v7 offset:9216
	ds_write_b32 v8, v3 offset:9216
	;; [unrolled: 1-line block ×14, first 2 shown]
	s_andn2_b64 exec, exec, s[26:27]
	s_cbranch_execnz .LBB33_6
; %bb.7:
	s_or_b64 exec, exec, s[26:27]
.LBB33_8:
	s_or_b64 exec, exec, s[24:25]
	v_and_b32_e32 v3, 7, v15
	v_cmp_ne_u32_e64 s[0:1], 0, v3
	s_and_saveexec_b64 s[24:25], s[0:1]
	s_cbranch_execz .LBB33_11
; %bb.9:
	s_mov_b64 s[26:27], 0
	v_mov_b32_e32 v6, s19
.LBB33_10:                              ; =>This Inner Loop Header: Depth=1
	v_ashrrev_i32_e32 v11, 31, v4
	v_mov_b32_e32 v10, v4
	v_lshlrev_b64 v[10:11], 2, v[10:11]
	v_ashrrev_i32_e32 v9, 31, v5
	v_mov_b32_e32 v8, v5
	v_add_co_u32_e64 v10, s[0:1], s18, v10
	v_lshlrev_b64 v[8:9], 2, v[8:9]
	v_addc_co_u32_e64 v11, s[0:1], v6, v11, s[0:1]
	v_add_co_u32_e64 v8, s[0:1], s18, v8
	v_addc_co_u32_e64 v9, s[0:1], v6, v9, s[0:1]
	global_load_dword v7, v[8:9], off
	global_load_dword v12, v[10:11], off
	v_add_u32_e32 v3, -1, v3
	v_subrev_u32_e32 v9, s44, v4
	v_cmp_eq_u32_e64 s[0:1], 0, v3
	v_subrev_u32_e32 v8, s44, v5
	v_add_u32_e32 v5, 0x80, v5
	v_add_u32_e32 v4, 0x80, v4
	v_lshlrev_b32_e32 v9, 2, v9
	s_or_b64 s[26:27], s[0:1], s[26:27]
	v_lshlrev_b32_e32 v8, 2, v8
	s_waitcnt vmcnt(1)
	v_subrev_u32_e32 v7, s13, v7
	s_waitcnt vmcnt(0)
	v_subrev_u32_e32 v10, s13, v12
	ds_write_b32 v9, v10 offset:9216
	ds_write_b32 v8, v7 offset:9216
	s_andn2_b64 exec, exec, s[26:27]
	s_cbranch_execnz .LBB33_10
.LBB33_11:
	s_or_b64 exec, exec, s[24:25]
	v_add_u32_e32 v3, 1, v14
	v_and_b32_e32 v4, 0x7fffffe, v3
	v_cmp_ne_u32_e64 s[0:1], v3, v4
	v_lshl_add_u32 v2, v4, 6, v2
	s_orn2_b64 s[24:25], s[0:1], exec
.LBB33_12:
	s_or_b64 exec, exec, s[22:23]
	s_andn2_b64 s[0:1], vcc, exec
	s_and_b64 s[22:23], s[24:25], exec
	s_or_b64 vcc, s[0:1], s[22:23]
.LBB33_13:
	s_or_b64 exec, exec, s[20:21]
	s_and_b64 exec, exec, vcc
	s_cbranch_execz .LBB33_16
; %bb.14:
	v_add_u32_e32 v3, s13, v2
	v_subrev_u32_e32 v3, s28, v3
	v_mov_b32_e32 v4, 0x2400
	v_lshl_add_u32 v4, v3, 2, v4
	s_mov_b64 s[0:1], 0
	v_mov_b32_e32 v5, s19
.LBB33_15:                              ; =>This Inner Loop Header: Depth=1
	v_ashrrev_i32_e32 v3, 31, v2
	v_lshlrev_b64 v[6:7], 2, v[2:3]
	v_add_co_u32_e32 v6, vcc, s18, v6
	v_addc_co_u32_e32 v7, vcc, v5, v7, vcc
	global_load_dword v3, v[6:7], off
	v_add_u32_e32 v2, 64, v2
	v_cmp_lt_i32_e32 vcc, s33, v2
	s_or_b64 s[0:1], vcc, s[0:1]
	s_waitcnt vmcnt(0)
	v_subrev_u32_e32 v3, s13, v3
	ds_write_b32 v4, v3
	v_add_u32_e32 v4, 0x100, v4
	s_andn2_b64 exec, exec, s[0:1]
	s_cbranch_execnz .LBB33_15
.LBB33_16:
	s_or_b64 exec, exec, s[2:3]
	s_load_dwordx2 s[20:21], s[4:5], 0x20
	v_cmp_gt_u32_e32 vcc, 16, v1
	v_lshlrev_b32_e32 v14, 3, v1
	s_and_saveexec_b64 s[0:1], vcc
	s_cbranch_execz .LBB33_19
; %bb.17:
	v_mul_u32_u24_e32 v2, 0x88, v0
	s_movk_i32 s2, 0x1980
	v_add3_u32 v5, v2, v14, s2
	v_mov_b32_e32 v2, 0
	v_add_u32_e32 v4, -4, v1
	s_mov_b64 s[2:3], 0
	v_mov_b32_e32 v3, v2
.LBB33_18:                              ; =>This Inner Loop Header: Depth=1
	v_add_u32_e32 v4, 4, v4
	v_cmp_lt_u32_e32 vcc, 11, v4
	ds_write_b64 v5, v[2:3]
	s_or_b64 s[2:3], vcc, s[2:3]
	v_add_u32_e32 v5, 32, v5
	s_andn2_b64 exec, exec, s[2:3]
	s_cbranch_execnz .LBB33_18
.LBB33_19:
	s_or_b64 exec, exec, s[0:1]
	s_load_dword s45, s[4:5], 0x8
	s_load_dword s46, s[4:5], 0x0
	s_cmp_ge_i32 s44, s33
	s_waitcnt lgkmcnt(0)
	v_cmp_gt_i32_e64 s[0:1], s45, v1
	s_cbranch_scc1 .LBB33_104
; %bb.20:
	v_or_b32_e32 v2, v1, v0
	s_mul_i32 s24, s45, s44
	s_cmp_lg_u32 s46, 0
	v_cmp_ne_u32_e64 s[4:5], 0, v2
	s_movk_i32 s48, 0x88
	v_add_u32_e32 v2, s24, v0
	s_cselect_b64 s[22:23], -1, 0
	s_cmp_gt_i32 s45, 0
	v_mad_u32_u24 v16, v0, s48, v14
	v_mul_lo_u32 v19, s45, v2
	v_mov_b32_e32 v2, 0x1100
	v_cmp_gt_i32_e64 s[2:3], s45, v0
	s_mul_i32 s47, s45, s45
	v_mul_lo_u32 v15, v0, s45
	v_add_u32_e32 v17, 0x880, v16
	v_mul_lo_u32 v18, v1, s45
	s_cselect_b64 s[24:25], -1, 0
	s_lshl_b32 s49, s45, 2
	v_mad_u32_u24 v20, v0, s48, v2
	v_mad_u32_u24 v21, v1, s48, v2
	v_add_u32_e32 v22, 0x1980, v16
	v_add_u32_e32 v23, 0x1100, v16
	v_mov_b32_e32 v2, 0
	v_mul_u32_u24_e32 v24, 0x88, v0
	v_mov_b32_e32 v25, 0x3ff00000
	s_mov_b32 s26, s44
	s_branch .LBB33_22
.LBB33_21:                              ;   in Loop: Header=BB33_22 Depth=1
	s_or_b64 exec, exec, s[28:29]
	s_add_i32 s26, s26, 1
	s_cmp_ge_i32 s26, s33
	s_waitcnt vmcnt(0)
	buffer_wbinvl1_vol
	v_add_u32_e32 v19, s47, v19
	s_cselect_b64 s[28:29], -1, 0
	s_and_b64 vcc, exec, s[28:29]
	s_cbranch_vccnz .LBB33_104
.LBB33_22:                              ; =>This Loop Header: Depth=1
                                        ;     Child Loop BB33_26 Depth 2
                                        ;     Child Loop BB33_39 Depth 2
	;; [unrolled: 1-line block ×5, first 2 shown]
                                        ;       Child Loop BB33_71 Depth 3
                                        ;     Child Loop BB33_84 Depth 2
                                        ;       Child Loop BB33_90 Depth 3
                                        ;       Child Loop BB33_93 Depth 3
                                        ;     Child Loop BB33_98 Depth 2
	s_ashr_i32 s27, s26, 31
	s_lshl_b64 s[28:29], s[26:27], 2
	s_add_u32 s28, s18, s28
	s_addc_u32 s29, s19, s29
	s_load_dword s50, s[28:29], 0x0
	s_waitcnt lgkmcnt(0)
	s_sub_i32 s30, s50, s13
	s_ashr_i32 s31, s30, 31
	s_lshl_b64 s[28:29], s[30:31], 2
	s_add_u32 s34, s8, s28
	s_addc_u32 s35, s9, s29
	s_load_dword s31, s[34:35], 0x0
	s_waitcnt lgkmcnt(0)
	s_cmp_eq_u32 s31, -1
	s_cbranch_scc1 .LBB33_103
; %bb.23:                               ;   in Loop: Header=BB33_22 Depth=1
	s_add_u32 s34, s16, s28
	s_addc_u32 s35, s17, s29
	s_load_dword s51, s[34:35], 0x0
	s_mul_i32 s27, s26, s45
	s_and_saveexec_b64 s[34:35], s[0:1]
	s_cbranch_execz .LBB33_36
; %bb.24:                               ;   in Loop: Header=BB33_22 Depth=1
	s_mov_b64 s[36:37], 0
	v_mov_b32_e32 v8, v17
	v_mov_b32_e32 v9, v1
	s_branch .LBB33_26
.LBB33_25:                              ;   in Loop: Header=BB33_26 Depth=2
	s_or_b64 exec, exec, s[40:41]
	v_add_u32_e32 v9, 4, v9
	v_mov_b32_e32 v3, v2
	v_cmp_le_i32_e32 vcc, s45, v9
	s_waitcnt vmcnt(0)
	ds_write_b64 v8, v[6:7] offset:2176
	ds_write_b64 v8, v[2:3]
	s_or_b64 s[36:37], vcc, s[36:37]
	v_add_u32_e32 v8, 32, v8
	s_andn2_b64 exec, exec, s[36:37]
	s_cbranch_execz .LBB33_36
.LBB33_26:                              ;   Parent Loop BB33_22 Depth=1
                                        ; =>  This Inner Loop Header: Depth=2
	s_and_b64 vcc, exec, s[22:23]
	s_cbranch_vccz .LBB33_31
; %bb.27:                               ;   in Loop: Header=BB33_26 Depth=2
	s_mov_b64 s[40:41], 0
	s_mov_b64 s[38:39], 0
                                        ; implicit-def: $vgpr4
	s_and_saveexec_b64 s[42:43], s[2:3]
	s_xor_b64 s[42:43], exec, s[42:43]
; %bb.28:                               ;   in Loop: Header=BB33_26 Depth=2
	v_add_u32_e32 v3, s27, v9
	s_mov_b64 s[38:39], exec
	v_mad_u64_u32 v[4:5], s[52:53], v3, s45, v[0:1]
; %bb.29:                               ;   in Loop: Header=BB33_26 Depth=2
	s_or_b64 exec, exec, s[42:43]
	s_and_b64 vcc, exec, s[40:41]
	s_cbranch_vccnz .LBB33_32
.LBB33_30:                              ;   in Loop: Header=BB33_26 Depth=2
	v_pk_mov_b32 v[6:7], s[40:41], s[40:41] op_sel:[0,1]
	s_and_saveexec_b64 s[40:41], s[38:39]
	s_cbranch_execz .LBB33_25
	s_branch .LBB33_35
.LBB33_31:                              ;   in Loop: Header=BB33_26 Depth=2
	s_mov_b64 s[40:41], -1
	s_mov_b64 s[38:39], 0
                                        ; implicit-def: $vgpr4
	s_cbranch_execz .LBB33_30
.LBB33_32:                              ;   in Loop: Header=BB33_26 Depth=2
                                        ; implicit-def: $vgpr4
	s_and_saveexec_b64 s[40:41], s[2:3]
; %bb.33:                               ;   in Loop: Header=BB33_26 Depth=2
	v_add_u32_e32 v4, v19, v9
	s_or_b64 s[38:39], s[38:39], exec
; %bb.34:                               ;   in Loop: Header=BB33_26 Depth=2
	s_or_b64 exec, exec, s[40:41]
	s_mov_b64 s[40:41], 0
	v_pk_mov_b32 v[6:7], s[40:41], s[40:41] op_sel:[0,1]
	s_and_saveexec_b64 s[40:41], s[38:39]
	s_cbranch_execz .LBB33_25
.LBB33_35:                              ;   in Loop: Header=BB33_26 Depth=2
	v_ashrrev_i32_e32 v5, 31, v4
	v_lshlrev_b64 v[4:5], 3, v[4:5]
	v_mov_b32_e32 v3, s21
	v_add_co_u32_e32 v4, vcc, s20, v4
	v_addc_co_u32_e32 v5, vcc, v3, v5, vcc
	global_load_dwordx2 v[6:7], v[4:5], off
	s_branch .LBB33_25
.LBB33_36:                              ;   in Loop: Header=BB33_22 Depth=1
	s_or_b64 exec, exec, s[34:35]
; %bb.37:                               ;   in Loop: Header=BB33_22 Depth=1
	ds_read_b32 v3, v2 offset:9216
	s_waitcnt lgkmcnt(0)
	s_sub_i32 s34, s51, s13
	s_cmp_le_i32 s34, s31
	s_cselect_b64 s[36:37], -1, 0
	s_mov_b32 s40, 0
	v_cmp_ge_i32_e32 vcc, s30, v3
	s_and_b64 s[36:37], s[36:37], vcc
	s_andn2_b64 vcc, exec, s[36:37]
	s_cbranch_vccnz .LBB33_49
; %bb.38:                               ;   in Loop: Header=BB33_22 Depth=1
	s_mov_b32 s38, 0
	s_mov_b32 s39, 0
.LBB33_39:                              ;   Parent Loop BB33_22 Depth=1
                                        ; =>  This Inner Loop Header: Depth=2
	s_ashr_i32 s35, s34, 31
	s_lshl_b64 s[36:37], s[34:35], 2
	s_add_u32 s36, s18, s36
	s_addc_u32 s37, s19, s37
	s_load_dword s35, s[36:37], 0x0
	s_lshl_b32 s36, s39, 2
	v_mov_b32_e32 v3, s36
	ds_read_b32 v3, v3 offset:9216
	s_mov_b64 s[36:37], -1
	s_waitcnt lgkmcnt(0)
	s_sub_i32 s43, s35, s13
                                        ; implicit-def: $sgpr40
                                        ; implicit-def: $sgpr42
                                        ; implicit-def: $sgpr41
	v_cmp_ge_i32_e32 vcc, s43, v3
	v_readfirstlane_b32 s35, v3
	s_cbranch_vccz .LBB33_45
; %bb.40:                               ;   in Loop: Header=BB33_39 Depth=2
	s_cmp_le_i32 s43, s35
                                        ; implicit-def: $sgpr40
                                        ; implicit-def: $sgpr42
                                        ; implicit-def: $sgpr41
	s_cbranch_scc0 .LBB33_42
; %bb.41:                               ;   in Loop: Header=BB33_39 Depth=2
	s_add_i32 s36, s39, s44
	s_mul_i32 s36, s36, s47
	s_lshl_b32 s37, s38, 2
	v_mov_b32_e32 v4, s36
	s_mul_i32 s36, s34, s47
	v_mov_b32_e32 v3, s37
	v_mov_b32_e32 v5, s36
	ds_write2st64_b32 v3, v5, v4 offset0:34 offset1:35
	s_add_i32 s41, s39, 1
	s_add_i32 s42, s34, 1
	;; [unrolled: 1-line block ×3, first 2 shown]
	s_mov_b64 s[36:37], 0
.LBB33_42:                              ;   in Loop: Header=BB33_39 Depth=2
	s_andn2_b64 vcc, exec, s[36:37]
	s_cbranch_vccnz .LBB33_44
; %bb.43:                               ;   in Loop: Header=BB33_39 Depth=2
	s_add_i32 s41, s39, 1
	s_mov_b32 s40, s38
	s_mov_b32 s42, s34
.LBB33_44:                              ;   in Loop: Header=BB33_39 Depth=2
	s_mov_b64 s[36:37], 0
.LBB33_45:                              ;   in Loop: Header=BB33_39 Depth=2
	s_andn2_b64 vcc, exec, s[36:37]
	s_cbranch_vccnz .LBB33_47
; %bb.46:                               ;   in Loop: Header=BB33_39 Depth=2
	s_add_i32 s42, s34, 1
	s_mov_b32 s41, s39
	s_mov_b32 s40, s38
.LBB33_47:                              ;   in Loop: Header=BB33_39 Depth=2
	s_cmp_le_i32 s42, s31
	s_cselect_b64 s[36:37], -1, 0
	s_cmp_le_i32 s35, s30
	s_cselect_b64 s[34:35], -1, 0
	s_and_b64 s[34:35], s[36:37], s[34:35]
	s_and_b64 vcc, exec, s[34:35]
	s_cbranch_vccz .LBB33_49
; %bb.48:                               ;   in Loop: Header=BB33_39 Depth=2
	s_mov_b32 s38, s40
	s_mov_b32 s34, s42
	;; [unrolled: 1-line block ×3, first 2 shown]
	s_branch .LBB33_39
.LBB33_49:                              ;   in Loop: Header=BB33_22 Depth=1
	s_add_u32 s28, s10, s28
	s_addc_u32 s29, s11, s29
	s_waitcnt lgkmcnt(0)
.LBB33_50:                              ;   Parent Loop BB33_22 Depth=1
                                        ; =>  This Inner Loop Header: Depth=2
	global_load_dword v3, v2, s[28:29] glc
	s_waitcnt vmcnt(0)
	v_cmp_eq_u32_e32 vcc, 0, v3
	s_cbranch_vccnz .LBB33_50
; %bb.51:                               ;   in Loop: Header=BB33_22 Depth=1
	buffer_wbinvl1_vol
	s_and_saveexec_b64 s[28:29], s[0:1]
	s_cbranch_execz .LBB33_64
; %bb.52:                               ;   in Loop: Header=BB33_22 Depth=1
	s_mul_i32 s41, s31, s45
	v_add_u32_e32 v3, s41, v0
	v_mul_lo_u32 v3, v3, s45
	s_mov_b64 s[30:31], 0
	v_mov_b32_e32 v8, v16
	v_mov_b32_e32 v9, v1
	s_branch .LBB33_54
.LBB33_53:                              ;   in Loop: Header=BB33_54 Depth=2
	s_or_b64 exec, exec, s[36:37]
	v_add_u32_e32 v9, 4, v9
	v_cmp_le_i32_e32 vcc, s45, v9
	s_waitcnt vmcnt(0)
	ds_write_b64 v8, v[6:7]
	s_or_b64 s[30:31], vcc, s[30:31]
	v_add_u32_e32 v8, 32, v8
	s_andn2_b64 exec, exec, s[30:31]
	s_cbranch_execz .LBB33_64
.LBB33_54:                              ;   Parent Loop BB33_22 Depth=1
                                        ; =>  This Inner Loop Header: Depth=2
	s_and_b64 vcc, exec, s[22:23]
	s_cbranch_vccz .LBB33_59
; %bb.55:                               ;   in Loop: Header=BB33_54 Depth=2
	s_mov_b64 s[36:37], 0
	s_mov_b64 s[34:35], 0
                                        ; implicit-def: $vgpr4
	s_and_saveexec_b64 s[38:39], s[2:3]
	s_xor_b64 s[38:39], exec, s[38:39]
; %bb.56:                               ;   in Loop: Header=BB33_54 Depth=2
	v_add_u32_e32 v4, s41, v9
	s_mov_b64 s[34:35], exec
	v_mad_u64_u32 v[4:5], s[42:43], v4, s45, v[0:1]
; %bb.57:                               ;   in Loop: Header=BB33_54 Depth=2
	s_or_b64 exec, exec, s[38:39]
	s_and_b64 vcc, exec, s[36:37]
	s_cbranch_vccnz .LBB33_60
.LBB33_58:                              ;   in Loop: Header=BB33_54 Depth=2
	v_pk_mov_b32 v[6:7], s[36:37], s[36:37] op_sel:[0,1]
	s_and_saveexec_b64 s[36:37], s[34:35]
	s_cbranch_execz .LBB33_53
	s_branch .LBB33_63
.LBB33_59:                              ;   in Loop: Header=BB33_54 Depth=2
	s_mov_b64 s[36:37], -1
	s_mov_b64 s[34:35], 0
                                        ; implicit-def: $vgpr4
	s_cbranch_execz .LBB33_58
.LBB33_60:                              ;   in Loop: Header=BB33_54 Depth=2
                                        ; implicit-def: $vgpr4
	s_and_saveexec_b64 s[36:37], s[2:3]
; %bb.61:                               ;   in Loop: Header=BB33_54 Depth=2
	v_add_u32_e32 v4, v3, v9
	s_or_b64 s[34:35], s[34:35], exec
; %bb.62:                               ;   in Loop: Header=BB33_54 Depth=2
	s_or_b64 exec, exec, s[36:37]
	s_mov_b64 s[36:37], 0
	v_pk_mov_b32 v[6:7], s[36:37], s[36:37] op_sel:[0,1]
	s_and_saveexec_b64 s[36:37], s[34:35]
	s_cbranch_execz .LBB33_53
.LBB33_63:                              ;   in Loop: Header=BB33_54 Depth=2
	v_ashrrev_i32_e32 v5, 31, v4
	v_lshlrev_b64 v[4:5], 3, v[4:5]
	v_mov_b32_e32 v6, s21
	v_add_co_u32_e32 v4, vcc, s20, v4
	v_addc_co_u32_e32 v5, vcc, v6, v5, vcc
	global_load_dwordx2 v[6:7], v[4:5], off
	s_branch .LBB33_53
.LBB33_64:                              ;   in Loop: Header=BB33_22 Depth=1
	s_or_b64 exec, exec, s[28:29]
; %bb.65:                               ;   in Loop: Header=BB33_22 Depth=1
	s_cmp_lt_i32 s40, 2
	s_cbranch_scc1 .LBB33_81
; %bb.66:                               ;   in Loop: Header=BB33_22 Depth=1
	s_add_i32 s36, s40, -2
	s_mov_b32 s37, 0
	s_branch .LBB33_68
.LBB33_67:                              ;   in Loop: Header=BB33_68 Depth=2
	s_or_b64 exec, exec, s[28:29]
	s_add_i32 s28, s37, 1
	s_cmp_eq_u32 s37, s36
	s_mov_b32 s37, s28
	s_cbranch_scc1 .LBB33_81
.LBB33_68:                              ;   Parent Loop BB33_22 Depth=1
                                        ; =>  This Loop Header: Depth=2
                                        ;       Child Loop BB33_71 Depth 3
	s_and_saveexec_b64 s[28:29], s[0:1]
	s_cbranch_execz .LBB33_67
; %bb.69:                               ;   in Loop: Header=BB33_68 Depth=2
	s_lshl_b32 s30, s37, 2
	v_mov_b32_e32 v3, s30
	ds_read2st64_b32 v[4:5], v3 offset0:34 offset1:35
	s_mov_b64 s[30:31], 0
	v_mov_b32_e32 v29, v1
	s_waitcnt lgkmcnt(0)
	v_add_u32_e32 v3, v5, v15
	v_add_u32_e32 v26, v0, v5
	;; [unrolled: 1-line block ×4, first 2 shown]
	s_branch .LBB33_71
.LBB33_70:                              ;   in Loop: Header=BB33_71 Depth=3
	v_lshlrev_b32_e32 v4, 3, v29
	v_mad_u32_u24 v6, v0, s48, v4
	ds_read_b64 v[4:5], v6 offset:2176
	v_add_u32_e32 v29, 4, v29
	v_cmp_le_i32_e32 vcc, s45, v29
	v_add_u32_e32 v27, 4, v27
	s_or_b64 s[30:31], vcc, s[30:31]
	s_waitcnt lgkmcnt(0)
	v_add_f64 v[4:5], v[10:11], v[4:5]
	v_add_u32_e32 v28, s49, v28
	ds_write_b64 v6, v[4:5] offset:2176
	s_andn2_b64 exec, exec, s[30:31]
	s_cbranch_execz .LBB33_67
.LBB33_71:                              ;   Parent Loop BB33_22 Depth=1
                                        ;     Parent Loop BB33_68 Depth=2
                                        ; =>    This Inner Loop Header: Depth=3
	s_mov_b32 s38, 0
	v_pk_mov_b32 v[8:9], 0, 0
	v_mov_b32_e32 v4, v27
	v_mov_b32_e32 v6, v26
	s_and_b64 vcc, exec, s[22:23]
	s_cbranch_vccz .LBB33_75
.LBB33_72:                              ;   in Loop: Header=BB33_71 Depth=3
	v_ashrrev_i32_e32 v5, 31, v4
	v_lshlrev_b64 v[10:11], 3, v[4:5]
	v_mov_b32_e32 v5, s21
	v_add_co_u32_e32 v10, vcc, s20, v10
	v_addc_co_u32_e32 v11, vcc, v5, v11, vcc
	global_load_dwordx2 v[10:11], v[10:11], off
	v_pk_mov_b32 v[12:13], 0, 0
	s_and_saveexec_b64 s[34:35], s[2:3]
	s_cbranch_execz .LBB33_74
; %bb.73:                               ;   in Loop: Header=BB33_71 Depth=3
	v_ashrrev_i32_e32 v7, 31, v6
	v_lshlrev_b64 v[12:13], 3, v[6:7]
	v_mov_b32_e32 v5, s21
	v_add_co_u32_e32 v12, vcc, s20, v12
	v_addc_co_u32_e32 v13, vcc, v5, v13, vcc
	global_load_dwordx2 v[12:13], v[12:13], off
.LBB33_74:                              ;   in Loop: Header=BB33_71 Depth=3
	s_or_b64 exec, exec, s[34:35]
	s_waitcnt vmcnt(0)
	v_fma_f64 v[10:11], v[10:11], v[12:13], v[8:9]
	s_branch .LBB33_79
.LBB33_75:                              ;   in Loop: Header=BB33_71 Depth=3
                                        ; implicit-def: $vgpr10_vgpr11
	s_cbranch_execz .LBB33_79
; %bb.76:                               ;   in Loop: Header=BB33_71 Depth=3
	v_add_u32_e32 v10, s38, v28
	v_ashrrev_i32_e32 v11, 31, v10
	v_lshlrev_b64 v[10:11], 3, v[10:11]
	v_mov_b32_e32 v5, s21
	v_add_co_u32_e32 v10, vcc, s20, v10
	v_addc_co_u32_e32 v11, vcc, v5, v11, vcc
	global_load_dwordx2 v[10:11], v[10:11], off
	v_pk_mov_b32 v[12:13], 0, 0
	s_and_saveexec_b64 s[34:35], s[2:3]
	s_cbranch_execz .LBB33_78
; %bb.77:                               ;   in Loop: Header=BB33_71 Depth=3
	v_add_u32_e32 v12, s38, v3
	v_ashrrev_i32_e32 v13, 31, v12
	v_lshlrev_b64 v[12:13], 3, v[12:13]
	v_mov_b32_e32 v5, s21
	v_add_co_u32_e32 v12, vcc, s20, v12
	v_addc_co_u32_e32 v13, vcc, v5, v13, vcc
	global_load_dwordx2 v[12:13], v[12:13], off
.LBB33_78:                              ;   in Loop: Header=BB33_71 Depth=3
	s_or_b64 exec, exec, s[34:35]
	s_waitcnt vmcnt(0)
	v_fmac_f64_e32 v[8:9], v[10:11], v[12:13]
	v_pk_mov_b32 v[10:11], v[8:9], v[8:9] op_sel:[0,1]
.LBB33_79:                              ;   in Loop: Header=BB33_71 Depth=3
	s_add_i32 s38, s38, 1
	v_add_u32_e32 v6, s45, v6
	s_cmp_eq_u32 s45, s38
	v_add_u32_e32 v4, s45, v4
	s_cbranch_scc1 .LBB33_70
; %bb.80:                               ;   in Loop: Header=BB33_71 Depth=3
	v_pk_mov_b32 v[8:9], v[10:11], v[10:11] op_sel:[0,1]
	s_and_b64 vcc, exec, s[22:23]
	s_cbranch_vccnz .LBB33_72
	s_branch .LBB33_75
.LBB33_81:                              ;   in Loop: Header=BB33_22 Depth=1
	s_andn2_b64 vcc, exec, s[24:25]
	s_waitcnt lgkmcnt(0)
	s_cbranch_vccnz .LBB33_94
; %bb.82:                               ;   in Loop: Header=BB33_22 Depth=1
	s_mov_b32 s34, 0
	s_mov_b32 s35, 0
	v_mov_b32_e32 v3, v21
	s_branch .LBB33_84
.LBB33_83:                              ;   in Loop: Header=BB33_84 Depth=2
	s_or_b64 exec, exec, s[28:29]
	s_add_i32 s35, s35, 1
	s_addk_i32 s34, 0x88
	s_cmp_eq_u32 s35, s45
	v_add_u32_e32 v3, 8, v3
	s_waitcnt lgkmcnt(0)
	s_cbranch_scc1 .LBB33_94
.LBB33_84:                              ;   Parent Loop BB33_22 Depth=1
                                        ; =>  This Loop Header: Depth=2
                                        ;       Child Loop BB33_90 Depth 3
                                        ;       Child Loop BB33_93 Depth 3
	s_lshl_b32 s28, s35, 3
	s_mul_i32 s29, s35, 0x88
	s_add_i32 s29, s28, s29
	v_mov_b32_e32 v4, s29
	ds_read_b64 v[6:7], v4
	v_mov_b32_e32 v4, s28
	v_mad_u32_u24 v10, v0, s48, v4
	ds_read_b64 v[4:5], v10 offset:4352
	s_waitcnt lgkmcnt(1)
	v_cmp_neq_f64_e32 vcc, 0, v[6:7]
	s_or_b64 s[28:29], vcc, s[4:5]
	v_cndmask_b32_e32 v7, v25, v7, vcc
	s_xor_b64 s[30:31], s[28:29], -1
	v_cndmask_b32_e32 v6, 0, v6, vcc
	s_and_saveexec_b64 s[28:29], s[30:31]
	s_cbranch_execz .LBB33_88
; %bb.85:                               ;   in Loop: Header=BB33_84 Depth=2
	v_mbcnt_lo_u32_b32 v6, exec_lo, 0
	v_mbcnt_hi_u32_b32 v6, exec_hi, v6
	v_cmp_eq_u32_e32 vcc, 0, v6
	s_and_saveexec_b64 s[30:31], vcc
	s_cbranch_execz .LBB33_87
; %bb.86:                               ;   in Loop: Header=BB33_84 Depth=2
	v_mov_b32_e32 v6, s50
	global_atomic_smin v2, v6, s[14:15]
.LBB33_87:                              ;   in Loop: Header=BB33_84 Depth=2
	s_or_b64 exec, exec, s[30:31]
	v_mov_b32_e32 v6, 0
	v_mov_b32_e32 v7, 0x3ff00000
.LBB33_88:                              ;   in Loop: Header=BB33_84 Depth=2
	s_or_b64 exec, exec, s[28:29]
	v_lshl_add_u32 v8, s35, 3, v24
	ds_read_b64 v[8:9], v8 offset:2176
	s_cmp_eq_u32 s35, 0
	s_cbranch_scc1 .LBB33_91
; %bb.89:                               ;   in Loop: Header=BB33_84 Depth=2
	s_mov_b32 s28, 0
	v_mov_b32_e32 v11, v20
	s_mov_b32 s29, s34
.LBB33_90:                              ;   Parent Loop BB33_22 Depth=1
                                        ;     Parent Loop BB33_84 Depth=2
                                        ; =>    This Inner Loop Header: Depth=3
	v_mov_b32_e32 v26, s29
	ds_read_b64 v[12:13], v11
	ds_read_b64 v[26:27], v26
	s_add_i32 s28, s28, 1
	s_add_i32 s29, s29, 8
	v_add_u32_e32 v11, 8, v11
	s_cmp_ge_u32 s28, s35
	s_waitcnt lgkmcnt(0)
	v_fmac_f64_e32 v[8:9], v[26:27], v[12:13]
	s_cbranch_scc0 .LBB33_90
.LBB33_91:                              ;   in Loop: Header=BB33_84 Depth=2
	s_waitcnt lgkmcnt(0)
	v_add_f64 v[4:5], v[4:5], -v[8:9]
	v_div_scale_f64 v[8:9], s[28:29], v[6:7], v[6:7], v[4:5]
	v_rcp_f64_e32 v[12:13], v[8:9]
	v_div_scale_f64 v[26:27], vcc, v[4:5], v[6:7], v[4:5]
	v_add_u32_e32 v10, 0x1100, v10
	v_fma_f64 v[28:29], -v[8:9], v[12:13], 1.0
	v_fmac_f64_e32 v[12:13], v[12:13], v[28:29]
	v_fma_f64 v[28:29], -v[8:9], v[12:13], 1.0
	v_fmac_f64_e32 v[12:13], v[12:13], v[28:29]
	v_mul_f64 v[28:29], v[26:27], v[12:13]
	v_fma_f64 v[8:9], -v[8:9], v[28:29], v[26:27]
	v_div_fmas_f64 v[8:9], v[8:9], v[12:13], v[28:29]
	v_div_fixup_f64 v[4:5], v[8:9], v[6:7], v[4:5]
	ds_write_b64 v10, v[4:5]
	s_waitcnt lgkmcnt(0)
	s_and_saveexec_b64 s[28:29], s[0:1]
	s_cbranch_execz .LBB33_83
; %bb.92:                               ;   in Loop: Header=BB33_84 Depth=2
	s_mov_b64 s[30:31], 0
	v_mov_b32_e32 v6, v22
	v_mov_b32_e32 v7, v3
	;; [unrolled: 1-line block ×3, first 2 shown]
.LBB33_93:                              ;   Parent Loop BB33_22 Depth=1
                                        ;     Parent Loop BB33_84 Depth=2
                                        ; =>    This Inner Loop Header: Depth=3
	ds_read_b64 v[10:11], v7
	ds_read_b64 v[12:13], v6
	v_add_u32_e32 v8, 4, v8
	v_cmp_le_i32_e32 vcc, s45, v8
	v_add_u32_e32 v7, 0x220, v7
	s_or_b64 s[30:31], vcc, s[30:31]
	s_waitcnt lgkmcnt(0)
	v_fmac_f64_e32 v[12:13], v[4:5], v[10:11]
	ds_write_b64 v6, v[12:13]
	v_add_u32_e32 v6, 32, v6
	s_andn2_b64 exec, exec, s[30:31]
	s_cbranch_execnz .LBB33_93
	s_branch .LBB33_83
.LBB33_94:                              ;   in Loop: Header=BB33_22 Depth=1
	s_and_saveexec_b64 s[28:29], s[0:1]
	s_cbranch_execz .LBB33_21
; %bb.95:                               ;   in Loop: Header=BB33_22 Depth=1
	s_mov_b64 s[30:31], 0
	v_mov_b32_e32 v3, v23
	v_mov_b32_e32 v8, v1
	s_branch .LBB33_98
.LBB33_96:                              ;   in Loop: Header=BB33_98 Depth=2
	v_ashrrev_i32_e32 v7, 31, v6
	v_lshlrev_b64 v[6:7], 3, v[6:7]
	v_mov_b32_e32 v9, s21
	v_add_co_u32_e32 v6, vcc, s20, v6
	v_addc_co_u32_e32 v7, vcc, v9, v7, vcc
	s_waitcnt lgkmcnt(0)
	global_store_dwordx2 v[6:7], v[4:5], off
.LBB33_97:                              ;   in Loop: Header=BB33_98 Depth=2
	s_or_b64 exec, exec, s[34:35]
	v_add_u32_e32 v8, 4, v8
	v_cmp_le_i32_e32 vcc, s45, v8
	s_or_b64 s[30:31], vcc, s[30:31]
	v_add_u32_e32 v3, 32, v3
	s_andn2_b64 exec, exec, s[30:31]
	s_cbranch_execz .LBB33_21
.LBB33_98:                              ;   Parent Loop BB33_22 Depth=1
                                        ; =>  This Inner Loop Header: Depth=2
	s_and_saveexec_b64 s[34:35], s[2:3]
	s_cbranch_execz .LBB33_97
; %bb.99:                               ;   in Loop: Header=BB33_98 Depth=2
	ds_read_b64 v[4:5], v3
	s_and_b64 vcc, exec, s[22:23]
	s_cbranch_vccz .LBB33_101
; %bb.100:                              ;   in Loop: Header=BB33_98 Depth=2
	v_add_u32_e32 v6, s27, v8
	v_mad_u64_u32 v[6:7], s[36:37], v6, s45, v[0:1]
	s_cbranch_execnz .LBB33_96
	s_branch .LBB33_102
.LBB33_101:                             ;   in Loop: Header=BB33_98 Depth=2
                                        ; implicit-def: $vgpr6
.LBB33_102:                             ;   in Loop: Header=BB33_98 Depth=2
	v_add_u32_e32 v6, v19, v8
	s_branch .LBB33_96
.LBB33_103:                             ;   in Loop: Header=BB33_22 Depth=1
                                        ; implicit-def: $sgpr26
                                        ; implicit-def: $vgpr19
	s_cbranch_execz .LBB33_22
.LBB33_104:
	v_cmp_gt_i32_e64 s[0:1], s45, v1
	s_and_saveexec_b64 s[4:5], s[0:1]
	s_cbranch_execz .LBB33_117
; %bb.105:
	s_mul_i32 s26, s33, s45
	v_add_u32_e32 v2, s26, v0
	s_cmp_lg_u32 s46, 0
	v_mul_lo_u32 v6, v2, s45
	v_mul_u32_u24_e32 v2, 0x88, v0
	s_movk_i32 s16, 0x1100
	s_cselect_b64 s[8:9], -1, 0
	v_cmp_gt_i32_e64 s[2:3], s45, v0
	v_add3_u32 v7, v2, v14, s16
	s_mov_b64 s[16:17], 0
	v_mov_b32_e32 v8, v1
	s_branch .LBB33_107
.LBB33_106:                             ;   in Loop: Header=BB33_107 Depth=1
	s_or_b64 exec, exec, s[22:23]
	v_add_u32_e32 v8, 4, v8
	v_cmp_le_i32_e32 vcc, s45, v8
	s_waitcnt vmcnt(0)
	ds_write_b64 v7, v[4:5]
	s_or_b64 s[16:17], vcc, s[16:17]
	v_add_u32_e32 v7, 32, v7
	s_andn2_b64 exec, exec, s[16:17]
	s_cbranch_execz .LBB33_117
.LBB33_107:                             ; =>This Inner Loop Header: Depth=1
	s_and_b64 vcc, exec, s[8:9]
	s_cbranch_vccz .LBB33_112
; %bb.108:                              ;   in Loop: Header=BB33_107 Depth=1
	s_mov_b64 s[22:23], 0
	s_mov_b64 s[18:19], 0
                                        ; implicit-def: $vgpr2
	s_and_saveexec_b64 s[24:25], s[2:3]
	s_xor_b64 s[24:25], exec, s[24:25]
; %bb.109:                              ;   in Loop: Header=BB33_107 Depth=1
	v_add_u32_e32 v2, s26, v8
	s_mov_b64 s[18:19], exec
	v_mad_u64_u32 v[2:3], s[28:29], v2, s45, v[0:1]
; %bb.110:                              ;   in Loop: Header=BB33_107 Depth=1
	s_or_b64 exec, exec, s[24:25]
	s_and_b64 vcc, exec, s[22:23]
	s_cbranch_vccnz .LBB33_113
.LBB33_111:                             ;   in Loop: Header=BB33_107 Depth=1
	v_pk_mov_b32 v[4:5], s[22:23], s[22:23] op_sel:[0,1]
	s_and_saveexec_b64 s[22:23], s[18:19]
	s_cbranch_execz .LBB33_106
	s_branch .LBB33_116
.LBB33_112:                             ;   in Loop: Header=BB33_107 Depth=1
	s_mov_b64 s[22:23], -1
	s_mov_b64 s[18:19], 0
                                        ; implicit-def: $vgpr2
	s_cbranch_execz .LBB33_111
.LBB33_113:                             ;   in Loop: Header=BB33_107 Depth=1
                                        ; implicit-def: $vgpr2
	s_and_saveexec_b64 s[22:23], s[2:3]
; %bb.114:                              ;   in Loop: Header=BB33_107 Depth=1
	v_add_u32_e32 v2, v6, v8
	s_or_b64 s[18:19], s[18:19], exec
; %bb.115:                              ;   in Loop: Header=BB33_107 Depth=1
	s_or_b64 exec, exec, s[22:23]
	s_mov_b64 s[22:23], 0
	v_pk_mov_b32 v[4:5], s[22:23], s[22:23] op_sel:[0,1]
	s_and_saveexec_b64 s[22:23], s[18:19]
	s_cbranch_execz .LBB33_106
.LBB33_116:                             ;   in Loop: Header=BB33_107 Depth=1
	v_ashrrev_i32_e32 v3, 31, v2
	v_lshlrev_b64 v[2:3], 3, v[2:3]
	v_mov_b32_e32 v4, s21
	v_add_co_u32_e32 v2, vcc, s20, v2
	v_addc_co_u32_e32 v3, vcc, v4, v3, vcc
	global_load_dwordx2 v[4:5], v[2:3], off
	s_branch .LBB33_106
.LBB33_117:
	s_or_b64 exec, exec, s[4:5]
; %bb.118:
	s_cmp_lt_i32 s45, 1
	s_waitcnt lgkmcnt(0)
	s_cbranch_scc1 .LBB33_131
; %bb.119:
	v_or_b32_e32 v2, v1, v0
	v_cmp_ne_u32_e64 s[2:3], 0, v2
	v_lshlrev_b32_e32 v2, 3, v0
	s_movk_i32 s22, 0x88
	v_mad_u32_u24 v2, v0, s22, v2
	v_mul_u32_u24_e32 v7, 0x88, v0
	s_movk_i32 s4, 0x1980
	v_add_u32_e32 v6, 0x1100, v2
	v_add_u32_e32 v8, 0x1980, v2
	v_mov_b32_e32 v2, 0x1100
	v_add3_u32 v10, v7, v14, s4
	s_mov_b32 s4, 0
	s_mov_b32 s18, 0
	s_add_i32 s19, s12, s13
	v_mad_u32_u24 v9, v1, s22, v2
	s_brev_b32 s5, 8
	v_mov_b32_e32 v11, 0x260
	v_mov_b32_e32 v12, 0x3ff00000
	;; [unrolled: 1-line block ×4, first 2 shown]
	s_branch .LBB33_121
.LBB33_120:                             ;   in Loop: Header=BB33_121 Depth=1
	s_or_b64 exec, exec, s[8:9]
	s_add_i32 s18, s18, 1
	s_cmp_eq_u32 s18, s45
	v_add_u32_e32 v9, 8, v9
	s_waitcnt lgkmcnt(0)
	s_cbranch_scc1 .LBB33_131
.LBB33_121:                             ; =>This Loop Header: Depth=1
                                        ;     Child Loop BB33_130 Depth 2
	v_cmp_eq_u32_e32 vcc, s18, v0
	s_and_saveexec_b64 s[8:9], vcc
	s_cbranch_execz .LBB33_123
; %bb.122:                              ;   in Loop: Header=BB33_121 Depth=1
	ds_read_b64 v[2:3], v6
	ds_read_b64 v[4:5], v8
	s_waitcnt lgkmcnt(0)
	v_add_f64 v[2:3], v[2:3], -v[4:5]
	v_xor_b32_e32 v4, 0x80000000, v3
	v_cmp_gt_f64_e32 vcc, 0, v[2:3]
	v_cndmask_b32_e32 v3, v3, v4, vcc
	v_cndmask_b32_e32 v2, v2, v2, vcc
	v_cmp_gt_f64_e32 vcc, s[4:5], v[2:3]
	v_cndmask_b32_e64 v4, 0, 1, vcc
	v_lshlrev_b32_e32 v4, 8, v4
	v_ldexp_f64 v[2:3], v[2:3], v4
	v_rsq_f64_e32 v[4:5], v[2:3]
	v_cndmask_b32_e32 v20, 0, v15, vcc
	v_cmp_class_f64_e32 vcc, v[2:3], v11
	v_mul_f64 v[16:17], v[2:3], v[4:5]
	v_mul_f64 v[4:5], v[4:5], 0.5
	v_fma_f64 v[18:19], -v[4:5], v[16:17], 0.5
	v_fmac_f64_e32 v[16:17], v[16:17], v[18:19]
	v_fmac_f64_e32 v[4:5], v[4:5], v[18:19]
	v_fma_f64 v[18:19], -v[16:17], v[16:17], v[2:3]
	v_fmac_f64_e32 v[16:17], v[18:19], v[4:5]
	v_fma_f64 v[18:19], -v[16:17], v[16:17], v[2:3]
	v_fmac_f64_e32 v[16:17], v[18:19], v[4:5]
	v_ldexp_f64 v[4:5], v[16:17], v20
	v_cndmask_b32_e32 v3, v5, v3, vcc
	v_cndmask_b32_e32 v2, v4, v2, vcc
	ds_write_b64 v6, v[2:3]
.LBB33_123:                             ;   in Loop: Header=BB33_121 Depth=1
	s_or_b64 exec, exec, s[8:9]
	s_lshl_b32 s8, s18, 3
	s_mul_i32 s9, s18, 0x88
	s_add_i32 s9, s9, s8
	v_mov_b32_e32 v2, s9
	s_waitcnt lgkmcnt(0)
	ds_read_b64 v[4:5], v2 offset:4352
	v_mov_b32_e32 v2, s8
	v_mad_u32_u24 v16, v0, s22, v2
	ds_read_b64 v[2:3], v16 offset:4352
	s_waitcnt lgkmcnt(1)
	v_cmp_neq_f64_e32 vcc, 0, v[4:5]
	s_or_b64 s[8:9], vcc, s[2:3]
	v_cndmask_b32_e32 v5, v12, v5, vcc
	s_xor_b64 s[16:17], s[8:9], -1
	v_cndmask_b32_e32 v4, 0, v4, vcc
	s_and_saveexec_b64 s[8:9], s[16:17]
	s_cbranch_execz .LBB33_127
; %bb.124:                              ;   in Loop: Header=BB33_121 Depth=1
	v_mbcnt_lo_u32_b32 v4, exec_lo, 0
	v_mbcnt_hi_u32_b32 v4, exec_hi, v4
	v_cmp_eq_u32_e32 vcc, 0, v4
	s_and_saveexec_b64 s[16:17], vcc
	s_cbranch_execz .LBB33_126
; %bb.125:                              ;   in Loop: Header=BB33_121 Depth=1
	v_mov_b32_e32 v4, s19
	global_atomic_smin v13, v4, s[14:15]
.LBB33_126:                             ;   in Loop: Header=BB33_121 Depth=1
	s_or_b64 exec, exec, s[16:17]
	v_mov_b32_e32 v4, 0
	v_mov_b32_e32 v5, 0x3ff00000
.LBB33_127:                             ;   in Loop: Header=BB33_121 Depth=1
	s_or_b64 exec, exec, s[8:9]
	v_cmp_lt_u32_e32 vcc, s18, v0
	s_and_saveexec_b64 s[8:9], vcc
	s_cbranch_execz .LBB33_120
; %bb.128:                              ;   in Loop: Header=BB33_121 Depth=1
	v_lshl_add_u32 v17, s18, 3, v7
	ds_read_b64 v[18:19], v17 offset:6528
	v_add_u32_e32 v24, 0x1100, v16
	s_waitcnt lgkmcnt(0)
	v_add_f64 v[2:3], v[2:3], -v[18:19]
	v_div_scale_f64 v[18:19], s[16:17], v[4:5], v[4:5], v[2:3]
	v_rcp_f64_e32 v[20:21], v[18:19]
	v_div_scale_f64 v[16:17], vcc, v[2:3], v[4:5], v[2:3]
	v_fma_f64 v[22:23], -v[18:19], v[20:21], 1.0
	v_fmac_f64_e32 v[20:21], v[20:21], v[22:23]
	v_fma_f64 v[22:23], -v[18:19], v[20:21], 1.0
	v_fmac_f64_e32 v[20:21], v[20:21], v[22:23]
	v_mul_f64 v[22:23], v[16:17], v[20:21]
	v_fma_f64 v[16:17], -v[18:19], v[22:23], v[16:17]
	v_div_fmas_f64 v[16:17], v[16:17], v[20:21], v[22:23]
	v_div_fixup_f64 v[2:3], v[16:17], v[4:5], v[2:3]
	ds_write_b64 v24, v[2:3]
	s_waitcnt lgkmcnt(0)
	s_and_b64 exec, exec, s[0:1]
	s_cbranch_execz .LBB33_120
; %bb.129:                              ;   in Loop: Header=BB33_121 Depth=1
	s_mov_b64 s[16:17], 0
	v_mov_b32_e32 v4, v10
	v_mov_b32_e32 v5, v9
	;; [unrolled: 1-line block ×3, first 2 shown]
.LBB33_130:                             ;   Parent Loop BB33_121 Depth=1
                                        ; =>  This Inner Loop Header: Depth=2
	ds_read_b64 v[18:19], v5
	ds_read_b64 v[20:21], v4
	v_add_u32_e32 v16, 4, v16
	v_cmp_le_i32_e32 vcc, s45, v16
	v_add_u32_e32 v5, 0x220, v5
	s_or_b64 s[16:17], vcc, s[16:17]
	s_waitcnt lgkmcnt(0)
	v_fmac_f64_e32 v[20:21], v[2:3], v[18:19]
	ds_write_b64 v4, v[20:21]
	v_add_u32_e32 v4, 32, v4
	s_andn2_b64 exec, exec, s[16:17]
	s_cbranch_execnz .LBB33_130
	s_branch .LBB33_120
.LBB33_131:
	s_and_saveexec_b64 s[2:3], s[0:1]
	s_cbranch_execz .LBB33_140
; %bb.132:
	s_mul_i32 s33, s33, s45
	v_add_u32_e32 v2, s33, v0
	s_cmp_lg_u32 s46, 0
	v_mul_lo_u32 v6, v2, s45
	v_mul_u32_u24_e32 v2, 0x88, v0
	s_movk_i32 s8, 0x1100
	v_cmp_gt_i32_e64 s[0:1], s45, v0
	s_cselect_b64 s[4:5], -1, 0
	v_add3_u32 v7, v2, v14, s8
	s_mov_b64 s[8:9], 0
	v_mov_b32_e32 v8, v1
	s_branch .LBB33_135
.LBB33_133:                             ;   in Loop: Header=BB33_135 Depth=1
	v_ashrrev_i32_e32 v5, 31, v4
	v_lshlrev_b64 v[4:5], 3, v[4:5]
	v_mov_b32_e32 v9, s21
	v_add_co_u32_e32 v4, vcc, s20, v4
	v_addc_co_u32_e32 v5, vcc, v9, v5, vcc
	s_waitcnt lgkmcnt(0)
	global_store_dwordx2 v[4:5], v[2:3], off
.LBB33_134:                             ;   in Loop: Header=BB33_135 Depth=1
	s_or_b64 exec, exec, s[16:17]
	v_add_u32_e32 v8, 4, v8
	v_cmp_le_i32_e32 vcc, s45, v8
	s_or_b64 s[8:9], vcc, s[8:9]
	v_add_u32_e32 v7, 32, v7
	s_andn2_b64 exec, exec, s[8:9]
	s_cbranch_execz .LBB33_140
.LBB33_135:                             ; =>This Inner Loop Header: Depth=1
	s_and_saveexec_b64 s[16:17], s[0:1]
	s_cbranch_execz .LBB33_134
; %bb.136:                              ;   in Loop: Header=BB33_135 Depth=1
	ds_read_b64 v[2:3], v7
	s_and_b64 vcc, exec, s[4:5]
	s_cbranch_vccz .LBB33_138
; %bb.137:                              ;   in Loop: Header=BB33_135 Depth=1
	v_add_u32_e32 v4, s33, v8
	v_mad_u64_u32 v[4:5], s[18:19], v4, s45, v[0:1]
	s_cbranch_execnz .LBB33_133
	s_branch .LBB33_139
.LBB33_138:                             ;   in Loop: Header=BB33_135 Depth=1
                                        ; implicit-def: $vgpr4
.LBB33_139:                             ;   in Loop: Header=BB33_135 Depth=1
	v_add_u32_e32 v4, v6, v8
	s_branch .LBB33_133
.LBB33_140:
	s_or_b64 exec, exec, s[2:3]
	v_or_b32_e32 v2, v1, v0
	v_cmp_eq_u32_e64 s[0:1], 0, v2
.LBB33_141:
	s_and_saveexec_b64 s[2:3], s[0:1]
	s_cbranch_execnz .LBB33_149
.LBB33_142:
	s_endpgm
.LBB33_143:
	s_mov_b64 s[0:1], 0
	s_cbranch_execz .LBB33_141
; %bb.144:
	v_or_b32_e32 v0, v1, v0
	v_cmp_eq_u32_e32 vcc, 0, v0
	s_and_saveexec_b64 s[2:3], vcc
	s_cbranch_execz .LBB33_148
; %bb.145:
	v_mbcnt_lo_u32_b32 v0, exec_lo, 0
	v_mbcnt_hi_u32_b32 v0, exec_hi, v0
	v_cmp_eq_u32_e32 vcc, 0, v0
	s_and_saveexec_b64 s[4:5], vcc
	s_cbranch_execz .LBB33_147
; %bb.146:
	s_add_i32 s8, s12, s13
	v_mov_b32_e32 v0, 0
	v_mov_b32_e32 v1, s8
	global_atomic_smin v0, v1, s[14:15]
.LBB33_147:
	s_or_b64 exec, exec, s[4:5]
	s_or_b64 s[0:1], s[0:1], exec
.LBB33_148:
	s_or_b64 exec, exec, s[2:3]
	s_and_saveexec_b64 s[2:3], s[0:1]
	s_cbranch_execz .LBB33_142
.LBB33_149:
	s_add_u32 s0, s10, s6
	s_addc_u32 s1, s11, s7
	v_mov_b32_e32 v0, 0
	v_mov_b32_e32 v1, 1
	s_waitcnt vmcnt(0)
	global_store_dword v0, v1, s[0:1]
	s_endpgm
	.section	.rodata,"a",@progbits
	.p2align	6, 0x0
	.amdhsa_kernel _ZN9rocsparseL18bsric0_9_16_kernelILi64ELi64ELi16EdEEv20rocsparse_direction_iiPKiS3_PT2_S3_PiS3_S6_21rocsparse_index_base_
		.amdhsa_group_segment_fixed_size 9472
		.amdhsa_private_segment_fixed_size 0
		.amdhsa_kernarg_size 76
		.amdhsa_user_sgpr_count 6
		.amdhsa_user_sgpr_private_segment_buffer 1
		.amdhsa_user_sgpr_dispatch_ptr 0
		.amdhsa_user_sgpr_queue_ptr 0
		.amdhsa_user_sgpr_kernarg_segment_ptr 1
		.amdhsa_user_sgpr_dispatch_id 0
		.amdhsa_user_sgpr_flat_scratch_init 0
		.amdhsa_user_sgpr_kernarg_preload_length 0
		.amdhsa_user_sgpr_kernarg_preload_offset 0
		.amdhsa_user_sgpr_private_segment_size 0
		.amdhsa_uses_dynamic_stack 0
		.amdhsa_system_sgpr_private_segment_wavefront_offset 0
		.amdhsa_system_sgpr_workgroup_id_x 1
		.amdhsa_system_sgpr_workgroup_id_y 0
		.amdhsa_system_sgpr_workgroup_id_z 0
		.amdhsa_system_sgpr_workgroup_info 0
		.amdhsa_system_vgpr_workitem_id 1
		.amdhsa_next_free_vgpr 70
		.amdhsa_next_free_sgpr 54
		.amdhsa_accum_offset 72
		.amdhsa_reserve_vcc 1
		.amdhsa_reserve_flat_scratch 0
		.amdhsa_float_round_mode_32 0
		.amdhsa_float_round_mode_16_64 0
		.amdhsa_float_denorm_mode_32 3
		.amdhsa_float_denorm_mode_16_64 3
		.amdhsa_dx10_clamp 1
		.amdhsa_ieee_mode 1
		.amdhsa_fp16_overflow 0
		.amdhsa_tg_split 0
		.amdhsa_exception_fp_ieee_invalid_op 0
		.amdhsa_exception_fp_denorm_src 0
		.amdhsa_exception_fp_ieee_div_zero 0
		.amdhsa_exception_fp_ieee_overflow 0
		.amdhsa_exception_fp_ieee_underflow 0
		.amdhsa_exception_fp_ieee_inexact 0
		.amdhsa_exception_int_div_zero 0
	.end_amdhsa_kernel
	.section	.text._ZN9rocsparseL18bsric0_9_16_kernelILi64ELi64ELi16EdEEv20rocsparse_direction_iiPKiS3_PT2_S3_PiS3_S6_21rocsparse_index_base_,"axG",@progbits,_ZN9rocsparseL18bsric0_9_16_kernelILi64ELi64ELi16EdEEv20rocsparse_direction_iiPKiS3_PT2_S3_PiS3_S6_21rocsparse_index_base_,comdat
.Lfunc_end33:
	.size	_ZN9rocsparseL18bsric0_9_16_kernelILi64ELi64ELi16EdEEv20rocsparse_direction_iiPKiS3_PT2_S3_PiS3_S6_21rocsparse_index_base_, .Lfunc_end33-_ZN9rocsparseL18bsric0_9_16_kernelILi64ELi64ELi16EdEEv20rocsparse_direction_iiPKiS3_PT2_S3_PiS3_S6_21rocsparse_index_base_
                                        ; -- End function
	.section	.AMDGPU.csdata,"",@progbits
; Kernel info:
; codeLenInByte = 5424
; NumSgprs: 58
; NumVgprs: 70
; NumAgprs: 0
; TotalNumVgprs: 70
; ScratchSize: 0
; MemoryBound: 0
; FloatMode: 240
; IeeeMode: 1
; LDSByteSize: 9472 bytes/workgroup (compile time only)
; SGPRBlocks: 7
; VGPRBlocks: 8
; NumSGPRsForWavesPerEU: 58
; NumVGPRsForWavesPerEU: 70
; AccumOffset: 72
; Occupancy: 2
; WaveLimiterHint : 1
; COMPUTE_PGM_RSRC2:SCRATCH_EN: 0
; COMPUTE_PGM_RSRC2:USER_SGPR: 6
; COMPUTE_PGM_RSRC2:TRAP_HANDLER: 0
; COMPUTE_PGM_RSRC2:TGID_X_EN: 1
; COMPUTE_PGM_RSRC2:TGID_Y_EN: 0
; COMPUTE_PGM_RSRC2:TGID_Z_EN: 0
; COMPUTE_PGM_RSRC2:TIDIG_COMP_CNT: 1
; COMPUTE_PGM_RSRC3_GFX90A:ACCUM_OFFSET: 17
; COMPUTE_PGM_RSRC3_GFX90A:TG_SPLIT: 0
	.section	.text._ZN9rocsparseL19bsric0_17_32_kernelILi64ELi64ELi32EdEEv20rocsparse_direction_iiPKiS3_PT2_S3_PiS3_S6_21rocsparse_index_base_,"axG",@progbits,_ZN9rocsparseL19bsric0_17_32_kernelILi64ELi64ELi32EdEEv20rocsparse_direction_iiPKiS3_PT2_S3_PiS3_S6_21rocsparse_index_base_,comdat
	.globl	_ZN9rocsparseL19bsric0_17_32_kernelILi64ELi64ELi32EdEEv20rocsparse_direction_iiPKiS3_PT2_S3_PiS3_S6_21rocsparse_index_base_ ; -- Begin function _ZN9rocsparseL19bsric0_17_32_kernelILi64ELi64ELi32EdEEv20rocsparse_direction_iiPKiS3_PT2_S3_PiS3_S6_21rocsparse_index_base_
	.p2align	8
	.type	_ZN9rocsparseL19bsric0_17_32_kernelILi64ELi64ELi32EdEEv20rocsparse_direction_iiPKiS3_PT2_S3_PiS3_S6_21rocsparse_index_base_,@function
_ZN9rocsparseL19bsric0_17_32_kernelILi64ELi64ELi32EdEEv20rocsparse_direction_iiPKiS3_PT2_S3_PiS3_S6_21rocsparse_index_base_: ; @_ZN9rocsparseL19bsric0_17_32_kernelILi64ELi64ELi32EdEEv20rocsparse_direction_iiPKiS3_PT2_S3_PiS3_S6_21rocsparse_index_base_
; %bb.0:
	s_load_dwordx8 s[8:15], s[4:5], 0x28
	s_mov_b32 s7, 0
	s_lshl_b64 s[0:1], s[6:7], 2
	v_and_b32_e32 v1, 0x3ff, v0
	v_bfe_u32 v0, v0, 10, 10
	s_waitcnt lgkmcnt(0)
	s_add_u32 s0, s12, s0
	s_addc_u32 s1, s13, s1
	s_load_dword s12, s[0:1], 0x0
	s_waitcnt lgkmcnt(0)
	s_ashr_i32 s13, s12, 31
	s_lshl_b64 s[6:7], s[12:13], 2
	s_add_u32 s0, s8, s6
	s_addc_u32 s1, s9, s7
	s_load_dword s33, s[0:1], 0x0
	s_load_dword s13, s[4:5], 0x48
	s_waitcnt lgkmcnt(0)
	s_cmp_lg_u32 s33, -1
	s_cbranch_scc0 .LBB34_131
; %bb.1:
	s_load_dwordx4 s[16:19], s[4:5], 0x10
	v_lshlrev_b32_e32 v3, 1, v0
	v_add_u32_e32 v4, v3, v1
	s_waitcnt lgkmcnt(0)
	s_add_u32 s0, s16, s6
	s_addc_u32 s1, s17, s7
	s_load_dword s28, s[0:1], 0x0
	s_waitcnt lgkmcnt(0)
	s_sub_i32 s46, s28, s13
	v_add_u32_e32 v2, s46, v4
	v_cmp_ge_i32_e32 vcc, s33, v2
	s_and_saveexec_b64 s[2:3], vcc
	s_cbranch_execz .LBB34_16
; %bb.2:
	v_add_u32_e32 v4, s28, v4
	v_subrev_u32_e32 v4, s13, v4
	v_add_u32_e32 v4, 64, v4
	s_add_i32 s0, s33, 1
	v_max_i32_e32 v4, s0, v4
	v_not_b32_e32 v5, v1
	v_add3_u32 v4, v4, s13, v5
	v_add_u32_e32 v3, s28, v3
	v_sub_u32_e32 v3, v4, v3
	s_movk_i32 s0, 0x640
	v_cmp_gt_u32_e32 vcc, s0, v3
	s_movk_i32 s0, 0x63f
	v_cmp_lt_u32_e64 s[0:1], s0, v3
	s_and_saveexec_b64 s[20:21], s[0:1]
	s_cbranch_execz .LBB34_13
; %bb.3:
	v_and_b32_e32 v4, 0xffffffc0, v3
	v_add_u32_e32 v4, v2, v4
	v_cmp_ge_i32_e64 s[0:1], v4, v2
	s_mov_b64 s[24:25], -1
	s_and_saveexec_b64 s[22:23], s[0:1]
	s_cbranch_execz .LBB34_12
; %bb.4:
	v_lshrrev_b32_e32 v14, 6, v3
	v_add_u32_e32 v4, -1, v14
	v_add_u32_e32 v3, 64, v2
	v_lshrrev_b32_e32 v5, 1, v4
	v_add_u32_e32 v15, 1, v5
	v_cmp_lt_u32_e64 s[0:1], 13, v4
	v_pk_mov_b32 v[4:5], v[2:3], v[2:3] op_sel:[0,1]
	s_and_saveexec_b64 s[24:25], s[0:1]
	s_cbranch_execz .LBB34_8
; %bb.5:
	v_and_b32_e32 v16, -8, v15
	s_mov_b64 s[26:27], 0
	v_mov_b32_e32 v17, s19
	v_pk_mov_b32 v[4:5], v[2:3], v[2:3] op_sel:[0,1]
.LBB34_6:                               ; =>This Inner Loop Header: Depth=1
	v_ashrrev_i32_e32 v21, 31, v4
	v_mov_b32_e32 v20, v4
	v_lshlrev_b64 v[20:21], 2, v[20:21]
	v_ashrrev_i32_e32 v19, 31, v5
	v_mov_b32_e32 v18, v5
	v_add_co_u32_e64 v20, s[0:1], s18, v20
	v_add_u32_e32 v6, 0x80, v4
	v_lshlrev_b64 v[18:19], 2, v[18:19]
	v_addc_co_u32_e64 v21, s[0:1], v17, v21, s[0:1]
	v_ashrrev_i32_e32 v7, 31, v6
	v_add_co_u32_e64 v18, s[0:1], s18, v18
	v_add_u32_e32 v8, 0x80, v5
	v_addc_co_u32_e64 v19, s[0:1], v17, v19, s[0:1]
	v_lshlrev_b64 v[42:43], 2, v[6:7]
	v_ashrrev_i32_e32 v9, 31, v8
	global_load_dword v3, v[20:21], off
	global_load_dword v7, v[18:19], off
	v_add_co_u32_e64 v18, s[0:1], s18, v42
	v_add_u32_e32 v10, 0x100, v4
	v_lshlrev_b64 v[44:45], 2, v[8:9]
	v_addc_co_u32_e64 v19, s[0:1], v17, v43, s[0:1]
	v_ashrrev_i32_e32 v11, 31, v10
	v_add_co_u32_e64 v20, s[0:1], s18, v44
	v_add_u32_e32 v12, 0x100, v5
	v_lshlrev_b64 v[46:47], 2, v[10:11]
	v_addc_co_u32_e64 v21, s[0:1], v17, v45, s[0:1]
	v_ashrrev_i32_e32 v13, 31, v12
	;; [unrolled: 5-line block ×12, first 2 shown]
	v_add_co_u32_e64 v62, s[0:1], s18, v66
	v_lshlrev_b64 v[68:69], 2, v[40:41]
	v_addc_co_u32_e64 v63, s[0:1], v17, v67, s[0:1]
	v_add_co_u32_e64 v64, s[0:1], s18, v68
	v_addc_co_u32_e64 v65, s[0:1], v17, v69, s[0:1]
	global_load_dword v9, v[20:21], off
	global_load_dword v11, v[18:19], off
	;; [unrolled: 1-line block ×14, first 2 shown]
	v_subrev_u32_e32 v19, s46, v4
	v_add_u32_e32 v16, -8, v16
	v_subrev_u32_e32 v18, s46, v5
	v_lshlrev_b32_e32 v19, 2, v19
	v_subrev_u32_e32 v6, s46, v6
	v_cmp_eq_u32_e64 s[0:1], 0, v16
	s_waitcnt vmcnt(14)
	v_subrev_u32_e32 v7, s13, v7
	v_subrev_u32_e32 v3, s13, v3
	v_add_u32_e32 v5, 0x400, v5
	v_add_u32_e32 v4, 0x400, v4
	v_lshlrev_b32_e32 v18, 2, v18
	v_subrev_u32_e32 v8, s46, v8
	v_subrev_u32_e32 v12, s46, v12
	;; [unrolled: 1-line block ×13, first 2 shown]
	v_lshlrev_b32_e32 v6, 2, v6
	s_or_b64 s[26:27], s[0:1], s[26:27]
	ds_write_b32 v19, v3 offset:25856
	ds_write_b32 v18, v7 offset:25856
	v_lshlrev_b32_e32 v8, 2, v8
	v_lshlrev_b32_e32 v10, 2, v10
	;; [unrolled: 1-line block ×13, first 2 shown]
	s_waitcnt vmcnt(13)
	v_subrev_u32_e32 v3, s13, v9
	s_waitcnt vmcnt(12)
	v_subrev_u32_e32 v7, s13, v11
	;; [unrolled: 2-line block ×14, first 2 shown]
	ds_write_b32 v6, v7 offset:25856
	ds_write_b32 v8, v3 offset:25856
	;; [unrolled: 1-line block ×14, first 2 shown]
	s_andn2_b64 exec, exec, s[26:27]
	s_cbranch_execnz .LBB34_6
; %bb.7:
	s_or_b64 exec, exec, s[26:27]
.LBB34_8:
	s_or_b64 exec, exec, s[24:25]
	v_and_b32_e32 v3, 7, v15
	v_cmp_ne_u32_e64 s[0:1], 0, v3
	s_and_saveexec_b64 s[24:25], s[0:1]
	s_cbranch_execz .LBB34_11
; %bb.9:
	s_mov_b64 s[26:27], 0
	v_mov_b32_e32 v6, s19
.LBB34_10:                              ; =>This Inner Loop Header: Depth=1
	v_ashrrev_i32_e32 v11, 31, v4
	v_mov_b32_e32 v10, v4
	v_lshlrev_b64 v[10:11], 2, v[10:11]
	v_ashrrev_i32_e32 v9, 31, v5
	v_mov_b32_e32 v8, v5
	v_add_co_u32_e64 v10, s[0:1], s18, v10
	v_lshlrev_b64 v[8:9], 2, v[8:9]
	v_addc_co_u32_e64 v11, s[0:1], v6, v11, s[0:1]
	v_add_co_u32_e64 v8, s[0:1], s18, v8
	v_addc_co_u32_e64 v9, s[0:1], v6, v9, s[0:1]
	global_load_dword v7, v[8:9], off
	global_load_dword v12, v[10:11], off
	v_add_u32_e32 v3, -1, v3
	v_subrev_u32_e32 v9, s46, v4
	v_cmp_eq_u32_e64 s[0:1], 0, v3
	v_subrev_u32_e32 v8, s46, v5
	v_add_u32_e32 v5, 0x80, v5
	v_add_u32_e32 v4, 0x80, v4
	v_lshlrev_b32_e32 v9, 2, v9
	s_or_b64 s[26:27], s[0:1], s[26:27]
	v_lshlrev_b32_e32 v8, 2, v8
	s_waitcnt vmcnt(1)
	v_subrev_u32_e32 v7, s13, v7
	s_waitcnt vmcnt(0)
	v_subrev_u32_e32 v10, s13, v12
	ds_write_b32 v9, v10 offset:25856
	ds_write_b32 v8, v7 offset:25856
	s_andn2_b64 exec, exec, s[26:27]
	s_cbranch_execnz .LBB34_10
.LBB34_11:
	s_or_b64 exec, exec, s[24:25]
	v_add_u32_e32 v3, 1, v14
	v_and_b32_e32 v4, 0x7fffffe, v3
	v_cmp_ne_u32_e64 s[0:1], v3, v4
	v_lshl_add_u32 v2, v4, 6, v2
	s_orn2_b64 s[24:25], s[0:1], exec
.LBB34_12:
	s_or_b64 exec, exec, s[22:23]
	s_andn2_b64 s[0:1], vcc, exec
	s_and_b64 s[22:23], s[24:25], exec
	s_or_b64 vcc, s[0:1], s[22:23]
.LBB34_13:
	s_or_b64 exec, exec, s[20:21]
	s_and_b64 exec, exec, vcc
	s_cbranch_execz .LBB34_16
; %bb.14:
	v_add_u32_e32 v3, s13, v2
	v_subrev_u32_e32 v3, s28, v3
	v_mov_b32_e32 v4, 0x6500
	v_lshl_add_u32 v4, v3, 2, v4
	s_mov_b64 s[0:1], 0
	v_mov_b32_e32 v5, s19
.LBB34_15:                              ; =>This Inner Loop Header: Depth=1
	v_ashrrev_i32_e32 v3, 31, v2
	v_lshlrev_b64 v[6:7], 2, v[2:3]
	v_add_co_u32_e32 v6, vcc, s18, v6
	v_addc_co_u32_e32 v7, vcc, v5, v7, vcc
	global_load_dword v3, v[6:7], off
	v_add_u32_e32 v2, 64, v2
	v_cmp_lt_i32_e32 vcc, s33, v2
	s_or_b64 s[0:1], vcc, s[0:1]
	s_waitcnt vmcnt(0)
	v_subrev_u32_e32 v3, s13, v3
	ds_write_b32 v4, v3
	v_add_u32_e32 v4, 0x100, v4
	s_andn2_b64 exec, exec, s[0:1]
	s_cbranch_execnz .LBB34_15
.LBB34_16:
	s_or_b64 exec, exec, s[2:3]
	s_load_dwordx2 s[20:21], s[4:5], 0x20
	v_cmp_gt_u32_e32 vcc, 32, v1
	v_lshlrev_b32_e32 v14, 3, v1
	s_and_saveexec_b64 s[0:1], vcc
	s_cbranch_execz .LBB34_19
; %bb.17:
	v_mul_u32_u24_e32 v2, 0x108, v0
	s_movk_i32 s2, 0x4200
	v_add3_u32 v5, v2, v14, s2
	v_mov_b32_e32 v2, 0
	v_add_u32_e32 v4, -2, v1
	s_mov_b64 s[2:3], 0
	v_mov_b32_e32 v3, v2
.LBB34_18:                              ; =>This Inner Loop Header: Depth=1
	v_add_u32_e32 v4, 2, v4
	v_cmp_lt_u32_e32 vcc, 29, v4
	ds_write_b64 v5, v[2:3]
	s_or_b64 s[2:3], vcc, s[2:3]
	v_add_u32_e32 v5, 16, v5
	s_andn2_b64 exec, exec, s[2:3]
	s_cbranch_execnz .LBB34_18
.LBB34_19:
	s_or_b64 exec, exec, s[0:1]
	s_load_dword s47, s[4:5], 0x8
	s_load_dword s48, s[4:5], 0x0
	s_cmp_ge_i32 s46, s33
	s_waitcnt lgkmcnt(0)
	v_cmp_gt_i32_e64 s[0:1], s47, v1
	s_cbranch_scc1 .LBB34_92
; %bb.20:
	s_cmp_eq_u32 s48, 0
	v_or_b32_e32 v2, v1, v0
	s_mul_i32 s26, s47, s46
	s_cselect_b64 s[22:23], -1, 0
	s_cmp_lg_u32 s48, 0
	v_cmp_ne_u32_e64 s[4:5], 0, v2
	s_movk_i32 s50, 0x108
	v_add_u32_e32 v2, s26, v0
	s_cselect_b64 s[24:25], -1, 0
	s_cmp_gt_i32 s47, 0
	v_mad_u32_u24 v16, v0, s50, v14
	v_mul_lo_u32 v18, s47, v2
	v_mov_b32_e32 v2, 0x2100
	s_mul_i32 s49, s47, s47
	v_cmp_gt_i32_e64 s[2:3], s47, v0
	v_mul_lo_u32 v15, v0, s47
	v_mul_lo_u32 v17, v1, s47
	s_cselect_b64 s[26:27], -1, 0
	s_lshl_b32 s51, s47, 1
	v_mad_u32_u24 v19, v0, s50, v2
	v_mad_u32_u24 v20, v1, s50, v2
	v_add_u32_e32 v21, 0x4200, v16
	v_add_u32_e32 v22, 0x2100, v16
	v_mov_b32_e32 v2, 0
	v_mul_u32_u24_e32 v23, 0x108, v0
	v_mov_b32_e32 v24, 0x3ff00000
	s_mov_b32 s28, s46
	s_branch .LBB34_22
.LBB34_21:                              ;   in Loop: Header=BB34_22 Depth=1
	s_or_b64 exec, exec, s[30:31]
	s_add_i32 s28, s28, 1
	s_cmp_ge_i32 s28, s33
	s_waitcnt vmcnt(0)
	buffer_wbinvl1_vol
	v_add_u32_e32 v18, s49, v18
	s_cselect_b64 s[30:31], -1, 0
	s_and_b64 vcc, exec, s[30:31]
	s_cbranch_vccnz .LBB34_92
.LBB34_22:                              ; =>This Loop Header: Depth=1
                                        ;     Child Loop BB34_26 Depth 2
                                        ;     Child Loop BB34_39 Depth 2
                                        ;     Child Loop BB34_50 Depth 2
                                        ;     Child Loop BB34_54 Depth 2
                                        ;       Child Loop BB34_57 Depth 3
                                        ;     Child Loop BB34_70 Depth 2
                                        ;       Child Loop BB34_77 Depth 3
                                        ;       Child Loop BB34_81 Depth 3
                                        ;     Child Loop BB34_86 Depth 2
	s_ashr_i32 s29, s28, 31
	s_lshl_b64 s[30:31], s[28:29], 2
	s_add_u32 s30, s18, s30
	s_addc_u32 s31, s19, s31
	s_load_dword s52, s[30:31], 0x0
	s_waitcnt lgkmcnt(0)
	s_sub_i32 s34, s52, s13
	s_ashr_i32 s35, s34, 31
	s_lshl_b64 s[30:31], s[34:35], 2
	s_add_u32 s36, s8, s30
	s_addc_u32 s37, s9, s31
	s_load_dword s53, s[36:37], 0x0
	s_waitcnt lgkmcnt(0)
	s_cmp_eq_u32 s53, -1
	s_cbranch_scc1 .LBB34_91
; %bb.23:                               ;   in Loop: Header=BB34_22 Depth=1
	s_add_u32 s36, s16, s30
	s_addc_u32 s37, s17, s31
	s_load_dword s35, s[36:37], 0x0
	s_mul_i32 s29, s28, s47
	s_and_saveexec_b64 s[36:37], s[0:1]
	s_cbranch_execz .LBB34_36
; %bb.24:                               ;   in Loop: Header=BB34_22 Depth=1
	s_mov_b64 s[38:39], 0
	v_mov_b32_e32 v8, v16
	v_mov_b32_e32 v9, v1
	s_branch .LBB34_26
.LBB34_25:                              ;   in Loop: Header=BB34_26 Depth=2
	s_or_b64 exec, exec, s[42:43]
	v_add_u32_e32 v9, 2, v9
	v_mov_b32_e32 v3, v2
	v_cmp_le_i32_e32 vcc, s47, v9
	s_waitcnt vmcnt(0)
	ds_write_b64 v8, v[6:7] offset:8448
	ds_write_b64 v8, v[2:3]
	s_or_b64 s[38:39], vcc, s[38:39]
	v_add_u32_e32 v8, 16, v8
	s_andn2_b64 exec, exec, s[38:39]
	s_cbranch_execz .LBB34_36
.LBB34_26:                              ;   Parent Loop BB34_22 Depth=1
                                        ; =>  This Inner Loop Header: Depth=2
	s_and_b64 vcc, exec, s[24:25]
	s_cbranch_vccz .LBB34_30
; %bb.27:                               ;   in Loop: Header=BB34_26 Depth=2
	s_mov_b64 s[42:43], 0
	s_mov_b64 s[40:41], 0
                                        ; implicit-def: $vgpr4
	s_and_saveexec_b64 s[44:45], s[2:3]
	s_xor_b64 s[44:45], exec, s[44:45]
; %bb.28:                               ;   in Loop: Header=BB34_26 Depth=2
	v_add_u32_e32 v3, s29, v9
	s_mov_b64 s[40:41], exec
	v_mad_u64_u32 v[4:5], s[54:55], v3, s47, v[0:1]
; %bb.29:                               ;   in Loop: Header=BB34_26 Depth=2
	s_or_b64 exec, exec, s[44:45]
	s_and_b64 vcc, exec, s[42:43]
	s_cbranch_vccnz .LBB34_31
	s_branch .LBB34_34
.LBB34_30:                              ;   in Loop: Header=BB34_26 Depth=2
	s_mov_b64 s[42:43], -1
	s_mov_b64 s[40:41], 0
                                        ; implicit-def: $vgpr4
	s_cbranch_execz .LBB34_34
.LBB34_31:                              ;   in Loop: Header=BB34_26 Depth=2
                                        ; implicit-def: $vgpr4
	s_and_saveexec_b64 s[42:43], s[2:3]
; %bb.32:                               ;   in Loop: Header=BB34_26 Depth=2
	v_add_u32_e32 v4, v18, v9
	s_or_b64 s[40:41], s[40:41], exec
; %bb.33:                               ;   in Loop: Header=BB34_26 Depth=2
	s_or_b64 exec, exec, s[42:43]
	s_mov_b64 s[42:43], 0
.LBB34_34:                              ;   in Loop: Header=BB34_26 Depth=2
	v_pk_mov_b32 v[6:7], s[42:43], s[42:43] op_sel:[0,1]
	s_and_saveexec_b64 s[42:43], s[40:41]
	s_cbranch_execz .LBB34_25
; %bb.35:                               ;   in Loop: Header=BB34_26 Depth=2
	v_ashrrev_i32_e32 v5, 31, v4
	v_lshlrev_b64 v[4:5], 3, v[4:5]
	v_mov_b32_e32 v3, s21
	v_add_co_u32_e32 v4, vcc, s20, v4
	v_addc_co_u32_e32 v5, vcc, v3, v5, vcc
	global_load_dwordx2 v[6:7], v[4:5], off
	s_branch .LBB34_25
.LBB34_36:                              ;   in Loop: Header=BB34_22 Depth=1
	s_or_b64 exec, exec, s[36:37]
; %bb.37:                               ;   in Loop: Header=BB34_22 Depth=1
	ds_read_b32 v3, v2 offset:25856
	s_waitcnt lgkmcnt(0)
	s_sub_i32 s36, s35, s13
	s_cmp_le_i32 s36, s53
	s_cselect_b64 s[38:39], -1, 0
	s_mov_b32 s37, 0
	v_cmp_ge_i32_e32 vcc, s34, v3
	s_and_b64 s[38:39], s[38:39], vcc
	s_andn2_b64 vcc, exec, s[38:39]
	s_cbranch_vccnz .LBB34_49
; %bb.38:                               ;   in Loop: Header=BB34_22 Depth=1
	s_mov_b32 s35, 0
	s_mov_b32 s40, 0
.LBB34_39:                              ;   Parent Loop BB34_22 Depth=1
                                        ; =>  This Inner Loop Header: Depth=2
	s_ashr_i32 s37, s36, 31
	s_lshl_b64 s[38:39], s[36:37], 2
	s_add_u32 s38, s18, s38
	s_addc_u32 s39, s19, s39
	s_load_dword s37, s[38:39], 0x0
	s_lshl_b32 s38, s40, 2
	v_mov_b32_e32 v3, s38
	ds_read_b32 v3, v3 offset:25856
	s_mov_b64 s[38:39], -1
	s_waitcnt lgkmcnt(0)
	s_sub_i32 s44, s37, s13
                                        ; implicit-def: $sgpr37
                                        ; implicit-def: $sgpr43
                                        ; implicit-def: $sgpr42
	v_cmp_ge_i32_e32 vcc, s44, v3
	v_readfirstlane_b32 s41, v3
	s_cbranch_vccz .LBB34_45
; %bb.40:                               ;   in Loop: Header=BB34_39 Depth=2
	s_cmp_le_i32 s44, s41
                                        ; implicit-def: $sgpr37
                                        ; implicit-def: $sgpr43
                                        ; implicit-def: $sgpr42
	s_cbranch_scc0 .LBB34_42
; %bb.41:                               ;   in Loop: Header=BB34_39 Depth=2
	s_add_i32 s37, s40, s46
	s_mul_i32 s37, s37, s49
	s_lshl_b32 s38, s35, 2
	v_mov_b32_e32 v4, s37
	s_mul_i32 s37, s36, s49
	v_mov_b32_e32 v3, s38
	v_mov_b32_e32 v5, s37
	ds_write2st64_b32 v3, v5, v4 offset0:99 offset1:100
	s_add_i32 s42, s40, 1
	s_add_i32 s43, s36, 1
	;; [unrolled: 1-line block ×3, first 2 shown]
	s_mov_b64 s[38:39], 0
.LBB34_42:                              ;   in Loop: Header=BB34_39 Depth=2
	s_andn2_b64 vcc, exec, s[38:39]
	s_cbranch_vccnz .LBB34_44
; %bb.43:                               ;   in Loop: Header=BB34_39 Depth=2
	s_add_i32 s42, s40, 1
	s_mov_b32 s37, s35
	s_mov_b32 s43, s36
.LBB34_44:                              ;   in Loop: Header=BB34_39 Depth=2
	s_mov_b64 s[38:39], 0
.LBB34_45:                              ;   in Loop: Header=BB34_39 Depth=2
	s_andn2_b64 vcc, exec, s[38:39]
	s_cbranch_vccnz .LBB34_47
; %bb.46:                               ;   in Loop: Header=BB34_39 Depth=2
	s_add_i32 s43, s36, 1
	s_mov_b32 s42, s40
	s_mov_b32 s37, s35
.LBB34_47:                              ;   in Loop: Header=BB34_39 Depth=2
	s_cmp_le_i32 s43, s53
	s_cselect_b64 s[38:39], -1, 0
	s_cmp_le_i32 s41, s34
	s_cselect_b64 s[40:41], -1, 0
	s_and_b64 s[38:39], s[38:39], s[40:41]
	s_and_b64 vcc, exec, s[38:39]
	s_cbranch_vccz .LBB34_49
; %bb.48:                               ;   in Loop: Header=BB34_39 Depth=2
	s_mov_b32 s35, s37
	s_mov_b32 s36, s43
	s_mov_b32 s40, s42
	s_branch .LBB34_39
.LBB34_49:                              ;   in Loop: Header=BB34_22 Depth=1
	s_add_u32 s30, s10, s30
	s_addc_u32 s31, s11, s31
	s_waitcnt lgkmcnt(0)
.LBB34_50:                              ;   Parent Loop BB34_22 Depth=1
                                        ; =>  This Inner Loop Header: Depth=2
	global_load_dword v3, v2, s[30:31] glc
	s_waitcnt vmcnt(0)
	v_cmp_eq_u32_e32 vcc, 0, v3
	s_cbranch_vccnz .LBB34_50
; %bb.51:                               ;   in Loop: Header=BB34_22 Depth=1
	s_cmp_lt_i32 s37, 2
	buffer_wbinvl1_vol
	s_cbranch_scc1 .LBB34_67
; %bb.52:                               ;   in Loop: Header=BB34_22 Depth=1
	s_add_i32 s38, s37, -2
	s_mov_b32 s39, 0
	s_branch .LBB34_54
.LBB34_53:                              ;   in Loop: Header=BB34_54 Depth=2
	s_or_b64 exec, exec, s[30:31]
	s_add_i32 s30, s39, 1
	s_cmp_eq_u32 s39, s38
	s_mov_b32 s39, s30
	s_cbranch_scc1 .LBB34_67
.LBB34_54:                              ;   Parent Loop BB34_22 Depth=1
                                        ; =>  This Loop Header: Depth=2
                                        ;       Child Loop BB34_57 Depth 3
	s_and_saveexec_b64 s[30:31], s[0:1]
	s_cbranch_execz .LBB34_53
; %bb.55:                               ;   in Loop: Header=BB34_54 Depth=2
	s_lshl_b32 s34, s39, 2
	v_mov_b32_e32 v3, s34
	ds_read2st64_b32 v[4:5], v3 offset0:99 offset1:100
	s_mov_b64 s[34:35], 0
	v_mov_b32_e32 v28, v1
	s_waitcnt lgkmcnt(0)
	v_add_u32_e32 v3, v5, v15
	v_add_u32_e32 v25, v0, v5
	;; [unrolled: 1-line block ×4, first 2 shown]
	s_branch .LBB34_57
.LBB34_56:                              ;   in Loop: Header=BB34_57 Depth=3
	v_lshlrev_b32_e32 v4, 3, v28
	v_mad_u32_u24 v6, v0, s50, v4
	ds_read_b64 v[4:5], v6
	v_add_u32_e32 v28, 2, v28
	v_cmp_le_i32_e32 vcc, s47, v28
	v_add_u32_e32 v26, 2, v26
	s_or_b64 s[34:35], vcc, s[34:35]
	s_waitcnt lgkmcnt(0)
	v_add_f64 v[4:5], v[10:11], v[4:5]
	v_add_u32_e32 v27, s51, v27
	ds_write_b64 v6, v[4:5]
	s_andn2_b64 exec, exec, s[34:35]
	s_cbranch_execz .LBB34_53
.LBB34_57:                              ;   Parent Loop BB34_22 Depth=1
                                        ;     Parent Loop BB34_54 Depth=2
                                        ; =>    This Inner Loop Header: Depth=3
	s_mov_b32 s40, 0
	v_pk_mov_b32 v[8:9], 0, 0
	v_mov_b32_e32 v4, v26
	v_mov_b32_e32 v6, v25
	s_and_b64 vcc, exec, s[24:25]
	s_cbranch_vccz .LBB34_61
.LBB34_58:                              ;   in Loop: Header=BB34_57 Depth=3
	v_ashrrev_i32_e32 v5, 31, v4
	v_lshlrev_b64 v[10:11], 3, v[4:5]
	v_mov_b32_e32 v5, s21
	v_add_co_u32_e32 v10, vcc, s20, v10
	v_addc_co_u32_e32 v11, vcc, v5, v11, vcc
	global_load_dwordx2 v[10:11], v[10:11], off
	v_pk_mov_b32 v[12:13], 0, 0
	s_and_saveexec_b64 s[36:37], s[2:3]
	s_cbranch_execz .LBB34_60
; %bb.59:                               ;   in Loop: Header=BB34_57 Depth=3
	v_ashrrev_i32_e32 v7, 31, v6
	v_lshlrev_b64 v[12:13], 3, v[6:7]
	v_mov_b32_e32 v5, s21
	v_add_co_u32_e32 v12, vcc, s20, v12
	v_addc_co_u32_e32 v13, vcc, v5, v13, vcc
	global_load_dwordx2 v[12:13], v[12:13], off
.LBB34_60:                              ;   in Loop: Header=BB34_57 Depth=3
	s_or_b64 exec, exec, s[36:37]
	s_waitcnt vmcnt(0)
	v_fma_f64 v[10:11], v[10:11], v[12:13], v[8:9]
	s_branch .LBB34_65
.LBB34_61:                              ;   in Loop: Header=BB34_57 Depth=3
                                        ; implicit-def: $vgpr10_vgpr11
	s_cbranch_execz .LBB34_65
; %bb.62:                               ;   in Loop: Header=BB34_57 Depth=3
	v_add_u32_e32 v10, s40, v27
	v_ashrrev_i32_e32 v11, 31, v10
	v_lshlrev_b64 v[10:11], 3, v[10:11]
	v_mov_b32_e32 v5, s21
	v_add_co_u32_e32 v10, vcc, s20, v10
	v_addc_co_u32_e32 v11, vcc, v5, v11, vcc
	global_load_dwordx2 v[10:11], v[10:11], off
	v_pk_mov_b32 v[12:13], 0, 0
	s_and_saveexec_b64 s[36:37], s[2:3]
	s_cbranch_execz .LBB34_64
; %bb.63:                               ;   in Loop: Header=BB34_57 Depth=3
	v_add_u32_e32 v12, s40, v3
	v_ashrrev_i32_e32 v13, 31, v12
	v_lshlrev_b64 v[12:13], 3, v[12:13]
	v_mov_b32_e32 v5, s21
	v_add_co_u32_e32 v12, vcc, s20, v12
	v_addc_co_u32_e32 v13, vcc, v5, v13, vcc
	global_load_dwordx2 v[12:13], v[12:13], off
.LBB34_64:                              ;   in Loop: Header=BB34_57 Depth=3
	s_or_b64 exec, exec, s[36:37]
	s_waitcnt vmcnt(0)
	v_fmac_f64_e32 v[8:9], v[10:11], v[12:13]
	v_pk_mov_b32 v[10:11], v[8:9], v[8:9] op_sel:[0,1]
.LBB34_65:                              ;   in Loop: Header=BB34_57 Depth=3
	s_add_i32 s40, s40, 1
	v_add_u32_e32 v6, s47, v6
	s_cmp_eq_u32 s47, s40
	v_add_u32_e32 v4, s47, v4
	s_cbranch_scc1 .LBB34_56
; %bb.66:                               ;   in Loop: Header=BB34_57 Depth=3
	v_pk_mov_b32 v[8:9], v[10:11], v[10:11] op_sel:[0,1]
	s_and_b64 vcc, exec, s[24:25]
	s_cbranch_vccz .LBB34_61
	s_branch .LBB34_58
.LBB34_67:                              ;   in Loop: Header=BB34_22 Depth=1
	s_andn2_b64 vcc, exec, s[26:27]
	s_waitcnt lgkmcnt(0)
	s_cbranch_vccnz .LBB34_82
; %bb.68:                               ;   in Loop: Header=BB34_22 Depth=1
	s_mul_i32 s36, s49, s53
	s_mov_b32 s37, 0
	v_mov_b32_e32 v3, v20
	s_mov_b32 s38, s36
	s_branch .LBB34_70
.LBB34_69:                              ;   in Loop: Header=BB34_70 Depth=2
	s_or_b64 exec, exec, s[30:31]
	s_add_i32 s37, s37, 1
	s_add_i32 s38, s38, 1
	s_cmp_eq_u32 s37, s47
	v_add_u32_e32 v3, 8, v3
	s_waitcnt lgkmcnt(0)
	s_cbranch_scc1 .LBB34_82
.LBB34_70:                              ;   Parent Loop BB34_22 Depth=1
                                        ; =>  This Loop Header: Depth=2
                                        ;       Child Loop BB34_77 Depth 3
                                        ;       Child Loop BB34_81 Depth 3
	s_mul_i32 s39, s37, s47
	s_add_i32 s39, s39, s36
	s_add_i32 s30, s39, s37
	s_ashr_i32 s31, s30, 31
	s_lshl_b64 s[30:31], s[30:31], 3
	s_add_u32 s30, s20, s30
	s_addc_u32 s31, s21, s31
	global_load_dwordx2 v[6:7], v2, s[30:31]
	v_lshl_add_u32 v10, s37, 3, v23
	ds_read_b64 v[4:5], v10 offset:8448
	s_waitcnt vmcnt(0)
	v_cmp_neq_f64_e32 vcc, 0, v[6:7]
	s_or_b64 s[30:31], vcc, s[4:5]
	v_cndmask_b32_e32 v7, v24, v7, vcc
	s_xor_b64 s[34:35], s[30:31], -1
	v_cndmask_b32_e32 v6, 0, v6, vcc
	s_and_saveexec_b64 s[30:31], s[34:35]
	s_cbranch_execz .LBB34_74
; %bb.71:                               ;   in Loop: Header=BB34_70 Depth=2
	v_mbcnt_lo_u32_b32 v6, exec_lo, 0
	v_mbcnt_hi_u32_b32 v6, exec_hi, v6
	v_cmp_eq_u32_e32 vcc, 0, v6
	s_and_saveexec_b64 s[34:35], vcc
	s_cbranch_execz .LBB34_73
; %bb.72:                               ;   in Loop: Header=BB34_70 Depth=2
	v_mov_b32_e32 v6, s52
	global_atomic_smin v2, v6, s[14:15]
.LBB34_73:                              ;   in Loop: Header=BB34_70 Depth=2
	s_or_b64 exec, exec, s[34:35]
	v_mov_b32_e32 v6, 0
	v_mov_b32_e32 v7, 0x3ff00000
.LBB34_74:                              ;   in Loop: Header=BB34_70 Depth=2
	s_or_b64 exec, exec, s[30:31]
	ds_read_b64 v[8:9], v10
	s_cmp_eq_u32 s37, 0
	s_cbranch_scc1 .LBB34_79
; %bb.75:                               ;   in Loop: Header=BB34_70 Depth=2
	s_mov_b32 s34, 0
	s_mov_b32 s35, s38
	v_mov_b32_e32 v11, v19
	s_branch .LBB34_77
.LBB34_76:                              ;   in Loop: Header=BB34_77 Depth=3
	s_ashr_i32 s31, s30, 31
	s_lshl_b64 s[30:31], s[30:31], 3
	s_add_u32 s30, s20, s30
	s_addc_u32 s31, s21, s31
	global_load_dwordx2 v[12:13], v2, s[30:31]
	ds_read_b64 v[26:27], v11
	s_add_i32 s34, s34, 1
	s_add_i32 s35, s35, s47
	s_cmp_ge_u32 s34, s37
	v_add_u32_e32 v11, 8, v11
	s_waitcnt vmcnt(0) lgkmcnt(0)
	v_fmac_f64_e32 v[8:9], v[12:13], v[26:27]
	s_cbranch_scc1 .LBB34_79
.LBB34_77:                              ;   Parent Loop BB34_22 Depth=1
                                        ;     Parent Loop BB34_70 Depth=2
                                        ; =>    This Inner Loop Header: Depth=3
	s_andn2_b64 vcc, exec, s[22:23]
	s_mov_b32 s30, s35
	s_cbranch_vccnz .LBB34_76
; %bb.78:                               ;   in Loop: Header=BB34_77 Depth=3
	s_add_i32 s30, s34, s39
	s_branch .LBB34_76
.LBB34_79:                              ;   in Loop: Header=BB34_70 Depth=2
	s_waitcnt lgkmcnt(0)
	v_add_f64 v[4:5], v[4:5], -v[8:9]
	v_div_scale_f64 v[8:9], s[30:31], v[6:7], v[6:7], v[4:5]
	v_rcp_f64_e32 v[12:13], v[8:9]
	v_div_scale_f64 v[26:27], vcc, v[4:5], v[6:7], v[4:5]
	v_add_u32_e32 v10, 0x2100, v10
	v_fma_f64 v[28:29], -v[8:9], v[12:13], 1.0
	v_fmac_f64_e32 v[12:13], v[12:13], v[28:29]
	v_fma_f64 v[28:29], -v[8:9], v[12:13], 1.0
	v_fmac_f64_e32 v[12:13], v[12:13], v[28:29]
	v_mul_f64 v[28:29], v[26:27], v[12:13]
	v_fma_f64 v[8:9], -v[8:9], v[28:29], v[26:27]
	v_div_fmas_f64 v[8:9], v[8:9], v[12:13], v[28:29]
	v_div_fixup_f64 v[4:5], v[8:9], v[6:7], v[4:5]
	ds_write_b64 v10, v[4:5]
	s_waitcnt lgkmcnt(0)
	s_and_saveexec_b64 s[30:31], s[0:1]
	s_cbranch_execz .LBB34_69
; %bb.80:                               ;   in Loop: Header=BB34_70 Depth=2
	s_mov_b64 s[34:35], 0
	v_mov_b32_e32 v6, v21
	v_mov_b32_e32 v7, v3
	;; [unrolled: 1-line block ×3, first 2 shown]
.LBB34_81:                              ;   Parent Loop BB34_22 Depth=1
                                        ;     Parent Loop BB34_70 Depth=2
                                        ; =>    This Inner Loop Header: Depth=3
	ds_read_b64 v[10:11], v7
	ds_read_b64 v[12:13], v6
	v_add_u32_e32 v8, 2, v8
	v_cmp_le_i32_e32 vcc, s47, v8
	v_add_u32_e32 v7, 0x210, v7
	s_or_b64 s[34:35], vcc, s[34:35]
	s_waitcnt lgkmcnt(0)
	v_fmac_f64_e32 v[12:13], v[4:5], v[10:11]
	ds_write_b64 v6, v[12:13]
	v_add_u32_e32 v6, 16, v6
	s_andn2_b64 exec, exec, s[34:35]
	s_cbranch_execnz .LBB34_81
	s_branch .LBB34_69
.LBB34_82:                              ;   in Loop: Header=BB34_22 Depth=1
	s_and_saveexec_b64 s[30:31], s[0:1]
	s_cbranch_execz .LBB34_21
; %bb.83:                               ;   in Loop: Header=BB34_22 Depth=1
	s_mov_b64 s[34:35], 0
	v_mov_b32_e32 v3, v22
	v_mov_b32_e32 v8, v1
	s_branch .LBB34_86
.LBB34_84:                              ;   in Loop: Header=BB34_86 Depth=2
	v_ashrrev_i32_e32 v7, 31, v6
	v_lshlrev_b64 v[6:7], 3, v[6:7]
	v_mov_b32_e32 v9, s21
	v_add_co_u32_e32 v6, vcc, s20, v6
	v_addc_co_u32_e32 v7, vcc, v9, v7, vcc
	s_waitcnt lgkmcnt(0)
	global_store_dwordx2 v[6:7], v[4:5], off
.LBB34_85:                              ;   in Loop: Header=BB34_86 Depth=2
	s_or_b64 exec, exec, s[36:37]
	v_add_u32_e32 v8, 2, v8
	v_cmp_le_i32_e32 vcc, s47, v8
	s_or_b64 s[34:35], vcc, s[34:35]
	v_add_u32_e32 v3, 16, v3
	s_andn2_b64 exec, exec, s[34:35]
	s_cbranch_execz .LBB34_21
.LBB34_86:                              ;   Parent Loop BB34_22 Depth=1
                                        ; =>  This Inner Loop Header: Depth=2
	s_and_saveexec_b64 s[36:37], s[2:3]
	s_cbranch_execz .LBB34_85
; %bb.87:                               ;   in Loop: Header=BB34_86 Depth=2
	ds_read_b64 v[4:5], v3
	s_and_b64 vcc, exec, s[24:25]
	s_cbranch_vccz .LBB34_89
; %bb.88:                               ;   in Loop: Header=BB34_86 Depth=2
	v_add_u32_e32 v6, s29, v8
	v_mad_u64_u32 v[6:7], s[38:39], v6, s47, v[0:1]
	s_cbranch_execnz .LBB34_84
	s_branch .LBB34_90
.LBB34_89:                              ;   in Loop: Header=BB34_86 Depth=2
                                        ; implicit-def: $vgpr6
.LBB34_90:                              ;   in Loop: Header=BB34_86 Depth=2
	v_add_u32_e32 v6, v18, v8
	s_branch .LBB34_84
.LBB34_91:                              ;   in Loop: Header=BB34_22 Depth=1
                                        ; implicit-def: $sgpr28
                                        ; implicit-def: $vgpr18
	s_cbranch_execz .LBB34_22
.LBB34_92:
	v_cmp_gt_i32_e64 s[0:1], s47, v1
	s_and_saveexec_b64 s[4:5], s[0:1]
	s_cbranch_execz .LBB34_105
; %bb.93:
	s_mul_i32 s26, s33, s47
	v_add_u32_e32 v2, s26, v0
	s_cmp_lg_u32 s48, 0
	v_mul_lo_u32 v6, v2, s47
	v_mul_u32_u24_e32 v2, 0x108, v0
	s_movk_i32 s16, 0x2100
	s_cselect_b64 s[8:9], -1, 0
	v_cmp_gt_i32_e64 s[2:3], s47, v0
	v_add3_u32 v7, v2, v14, s16
	s_mov_b64 s[16:17], 0
	v_mov_b32_e32 v8, v1
	s_branch .LBB34_95
.LBB34_94:                              ;   in Loop: Header=BB34_95 Depth=1
	s_or_b64 exec, exec, s[22:23]
	v_add_u32_e32 v8, 2, v8
	v_cmp_le_i32_e32 vcc, s47, v8
	s_waitcnt vmcnt(0)
	ds_write_b64 v7, v[4:5]
	s_or_b64 s[16:17], vcc, s[16:17]
	v_add_u32_e32 v7, 16, v7
	s_andn2_b64 exec, exec, s[16:17]
	s_cbranch_execz .LBB34_105
.LBB34_95:                              ; =>This Inner Loop Header: Depth=1
	s_and_b64 vcc, exec, s[8:9]
	s_cbranch_vccz .LBB34_100
; %bb.96:                               ;   in Loop: Header=BB34_95 Depth=1
	s_mov_b64 s[22:23], 0
	s_mov_b64 s[18:19], 0
                                        ; implicit-def: $vgpr2
	s_and_saveexec_b64 s[24:25], s[2:3]
	s_xor_b64 s[24:25], exec, s[24:25]
; %bb.97:                               ;   in Loop: Header=BB34_95 Depth=1
	v_add_u32_e32 v2, s26, v8
	s_mov_b64 s[18:19], exec
	v_mad_u64_u32 v[2:3], s[28:29], v2, s47, v[0:1]
; %bb.98:                               ;   in Loop: Header=BB34_95 Depth=1
	s_or_b64 exec, exec, s[24:25]
	s_and_b64 vcc, exec, s[22:23]
	s_cbranch_vccnz .LBB34_101
.LBB34_99:                              ;   in Loop: Header=BB34_95 Depth=1
	v_pk_mov_b32 v[4:5], s[22:23], s[22:23] op_sel:[0,1]
	s_and_saveexec_b64 s[22:23], s[18:19]
	s_cbranch_execz .LBB34_94
	s_branch .LBB34_104
.LBB34_100:                             ;   in Loop: Header=BB34_95 Depth=1
	s_mov_b64 s[22:23], -1
	s_mov_b64 s[18:19], 0
                                        ; implicit-def: $vgpr2
	s_cbranch_execz .LBB34_99
.LBB34_101:                             ;   in Loop: Header=BB34_95 Depth=1
                                        ; implicit-def: $vgpr2
	s_and_saveexec_b64 s[22:23], s[2:3]
; %bb.102:                              ;   in Loop: Header=BB34_95 Depth=1
	v_add_u32_e32 v2, v6, v8
	s_or_b64 s[18:19], s[18:19], exec
; %bb.103:                              ;   in Loop: Header=BB34_95 Depth=1
	s_or_b64 exec, exec, s[22:23]
	s_mov_b64 s[22:23], 0
	v_pk_mov_b32 v[4:5], s[22:23], s[22:23] op_sel:[0,1]
	s_and_saveexec_b64 s[22:23], s[18:19]
	s_cbranch_execz .LBB34_94
.LBB34_104:                             ;   in Loop: Header=BB34_95 Depth=1
	v_ashrrev_i32_e32 v3, 31, v2
	v_lshlrev_b64 v[2:3], 3, v[2:3]
	v_mov_b32_e32 v4, s21
	v_add_co_u32_e32 v2, vcc, s20, v2
	v_addc_co_u32_e32 v3, vcc, v4, v3, vcc
	global_load_dwordx2 v[4:5], v[2:3], off
	s_branch .LBB34_94
.LBB34_105:
	s_or_b64 exec, exec, s[4:5]
; %bb.106:
	s_cmp_lt_i32 s47, 1
	s_waitcnt lgkmcnt(0)
	s_cbranch_scc1 .LBB34_119
; %bb.107:
	v_or_b32_e32 v2, v1, v0
	v_cmp_ne_u32_e64 s[2:3], 0, v2
	v_lshlrev_b32_e32 v2, 3, v0
	s_movk_i32 s22, 0x108
	v_mad_u32_u24 v2, v0, s22, v2
	v_mul_u32_u24_e32 v7, 0x108, v0
	s_movk_i32 s4, 0x4200
	v_add_u32_e32 v6, 0x2100, v2
	v_add_u32_e32 v8, 0x4200, v2
	v_mov_b32_e32 v2, 0x2100
	v_add3_u32 v10, v7, v14, s4
	s_mov_b32 s4, 0
	s_mov_b32 s18, 0
	s_add_i32 s19, s12, s13
	v_mad_u32_u24 v9, v1, s22, v2
	s_brev_b32 s5, 8
	v_mov_b32_e32 v11, 0x260
	v_mov_b32_e32 v12, 0x3ff00000
	;; [unrolled: 1-line block ×4, first 2 shown]
	s_branch .LBB34_109
.LBB34_108:                             ;   in Loop: Header=BB34_109 Depth=1
	s_or_b64 exec, exec, s[8:9]
	s_add_i32 s18, s18, 1
	s_cmp_eq_u32 s18, s47
	v_add_u32_e32 v9, 8, v9
	s_waitcnt lgkmcnt(0)
	s_cbranch_scc1 .LBB34_119
.LBB34_109:                             ; =>This Loop Header: Depth=1
                                        ;     Child Loop BB34_118 Depth 2
	v_cmp_eq_u32_e32 vcc, s18, v0
	s_and_saveexec_b64 s[8:9], vcc
	s_cbranch_execz .LBB34_111
; %bb.110:                              ;   in Loop: Header=BB34_109 Depth=1
	ds_read_b64 v[2:3], v6
	ds_read_b64 v[4:5], v8
	s_waitcnt lgkmcnt(0)
	v_add_f64 v[2:3], v[2:3], -v[4:5]
	v_xor_b32_e32 v4, 0x80000000, v3
	v_cmp_gt_f64_e32 vcc, 0, v[2:3]
	v_cndmask_b32_e32 v3, v3, v4, vcc
	v_cndmask_b32_e32 v2, v2, v2, vcc
	v_cmp_gt_f64_e32 vcc, s[4:5], v[2:3]
	v_cndmask_b32_e64 v4, 0, 1, vcc
	v_lshlrev_b32_e32 v4, 8, v4
	v_ldexp_f64 v[2:3], v[2:3], v4
	v_rsq_f64_e32 v[4:5], v[2:3]
	v_cndmask_b32_e32 v20, 0, v15, vcc
	v_cmp_class_f64_e32 vcc, v[2:3], v11
	v_mul_f64 v[16:17], v[2:3], v[4:5]
	v_mul_f64 v[4:5], v[4:5], 0.5
	v_fma_f64 v[18:19], -v[4:5], v[16:17], 0.5
	v_fmac_f64_e32 v[16:17], v[16:17], v[18:19]
	v_fmac_f64_e32 v[4:5], v[4:5], v[18:19]
	v_fma_f64 v[18:19], -v[16:17], v[16:17], v[2:3]
	v_fmac_f64_e32 v[16:17], v[18:19], v[4:5]
	v_fma_f64 v[18:19], -v[16:17], v[16:17], v[2:3]
	v_fmac_f64_e32 v[16:17], v[18:19], v[4:5]
	v_ldexp_f64 v[4:5], v[16:17], v20
	v_cndmask_b32_e32 v3, v5, v3, vcc
	v_cndmask_b32_e32 v2, v4, v2, vcc
	ds_write_b64 v6, v[2:3]
.LBB34_111:                             ;   in Loop: Header=BB34_109 Depth=1
	s_or_b64 exec, exec, s[8:9]
	s_lshl_b32 s8, s18, 3
	s_mul_i32 s9, s18, 0x108
	s_add_i32 s9, s9, s8
	v_mov_b32_e32 v2, s9
	s_waitcnt lgkmcnt(0)
	ds_read_b64 v[4:5], v2 offset:8448
	v_mov_b32_e32 v2, s8
	v_mad_u32_u24 v16, v0, s22, v2
	ds_read_b64 v[2:3], v16 offset:8448
	s_waitcnt lgkmcnt(1)
	v_cmp_neq_f64_e32 vcc, 0, v[4:5]
	s_or_b64 s[8:9], vcc, s[2:3]
	v_cndmask_b32_e32 v5, v12, v5, vcc
	s_xor_b64 s[16:17], s[8:9], -1
	v_cndmask_b32_e32 v4, 0, v4, vcc
	s_and_saveexec_b64 s[8:9], s[16:17]
	s_cbranch_execz .LBB34_115
; %bb.112:                              ;   in Loop: Header=BB34_109 Depth=1
	v_mbcnt_lo_u32_b32 v4, exec_lo, 0
	v_mbcnt_hi_u32_b32 v4, exec_hi, v4
	v_cmp_eq_u32_e32 vcc, 0, v4
	s_and_saveexec_b64 s[16:17], vcc
	s_cbranch_execz .LBB34_114
; %bb.113:                              ;   in Loop: Header=BB34_109 Depth=1
	v_mov_b32_e32 v4, s19
	global_atomic_smin v13, v4, s[14:15]
.LBB34_114:                             ;   in Loop: Header=BB34_109 Depth=1
	s_or_b64 exec, exec, s[16:17]
	v_mov_b32_e32 v4, 0
	v_mov_b32_e32 v5, 0x3ff00000
.LBB34_115:                             ;   in Loop: Header=BB34_109 Depth=1
	s_or_b64 exec, exec, s[8:9]
	v_cmp_lt_u32_e32 vcc, s18, v0
	s_and_saveexec_b64 s[8:9], vcc
	s_cbranch_execz .LBB34_108
; %bb.116:                              ;   in Loop: Header=BB34_109 Depth=1
	v_lshl_add_u32 v17, s18, 3, v7
	ds_read_b64 v[18:19], v17 offset:16896
	v_add_u32_e32 v24, 0x2100, v16
	s_waitcnt lgkmcnt(0)
	v_add_f64 v[2:3], v[2:3], -v[18:19]
	v_div_scale_f64 v[18:19], s[16:17], v[4:5], v[4:5], v[2:3]
	v_rcp_f64_e32 v[20:21], v[18:19]
	v_div_scale_f64 v[16:17], vcc, v[2:3], v[4:5], v[2:3]
	v_fma_f64 v[22:23], -v[18:19], v[20:21], 1.0
	v_fmac_f64_e32 v[20:21], v[20:21], v[22:23]
	v_fma_f64 v[22:23], -v[18:19], v[20:21], 1.0
	v_fmac_f64_e32 v[20:21], v[20:21], v[22:23]
	v_mul_f64 v[22:23], v[16:17], v[20:21]
	v_fma_f64 v[16:17], -v[18:19], v[22:23], v[16:17]
	v_div_fmas_f64 v[16:17], v[16:17], v[20:21], v[22:23]
	v_div_fixup_f64 v[2:3], v[16:17], v[4:5], v[2:3]
	ds_write_b64 v24, v[2:3]
	s_waitcnt lgkmcnt(0)
	s_and_b64 exec, exec, s[0:1]
	s_cbranch_execz .LBB34_108
; %bb.117:                              ;   in Loop: Header=BB34_109 Depth=1
	s_mov_b64 s[16:17], 0
	v_mov_b32_e32 v4, v10
	v_mov_b32_e32 v5, v9
	;; [unrolled: 1-line block ×3, first 2 shown]
.LBB34_118:                             ;   Parent Loop BB34_109 Depth=1
                                        ; =>  This Inner Loop Header: Depth=2
	ds_read_b64 v[18:19], v5
	ds_read_b64 v[20:21], v4
	v_add_u32_e32 v16, 2, v16
	v_cmp_le_i32_e32 vcc, s47, v16
	v_add_u32_e32 v5, 0x210, v5
	s_or_b64 s[16:17], vcc, s[16:17]
	s_waitcnt lgkmcnt(0)
	v_fmac_f64_e32 v[20:21], v[2:3], v[18:19]
	ds_write_b64 v4, v[20:21]
	v_add_u32_e32 v4, 16, v4
	s_andn2_b64 exec, exec, s[16:17]
	s_cbranch_execnz .LBB34_118
	s_branch .LBB34_108
.LBB34_119:
	s_and_saveexec_b64 s[2:3], s[0:1]
	s_cbranch_execz .LBB34_128
; %bb.120:
	s_mul_i32 s33, s33, s47
	v_add_u32_e32 v2, s33, v0
	s_cmp_lg_u32 s48, 0
	v_mul_lo_u32 v6, v2, s47
	v_mul_u32_u24_e32 v2, 0x108, v0
	s_movk_i32 s8, 0x2100
	v_cmp_gt_i32_e64 s[0:1], s47, v0
	s_cselect_b64 s[4:5], -1, 0
	v_add3_u32 v7, v2, v14, s8
	s_mov_b64 s[8:9], 0
	v_mov_b32_e32 v8, v1
	s_branch .LBB34_123
.LBB34_121:                             ;   in Loop: Header=BB34_123 Depth=1
	v_ashrrev_i32_e32 v5, 31, v4
	v_lshlrev_b64 v[4:5], 3, v[4:5]
	v_mov_b32_e32 v9, s21
	v_add_co_u32_e32 v4, vcc, s20, v4
	v_addc_co_u32_e32 v5, vcc, v9, v5, vcc
	s_waitcnt lgkmcnt(0)
	global_store_dwordx2 v[4:5], v[2:3], off
.LBB34_122:                             ;   in Loop: Header=BB34_123 Depth=1
	s_or_b64 exec, exec, s[16:17]
	v_add_u32_e32 v8, 2, v8
	v_cmp_le_i32_e32 vcc, s47, v8
	s_or_b64 s[8:9], vcc, s[8:9]
	v_add_u32_e32 v7, 16, v7
	s_andn2_b64 exec, exec, s[8:9]
	s_cbranch_execz .LBB34_128
.LBB34_123:                             ; =>This Inner Loop Header: Depth=1
	s_and_saveexec_b64 s[16:17], s[0:1]
	s_cbranch_execz .LBB34_122
; %bb.124:                              ;   in Loop: Header=BB34_123 Depth=1
	ds_read_b64 v[2:3], v7
	s_and_b64 vcc, exec, s[4:5]
	s_cbranch_vccz .LBB34_126
; %bb.125:                              ;   in Loop: Header=BB34_123 Depth=1
	v_add_u32_e32 v4, s33, v8
	v_mad_u64_u32 v[4:5], s[18:19], v4, s47, v[0:1]
	s_cbranch_execnz .LBB34_121
	s_branch .LBB34_127
.LBB34_126:                             ;   in Loop: Header=BB34_123 Depth=1
                                        ; implicit-def: $vgpr4
.LBB34_127:                             ;   in Loop: Header=BB34_123 Depth=1
	v_add_u32_e32 v4, v6, v8
	s_branch .LBB34_121
.LBB34_128:
	s_or_b64 exec, exec, s[2:3]
	v_or_b32_e32 v2, v1, v0
	v_cmp_eq_u32_e64 s[0:1], 0, v2
.LBB34_129:
	s_and_saveexec_b64 s[2:3], s[0:1]
	s_cbranch_execnz .LBB34_137
.LBB34_130:
	s_endpgm
.LBB34_131:
	s_mov_b64 s[0:1], 0
	s_cbranch_execz .LBB34_129
; %bb.132:
	v_or_b32_e32 v0, v1, v0
	v_cmp_eq_u32_e32 vcc, 0, v0
	s_and_saveexec_b64 s[2:3], vcc
	s_cbranch_execz .LBB34_136
; %bb.133:
	v_mbcnt_lo_u32_b32 v0, exec_lo, 0
	v_mbcnt_hi_u32_b32 v0, exec_hi, v0
	v_cmp_eq_u32_e32 vcc, 0, v0
	s_and_saveexec_b64 s[4:5], vcc
	s_cbranch_execz .LBB34_135
; %bb.134:
	s_add_i32 s8, s12, s13
	v_mov_b32_e32 v0, 0
	v_mov_b32_e32 v1, s8
	global_atomic_smin v0, v1, s[14:15]
.LBB34_135:
	s_or_b64 exec, exec, s[4:5]
	s_or_b64 s[0:1], s[0:1], exec
.LBB34_136:
	s_or_b64 exec, exec, s[2:3]
	s_and_saveexec_b64 s[2:3], s[0:1]
	s_cbranch_execz .LBB34_130
.LBB34_137:
	s_add_u32 s0, s10, s6
	s_addc_u32 s1, s11, s7
	v_mov_b32_e32 v0, 0
	v_mov_b32_e32 v1, 1
	s_waitcnt vmcnt(0)
	global_store_dword v0, v1, s[0:1]
	s_endpgm
	.section	.rodata,"a",@progbits
	.p2align	6, 0x0
	.amdhsa_kernel _ZN9rocsparseL19bsric0_17_32_kernelILi64ELi64ELi32EdEEv20rocsparse_direction_iiPKiS3_PT2_S3_PiS3_S6_21rocsparse_index_base_
		.amdhsa_group_segment_fixed_size 26112
		.amdhsa_private_segment_fixed_size 0
		.amdhsa_kernarg_size 76
		.amdhsa_user_sgpr_count 6
		.amdhsa_user_sgpr_private_segment_buffer 1
		.amdhsa_user_sgpr_dispatch_ptr 0
		.amdhsa_user_sgpr_queue_ptr 0
		.amdhsa_user_sgpr_kernarg_segment_ptr 1
		.amdhsa_user_sgpr_dispatch_id 0
		.amdhsa_user_sgpr_flat_scratch_init 0
		.amdhsa_user_sgpr_kernarg_preload_length 0
		.amdhsa_user_sgpr_kernarg_preload_offset 0
		.amdhsa_user_sgpr_private_segment_size 0
		.amdhsa_uses_dynamic_stack 0
		.amdhsa_system_sgpr_private_segment_wavefront_offset 0
		.amdhsa_system_sgpr_workgroup_id_x 1
		.amdhsa_system_sgpr_workgroup_id_y 0
		.amdhsa_system_sgpr_workgroup_id_z 0
		.amdhsa_system_sgpr_workgroup_info 0
		.amdhsa_system_vgpr_workitem_id 1
		.amdhsa_next_free_vgpr 70
		.amdhsa_next_free_sgpr 56
		.amdhsa_accum_offset 72
		.amdhsa_reserve_vcc 1
		.amdhsa_reserve_flat_scratch 0
		.amdhsa_float_round_mode_32 0
		.amdhsa_float_round_mode_16_64 0
		.amdhsa_float_denorm_mode_32 3
		.amdhsa_float_denorm_mode_16_64 3
		.amdhsa_dx10_clamp 1
		.amdhsa_ieee_mode 1
		.amdhsa_fp16_overflow 0
		.amdhsa_tg_split 0
		.amdhsa_exception_fp_ieee_invalid_op 0
		.amdhsa_exception_fp_denorm_src 0
		.amdhsa_exception_fp_ieee_div_zero 0
		.amdhsa_exception_fp_ieee_overflow 0
		.amdhsa_exception_fp_ieee_underflow 0
		.amdhsa_exception_fp_ieee_inexact 0
		.amdhsa_exception_int_div_zero 0
	.end_amdhsa_kernel
	.section	.text._ZN9rocsparseL19bsric0_17_32_kernelILi64ELi64ELi32EdEEv20rocsparse_direction_iiPKiS3_PT2_S3_PiS3_S6_21rocsparse_index_base_,"axG",@progbits,_ZN9rocsparseL19bsric0_17_32_kernelILi64ELi64ELi32EdEEv20rocsparse_direction_iiPKiS3_PT2_S3_PiS3_S6_21rocsparse_index_base_,comdat
.Lfunc_end34:
	.size	_ZN9rocsparseL19bsric0_17_32_kernelILi64ELi64ELi32EdEEv20rocsparse_direction_iiPKiS3_PT2_S3_PiS3_S6_21rocsparse_index_base_, .Lfunc_end34-_ZN9rocsparseL19bsric0_17_32_kernelILi64ELi64ELi32EdEEv20rocsparse_direction_iiPKiS3_PT2_S3_PiS3_S6_21rocsparse_index_base_
                                        ; -- End function
	.section	.AMDGPU.csdata,"",@progbits
; Kernel info:
; codeLenInByte = 5204
; NumSgprs: 60
; NumVgprs: 70
; NumAgprs: 0
; TotalNumVgprs: 70
; ScratchSize: 0
; MemoryBound: 0
; FloatMode: 240
; IeeeMode: 1
; LDSByteSize: 26112 bytes/workgroup (compile time only)
; SGPRBlocks: 7
; VGPRBlocks: 8
; NumSGPRsForWavesPerEU: 60
; NumVGPRsForWavesPerEU: 70
; AccumOffset: 72
; Occupancy: 1
; WaveLimiterHint : 1
; COMPUTE_PGM_RSRC2:SCRATCH_EN: 0
; COMPUTE_PGM_RSRC2:USER_SGPR: 6
; COMPUTE_PGM_RSRC2:TRAP_HANDLER: 0
; COMPUTE_PGM_RSRC2:TGID_X_EN: 1
; COMPUTE_PGM_RSRC2:TGID_Y_EN: 0
; COMPUTE_PGM_RSRC2:TGID_Z_EN: 0
; COMPUTE_PGM_RSRC2:TIDIG_COMP_CNT: 1
; COMPUTE_PGM_RSRC3_GFX90A:ACCUM_OFFSET: 17
; COMPUTE_PGM_RSRC3_GFX90A:TG_SPLIT: 0
	.section	.text._ZN9rocsparseL17bsric0_2_8_kernelILi64ELi128ELi8EdEEv20rocsparse_direction_iiPKiS3_PT2_S3_PiS3_S6_21rocsparse_index_base_,"axG",@progbits,_ZN9rocsparseL17bsric0_2_8_kernelILi64ELi128ELi8EdEEv20rocsparse_direction_iiPKiS3_PT2_S3_PiS3_S6_21rocsparse_index_base_,comdat
	.globl	_ZN9rocsparseL17bsric0_2_8_kernelILi64ELi128ELi8EdEEv20rocsparse_direction_iiPKiS3_PT2_S3_PiS3_S6_21rocsparse_index_base_ ; -- Begin function _ZN9rocsparseL17bsric0_2_8_kernelILi64ELi128ELi8EdEEv20rocsparse_direction_iiPKiS3_PT2_S3_PiS3_S6_21rocsparse_index_base_
	.p2align	8
	.type	_ZN9rocsparseL17bsric0_2_8_kernelILi64ELi128ELi8EdEEv20rocsparse_direction_iiPKiS3_PT2_S3_PiS3_S6_21rocsparse_index_base_,@function
_ZN9rocsparseL17bsric0_2_8_kernelILi64ELi128ELi8EdEEv20rocsparse_direction_iiPKiS3_PT2_S3_PiS3_S6_21rocsparse_index_base_: ; @_ZN9rocsparseL17bsric0_2_8_kernelILi64ELi128ELi8EdEEv20rocsparse_direction_iiPKiS3_PT2_S3_PiS3_S6_21rocsparse_index_base_
; %bb.0:
	s_load_dwordx8 s[8:15], s[4:5], 0x28
	s_mov_b32 s7, 0
	s_lshl_b64 s[0:1], s[6:7], 2
	v_and_b32_e32 v14, 0x3ff, v0
	v_bfe_u32 v15, v0, 10, 10
	s_waitcnt lgkmcnt(0)
	s_add_u32 s0, s12, s0
	s_addc_u32 s1, s13, s1
	s_load_dword s12, s[0:1], 0x0
	s_waitcnt lgkmcnt(0)
	s_ashr_i32 s13, s12, 31
	s_lshl_b64 s[6:7], s[12:13], 2
	s_add_u32 s0, s8, s6
	s_addc_u32 s1, s9, s7
	s_load_dword s33, s[0:1], 0x0
	s_load_dword s13, s[4:5], 0x48
	s_waitcnt lgkmcnt(0)
	s_cmp_lg_u32 s33, -1
	s_cbranch_scc0 .LBB35_106
; %bb.1:
	s_load_dwordx4 s[16:19], s[4:5], 0x10
	s_load_dwordx2 s[20:21], s[4:5], 0x20
	v_lshlrev_b32_e32 v16, 3, v15
	v_add_u32_e32 v1, v16, v14
	s_waitcnt lgkmcnt(0)
	s_add_u32 s0, s16, s6
	s_addc_u32 s1, s17, s7
	s_load_dword s26, s[0:1], 0x0
	s_waitcnt lgkmcnt(0)
	s_sub_i32 s44, s26, s13
	v_add_u32_e32 v0, s44, v1
	v_cmp_ge_i32_e32 vcc, s33, v0
	s_and_saveexec_b64 s[0:1], vcc
	s_cbranch_execz .LBB35_14
; %bb.2:
	v_add_u32_e32 v1, s26, v1
	v_subrev_u32_e32 v1, s13, v1
	v_add_u32_e32 v1, 64, v1
	s_add_i32 s2, s33, 1
	v_max_i32_e32 v1, s2, v1
	v_not_b32_e32 v2, v14
	v_add3_u32 v1, v1, s13, v2
	v_add_u32_e32 v2, s26, v16
	v_sub_u32_e32 v1, v1, v2
	v_cmp_lt_u32_e32 vcc, 63, v1
	s_mov_b64 s[22:23], -1
	s_and_saveexec_b64 s[2:3], vcc
	s_cbranch_execz .LBB35_11
; %bb.3:
	v_lshrrev_b32_e32 v12, 6, v1
	v_add_u32_e32 v2, -1, v12
	v_add_u32_e32 v1, 64, v0
	v_lshrrev_b32_e32 v3, 1, v2
	v_add_u32_e32 v13, 1, v3
	v_cmp_lt_u32_e32 vcc, 13, v2
	v_pk_mov_b32 v[2:3], v[0:1], v[0:1] op_sel:[0,1]
	s_and_saveexec_b64 s[22:23], vcc
	s_cbranch_execz .LBB35_7
; %bb.4:
	v_and_b32_e32 v17, -8, v13
	s_mov_b64 s[24:25], 0
	v_mov_b32_e32 v18, s19
	v_pk_mov_b32 v[2:3], v[0:1], v[0:1] op_sel:[0,1]
.LBB35_5:                               ; =>This Inner Loop Header: Depth=1
	v_ashrrev_i32_e32 v23, 31, v2
	v_mov_b32_e32 v22, v2
	v_lshlrev_b64 v[22:23], 2, v[22:23]
	v_ashrrev_i32_e32 v21, 31, v3
	v_mov_b32_e32 v20, v3
	v_add_co_u32_e32 v22, vcc, s18, v22
	v_add_u32_e32 v4, 0x80, v2
	v_lshlrev_b64 v[20:21], 2, v[20:21]
	v_addc_co_u32_e32 v23, vcc, v18, v23, vcc
	v_ashrrev_i32_e32 v5, 31, v4
	v_add_co_u32_e32 v20, vcc, s18, v20
	v_add_u32_e32 v6, 0x80, v3
	v_addc_co_u32_e32 v21, vcc, v18, v21, vcc
	v_lshlrev_b64 v[44:45], 2, v[4:5]
	v_ashrrev_i32_e32 v7, 31, v6
	global_load_dword v1, v[22:23], off
	global_load_dword v5, v[20:21], off
	v_add_co_u32_e32 v20, vcc, s18, v44
	v_add_u32_e32 v8, 0x100, v2
	v_lshlrev_b64 v[46:47], 2, v[6:7]
	v_addc_co_u32_e32 v21, vcc, v18, v45, vcc
	v_ashrrev_i32_e32 v9, 31, v8
	v_add_co_u32_e32 v22, vcc, s18, v46
	v_add_u32_e32 v10, 0x100, v3
	v_lshlrev_b64 v[48:49], 2, v[8:9]
	v_addc_co_u32_e32 v23, vcc, v18, v47, vcc
	v_ashrrev_i32_e32 v11, 31, v10
	;; [unrolled: 5-line block ×12, first 2 shown]
	v_add_co_u32_e32 v64, vcc, s18, v68
	v_lshlrev_b64 v[70:71], 2, v[42:43]
	v_addc_co_u32_e32 v65, vcc, v18, v69, vcc
	v_add_co_u32_e32 v66, vcc, s18, v70
	v_addc_co_u32_e32 v67, vcc, v18, v71, vcc
	global_load_dword v7, v[22:23], off
	global_load_dword v9, v[20:21], off
	;; [unrolled: 1-line block ×14, first 2 shown]
	v_subrev_u32_e32 v21, s44, v2
	v_add_u32_e32 v17, -8, v17
	v_subrev_u32_e32 v20, s44, v3
	v_lshlrev_b32_e32 v21, 2, v21
	v_subrev_u32_e32 v4, s44, v4
	v_cmp_eq_u32_e32 vcc, 0, v17
	s_waitcnt vmcnt(14)
	v_subrev_u32_e32 v5, s13, v5
	v_subrev_u32_e32 v1, s13, v1
	v_add_u32_e32 v3, 0x400, v3
	v_add_u32_e32 v2, 0x400, v2
	v_lshlrev_b32_e32 v20, 2, v20
	v_subrev_u32_e32 v6, s44, v6
	v_subrev_u32_e32 v10, s44, v10
	;; [unrolled: 1-line block ×13, first 2 shown]
	v_lshlrev_b32_e32 v4, 2, v4
	s_or_b64 s[24:25], vcc, s[24:25]
	ds_write_b32 v21, v1 offset:3328
	ds_write_b32 v20, v5 offset:3328
	v_lshlrev_b32_e32 v6, 2, v6
	v_lshlrev_b32_e32 v8, 2, v8
	;; [unrolled: 1-line block ×13, first 2 shown]
	s_waitcnt vmcnt(13)
	v_subrev_u32_e32 v1, s13, v7
	s_waitcnt vmcnt(12)
	v_subrev_u32_e32 v5, s13, v9
	;; [unrolled: 2-line block ×14, first 2 shown]
	ds_write_b32 v4, v5 offset:3328
	ds_write_b32 v6, v1 offset:3328
	;; [unrolled: 1-line block ×14, first 2 shown]
	s_andn2_b64 exec, exec, s[24:25]
	s_cbranch_execnz .LBB35_5
; %bb.6:
	s_or_b64 exec, exec, s[24:25]
.LBB35_7:
	s_or_b64 exec, exec, s[22:23]
	v_and_b32_e32 v1, 7, v13
	v_cmp_ne_u32_e32 vcc, 0, v1
	s_and_saveexec_b64 s[22:23], vcc
	s_cbranch_execz .LBB35_10
; %bb.8:
	s_mov_b64 s[24:25], 0
	v_mov_b32_e32 v4, s19
.LBB35_9:                               ; =>This Inner Loop Header: Depth=1
	v_ashrrev_i32_e32 v9, 31, v2
	v_mov_b32_e32 v8, v2
	v_lshlrev_b64 v[8:9], 2, v[8:9]
	v_ashrrev_i32_e32 v7, 31, v3
	v_mov_b32_e32 v6, v3
	v_add_co_u32_e32 v8, vcc, s18, v8
	v_lshlrev_b64 v[6:7], 2, v[6:7]
	v_addc_co_u32_e32 v9, vcc, v4, v9, vcc
	v_add_co_u32_e32 v6, vcc, s18, v6
	v_addc_co_u32_e32 v7, vcc, v4, v7, vcc
	global_load_dword v5, v[6:7], off
	global_load_dword v10, v[8:9], off
	v_add_u32_e32 v1, -1, v1
	v_subrev_u32_e32 v7, s44, v2
	v_cmp_eq_u32_e32 vcc, 0, v1
	v_subrev_u32_e32 v6, s44, v3
	v_add_u32_e32 v3, 0x80, v3
	v_add_u32_e32 v2, 0x80, v2
	v_lshlrev_b32_e32 v7, 2, v7
	s_or_b64 s[24:25], vcc, s[24:25]
	v_lshlrev_b32_e32 v6, 2, v6
	s_waitcnt vmcnt(1)
	v_subrev_u32_e32 v5, s13, v5
	s_waitcnt vmcnt(0)
	v_subrev_u32_e32 v8, s13, v10
	ds_write_b32 v7, v8 offset:3328
	ds_write_b32 v6, v5 offset:3328
	s_andn2_b64 exec, exec, s[24:25]
	s_cbranch_execnz .LBB35_9
.LBB35_10:
	s_or_b64 exec, exec, s[22:23]
	v_add_u32_e32 v1, 1, v12
	v_and_b32_e32 v2, 0x7fffffe, v1
	v_cmp_ne_u32_e32 vcc, v1, v2
	v_lshl_add_u32 v0, v2, 6, v0
	s_orn2_b64 s[22:23], vcc, exec
.LBB35_11:
	s_or_b64 exec, exec, s[2:3]
	s_and_b64 exec, exec, s[22:23]
	s_cbranch_execz .LBB35_14
; %bb.12:
	v_add_u32_e32 v1, s13, v0
	v_subrev_u32_e32 v1, s26, v1
	v_mov_b32_e32 v2, 0xd00
	v_lshl_add_u32 v4, v1, 2, v2
	v_ashrrev_i32_e32 v1, 31, v0
	v_lshlrev_b64 v[2:3], 2, v[0:1]
	v_mov_b32_e32 v1, s19
	v_add_co_u32_e32 v2, vcc, s18, v2
	v_addc_co_u32_e32 v3, vcc, v1, v3, vcc
	s_mov_b64 s[2:3], 0
.LBB35_13:                              ; =>This Inner Loop Header: Depth=1
	global_load_dword v1, v[2:3], off
	v_add_co_u32_e32 v2, vcc, 0x100, v2
	v_add_u32_e32 v0, 64, v0
	v_addc_co_u32_e32 v3, vcc, 0, v3, vcc
	v_cmp_lt_i32_e32 vcc, s33, v0
	s_or_b64 s[2:3], vcc, s[2:3]
	s_waitcnt vmcnt(0)
	v_subrev_u32_e32 v1, s13, v1
	ds_write_b32 v4, v1
	v_add_u32_e32 v4, 0x100, v4
	s_andn2_b64 exec, exec, s[2:3]
	s_cbranch_execnz .LBB35_13
.LBB35_14:
	s_or_b64 exec, exec, s[0:1]
	s_load_dword s46, s[4:5], 0x0
	s_load_dword s45, s[4:5], 0x8
	v_lshlrev_b32_e32 v17, 3, v14
	s_movk_i32 s47, 0x48
	v_mad_u32_u24 v18, v15, s47, v17
	v_mov_b32_e32 v0, 0
	v_add_u32_e32 v3, 0x6c0, v18
	v_mov_b32_e32 v1, v0
	s_cmp_ge_i32 s44, s33
	ds_write_b64 v18, v[0:1] offset:1728
	s_waitcnt lgkmcnt(0)
	s_cbranch_scc1 .LBB35_84
; %bb.15:
	s_cmp_eq_u32 s46, 0
	s_cselect_b64 vcc, -1, 0
	s_cmp_lg_u32 s46, 0
	v_cmp_gt_i32_e64 s[0:1], s45, v14
	v_cmp_gt_i32_e64 s[2:3], s45, v15
	s_cselect_b64 s[22:23], -1, 0
	s_and_b64 s[24:25], s[0:1], s[2:3]
	s_cmp_gt_i32 s45, 0
	s_cselect_b64 s[26:27], -1, 0
	s_cmp_lg_u32 s45, 1
	v_mov_b32_e32 v1, 0x480
	s_cselect_b64 s[28:29], -1, 0
	s_and_b32 s49, s45, 0x7ffffffe
	v_mad_u32_u24 v1, v15, s47, v1
	v_or_b32_e32 v2, v14, v15
	s_bitcmp1_b32 s45, 0
	v_add_u32_e32 v19, v1, v17
	s_mul_i32 s48, s45, s45
	v_mul_lo_u32 v20, v14, s45
	v_mul_lo_u32 v21, v15, s45
	v_add_u32_e32 v22, 0x240, v18
	v_cmp_ne_u32_e64 s[4:5], 0, v2
	v_cndmask_b32_e32 v2, v15, v14, vcc
	v_cndmask_b32_e32 v23, v14, v15, vcc
	s_cselect_b64 s[30:31], -1, 0
	v_mov_b32_e32 v24, 0x3ff00000
	s_mov_b32 s34, s44
	s_branch .LBB35_18
.LBB35_16:                              ;   in Loop: Header=BB35_18 Depth=1
	s_or_b64 exec, exec, s[36:37]
	s_add_i32 s34, s34, 1
	s_cmp_ge_i32 s34, s33
	s_cselect_b64 s[40:41], -1, 0
	s_waitcnt vmcnt(0)
	buffer_wbinvl1_vol
.LBB35_17:                              ;   in Loop: Header=BB35_18 Depth=1
	s_and_b64 vcc, exec, s[40:41]
	s_cbranch_vccnz .LBB35_84
.LBB35_18:                              ; =>This Loop Header: Depth=1
                                        ;     Child Loop BB35_23 Depth 2
                                        ;     Child Loop BB35_34 Depth 2
	;; [unrolled: 1-line block ×3, first 2 shown]
                                        ;       Child Loop BB35_65 Depth 3
                                        ;       Child Loop BB35_71 Depth 3
                                        ;     Child Loop BB35_80 Depth 2
	s_ashr_i32 s35, s34, 31
	s_lshl_b64 s[36:37], s[34:35], 2
	s_add_u32 s36, s18, s36
	s_addc_u32 s37, s19, s37
	s_load_dword s35, s[36:37], 0x0
	s_waitcnt lgkmcnt(0)
	s_sub_i32 s38, s35, s13
	s_ashr_i32 s39, s38, 31
	s_lshl_b64 s[36:37], s[38:39], 2
	s_add_u32 s40, s8, s36
	s_addc_u32 s41, s9, s37
	s_load_dword s39, s[40:41], 0x0
	s_mov_b64 s[40:41], -1
	s_waitcnt lgkmcnt(0)
	s_cmp_eq_u32 s39, -1
	s_cbranch_scc1 .LBB35_17
; %bb.19:                               ;   in Loop: Header=BB35_18 Depth=1
	s_add_u32 s40, s16, s36
	s_addc_u32 s41, s17, s37
	v_pk_mov_b32 v[4:5], 0, 0
	s_and_saveexec_b64 s[42:43], s[24:25]
	s_cbranch_execz .LBB35_21
; %bb.20:                               ;   in Loop: Header=BB35_18 Depth=1
	s_mul_i32 s50, s34, s45
	v_add_u32_e32 v4, s50, v23
	v_mad_u64_u32 v[4:5], s[50:51], v4, s45, v[2:3]
	v_ashrrev_i32_e32 v5, 31, v4
	v_lshlrev_b64 v[4:5], 3, v[4:5]
	v_mov_b32_e32 v6, s21
	v_add_co_u32_e32 v4, vcc, s20, v4
	v_addc_co_u32_e32 v5, vcc, v6, v5, vcc
	global_load_dwordx2 v[4:5], v[4:5], off
.LBB35_21:                              ;   in Loop: Header=BB35_18 Depth=1
	s_or_b64 exec, exec, s[42:43]
	s_load_dword s40, s[40:41], 0x0
	ds_read_b32 v6, v0 offset:3328
	s_mov_b32 s41, 0
	s_waitcnt vmcnt(0)
	ds_write_b64 v19, v[4:5]
	s_waitcnt lgkmcnt(0)
	s_sub_i32 s40, s40, s13
	s_cmp_le_i32 s40, s39
	v_cmp_ge_i32_e32 vcc, s38, v6
	s_cselect_b64 s[42:43], -1, 0
	s_and_b64 s[42:43], s[42:43], vcc
	s_andn2_b64 vcc, exec, s[42:43]
	s_cbranch_vccnz .LBB35_33
; %bb.22:                               ;   in Loop: Header=BB35_18 Depth=1
	s_mov_b32 s50, 0
	s_mov_b32 s51, 0
.LBB35_23:                              ;   Parent Loop BB35_18 Depth=1
                                        ; =>  This Inner Loop Header: Depth=2
	s_ashr_i32 s41, s40, 31
	s_lshl_b64 s[42:43], s[40:41], 2
	s_add_u32 s42, s18, s42
	s_addc_u32 s43, s19, s43
	s_load_dword s41, s[42:43], 0x0
	s_lshl_b32 s42, s51, 2
	v_mov_b32_e32 v4, s42
	ds_read_b32 v4, v4 offset:3328
	s_mov_b64 s[42:43], -1
	s_waitcnt lgkmcnt(0)
	s_sub_i32 s55, s41, s13
                                        ; implicit-def: $sgpr41
                                        ; implicit-def: $sgpr54
                                        ; implicit-def: $sgpr53
	v_cmp_ge_i32_e32 vcc, s55, v4
	v_readfirstlane_b32 s52, v4
	s_cbranch_vccz .LBB35_29
; %bb.24:                               ;   in Loop: Header=BB35_23 Depth=2
	s_cmp_le_i32 s55, s52
                                        ; implicit-def: $sgpr41
                                        ; implicit-def: $sgpr54
                                        ; implicit-def: $sgpr53
	s_cbranch_scc0 .LBB35_26
; %bb.25:                               ;   in Loop: Header=BB35_23 Depth=2
	s_add_i32 s41, s51, s44
	s_mul_i32 s41, s41, s48
	s_lshl_b32 s42, s50, 2
	v_mov_b32_e32 v5, s41
	s_mul_i32 s41, s40, s48
	v_mov_b32_e32 v4, s42
	v_mov_b32_e32 v6, s41
	ds_write2st64_b32 v4, v6, v5 offset0:9 offset1:11
	s_add_i32 s53, s51, 1
	s_add_i32 s54, s40, 1
	;; [unrolled: 1-line block ×3, first 2 shown]
	s_mov_b64 s[42:43], 0
.LBB35_26:                              ;   in Loop: Header=BB35_23 Depth=2
	s_andn2_b64 vcc, exec, s[42:43]
	s_cbranch_vccnz .LBB35_28
; %bb.27:                               ;   in Loop: Header=BB35_23 Depth=2
	s_add_i32 s53, s51, 1
	s_mov_b32 s41, s50
	s_mov_b32 s54, s40
.LBB35_28:                              ;   in Loop: Header=BB35_23 Depth=2
	s_mov_b64 s[42:43], 0
.LBB35_29:                              ;   in Loop: Header=BB35_23 Depth=2
	s_andn2_b64 vcc, exec, s[42:43]
	s_cbranch_vccnz .LBB35_31
; %bb.30:                               ;   in Loop: Header=BB35_23 Depth=2
	s_add_i32 s54, s40, 1
	s_mov_b32 s53, s51
	s_mov_b32 s41, s50
.LBB35_31:                              ;   in Loop: Header=BB35_23 Depth=2
	s_cmp_le_i32 s54, s39
	s_cselect_b64 s[42:43], -1, 0
	s_cmp_le_i32 s52, s38
	s_cselect_b64 s[50:51], -1, 0
	s_and_b64 s[42:43], s[42:43], s[50:51]
	s_and_b64 vcc, exec, s[42:43]
	s_cbranch_vccz .LBB35_33
; %bb.32:                               ;   in Loop: Header=BB35_23 Depth=2
	s_mov_b32 s50, s41
	s_mov_b32 s40, s54
	;; [unrolled: 1-line block ×3, first 2 shown]
	s_branch .LBB35_23
.LBB35_33:                              ;   in Loop: Header=BB35_18 Depth=1
	s_add_u32 s36, s10, s36
	s_addc_u32 s37, s11, s37
	s_waitcnt lgkmcnt(0)
.LBB35_34:                              ;   Parent Loop BB35_18 Depth=1
                                        ; =>  This Inner Loop Header: Depth=2
	global_load_dword v4, v0, s[36:37] glc
	s_waitcnt vmcnt(0)
	v_cmp_eq_u32_e32 vcc, 0, v4
	s_cbranch_vccnz .LBB35_34
; %bb.35:                               ;   in Loop: Header=BB35_18 Depth=1
	v_pk_mov_b32 v[10:11], 0, 0
	v_pk_mov_b32 v[4:5], v[10:11], v[10:11] op_sel:[0,1]
	buffer_wbinvl1_vol
	s_and_saveexec_b64 s[36:37], s[24:25]
	s_cbranch_execz .LBB35_37
; %bb.36:                               ;   in Loop: Header=BB35_18 Depth=1
	s_mul_i32 s39, s39, s45
	v_add_u32_e32 v4, s39, v23
	v_mad_u64_u32 v[4:5], s[38:39], v4, s45, v[2:3]
	v_ashrrev_i32_e32 v5, 31, v4
	v_lshlrev_b64 v[4:5], 3, v[4:5]
	v_mov_b32_e32 v6, s21
	v_add_co_u32_e32 v4, vcc, s20, v4
	v_addc_co_u32_e32 v5, vcc, v6, v5, vcc
	global_load_dwordx2 v[4:5], v[4:5], off
.LBB35_37:                              ;   in Loop: Header=BB35_18 Depth=1
	s_or_b64 exec, exec, s[36:37]
	s_cmp_lt_i32 s41, 2
	s_waitcnt vmcnt(0)
	ds_write_b64 v18, v[4:5]
	s_waitcnt lgkmcnt(0)
	s_cbranch_scc1 .LBB35_56
; %bb.38:                               ;   in Loop: Header=BB35_18 Depth=1
	s_add_i32 s38, s41, -2
	s_mov_b32 s39, 0
	v_pk_mov_b32 v[4:5], 0, 0
	s_andn2_b64 vcc, exec, s[26:27]
	s_cbranch_vccnz .LBB35_53
.LBB35_39:                              ;   in Loop: Header=BB35_18 Depth=1
	s_lshl_b32 s36, s39, 2
	v_mov_b32_e32 v6, s36
	ds_read2st64_b32 v[8:9], v6 offset0:9 offset1:11
	s_mov_b32 s40, 0
	s_waitcnt lgkmcnt(0)
	v_add_u32_e32 v25, v8, v20
	v_add_u32_e32 v26, v9, v21
	v_add_u32_e32 v6, v15, v9
	v_add_u32_e32 v8, v14, v8
	s_and_b64 vcc, exec, s[22:23]
	s_cbranch_vccz .LBB35_45
.LBB35_40:                              ;   in Loop: Header=BB35_18 Depth=1
	v_pk_mov_b32 v[10:11], 0, 0
	v_pk_mov_b32 v[12:13], v[10:11], v[10:11] op_sel:[0,1]
	s_and_saveexec_b64 s[36:37], s[0:1]
	s_cbranch_execz .LBB35_42
; %bb.41:                               ;   in Loop: Header=BB35_18 Depth=1
	v_ashrrev_i32_e32 v9, 31, v8
	v_lshlrev_b64 v[12:13], 3, v[8:9]
	v_mov_b32_e32 v7, s21
	v_add_co_u32_e32 v12, vcc, s20, v12
	v_addc_co_u32_e32 v13, vcc, v7, v13, vcc
	global_load_dwordx2 v[12:13], v[12:13], off
.LBB35_42:                              ;   in Loop: Header=BB35_18 Depth=1
	s_or_b64 exec, exec, s[36:37]
	s_and_saveexec_b64 s[36:37], s[2:3]
	s_cbranch_execz .LBB35_44
; %bb.43:                               ;   in Loop: Header=BB35_18 Depth=1
	v_ashrrev_i32_e32 v7, 31, v6
	v_lshlrev_b64 v[10:11], 3, v[6:7]
	v_mov_b32_e32 v7, s21
	v_add_co_u32_e32 v10, vcc, s20, v10
	v_addc_co_u32_e32 v11, vcc, v7, v11, vcc
	global_load_dwordx2 v[10:11], v[10:11], off
.LBB35_44:                              ;   in Loop: Header=BB35_18 Depth=1
	s_or_b64 exec, exec, s[36:37]
	s_waitcnt vmcnt(0)
	v_fma_f64 v[10:11], v[12:13], v[10:11], v[4:5]
	s_branch .LBB35_51
.LBB35_45:                              ;   in Loop: Header=BB35_18 Depth=1
                                        ; implicit-def: $vgpr10_vgpr11
	s_cbranch_execz .LBB35_51
; %bb.46:                               ;   in Loop: Header=BB35_18 Depth=1
	v_pk_mov_b32 v[10:11], 0, 0
	v_pk_mov_b32 v[12:13], v[10:11], v[10:11] op_sel:[0,1]
	s_and_saveexec_b64 s[36:37], s[0:1]
	s_cbranch_execz .LBB35_48
; %bb.47:                               ;   in Loop: Header=BB35_18 Depth=1
	v_add_u32_e32 v12, s40, v25
	v_ashrrev_i32_e32 v13, 31, v12
	v_lshlrev_b64 v[12:13], 3, v[12:13]
	v_mov_b32_e32 v7, s21
	v_add_co_u32_e32 v12, vcc, s20, v12
	v_addc_co_u32_e32 v13, vcc, v7, v13, vcc
	global_load_dwordx2 v[12:13], v[12:13], off
.LBB35_48:                              ;   in Loop: Header=BB35_18 Depth=1
	s_or_b64 exec, exec, s[36:37]
	s_and_saveexec_b64 s[36:37], s[2:3]
	s_cbranch_execz .LBB35_50
; %bb.49:                               ;   in Loop: Header=BB35_18 Depth=1
	v_add_u32_e32 v10, s40, v26
	v_ashrrev_i32_e32 v11, 31, v10
	v_lshlrev_b64 v[10:11], 3, v[10:11]
	v_mov_b32_e32 v7, s21
	v_add_co_u32_e32 v10, vcc, s20, v10
	v_addc_co_u32_e32 v11, vcc, v7, v11, vcc
	global_load_dwordx2 v[10:11], v[10:11], off
.LBB35_50:                              ;   in Loop: Header=BB35_18 Depth=1
	s_or_b64 exec, exec, s[36:37]
	s_waitcnt vmcnt(0)
	v_fmac_f64_e32 v[4:5], v[12:13], v[10:11]
	v_pk_mov_b32 v[10:11], v[4:5], v[4:5] op_sel:[0,1]
.LBB35_51:                              ;   in Loop: Header=BB35_18 Depth=1
	s_add_i32 s40, s40, 1
	v_add_u32_e32 v6, s45, v6
	s_cmp_eq_u32 s45, s40
	v_add_u32_e32 v8, s45, v8
	s_cbranch_scc1 .LBB35_54
; %bb.52:                               ;   in Loop: Header=BB35_18 Depth=1
	v_pk_mov_b32 v[4:5], v[10:11], v[10:11] op_sel:[0,1]
	s_and_b64 vcc, exec, s[22:23]
	s_cbranch_vccz .LBB35_45
	s_branch .LBB35_40
.LBB35_53:                              ;   in Loop: Header=BB35_18 Depth=1
	v_pk_mov_b32 v[10:11], v[4:5], v[4:5] op_sel:[0,1]
.LBB35_54:                              ;   in Loop: Header=BB35_18 Depth=1
	s_add_i32 s36, s39, 1
	s_cmp_eq_u32 s39, s38
	s_cbranch_scc1 .LBB35_56
; %bb.55:                               ;   in Loop: Header=BB35_18 Depth=1
	v_pk_mov_b32 v[4:5], v[10:11], v[10:11] op_sel:[0,1]
	s_mov_b32 s39, s36
	s_andn2_b64 vcc, exec, s[26:27]
	s_cbranch_vccz .LBB35_39
	s_branch .LBB35_53
.LBB35_56:                              ;   in Loop: Header=BB35_18 Depth=1
	s_andn2_b64 vcc, exec, s[26:27]
	ds_write_b64 v22, v[10:11]
	s_waitcnt lgkmcnt(0)
	s_cbranch_vccnz .LBB35_82
; %bb.57:                               ;   in Loop: Header=BB35_18 Depth=1
	s_andn2_b64 vcc, exec, s[28:29]
	s_mov_b32 s42, 0
	s_cbranch_vccnz .LBB35_73
; %bb.58:                               ;   in Loop: Header=BB35_18 Depth=1
	s_mov_b32 s40, 0
	s_mov_b32 s41, 0
.LBB35_59:                              ;   Parent Loop BB35_18 Depth=1
                                        ; =>  This Loop Header: Depth=2
                                        ;       Child Loop BB35_65 Depth 3
                                        ;       Child Loop BB35_71 Depth 3
	s_lshl_b32 s36, s41, 3
	s_mul_i32 s37, s41, 0x48
	s_add_i32 s42, s36, s37
	v_mov_b32_e32 v4, s42
	ds_read_b64 v[6:7], v4
	v_mov_b32_e32 v4, s36
	v_mad_u32_u24 v10, v15, s47, v4
	ds_read_b64 v[4:5], v10 offset:1152
	s_waitcnt lgkmcnt(1)
	v_cmp_neq_f64_e32 vcc, 0, v[6:7]
	s_or_b64 s[36:37], vcc, s[4:5]
	v_cndmask_b32_e32 v7, v24, v7, vcc
	s_xor_b64 s[38:39], s[36:37], -1
	v_cndmask_b32_e32 v6, 0, v6, vcc
	s_and_saveexec_b64 s[36:37], s[38:39]
	s_cbranch_execz .LBB35_63
; %bb.60:                               ;   in Loop: Header=BB35_59 Depth=2
	v_mbcnt_lo_u32_b32 v6, exec_lo, 0
	v_mbcnt_hi_u32_b32 v6, exec_hi, v6
	v_cmp_eq_u32_e32 vcc, 0, v6
	s_and_saveexec_b64 s[38:39], vcc
	s_cbranch_execz .LBB35_62
; %bb.61:                               ;   in Loop: Header=BB35_59 Depth=2
	v_mov_b32_e32 v6, s35
	global_atomic_smin v0, v6, s[14:15]
.LBB35_62:                              ;   in Loop: Header=BB35_59 Depth=2
	s_or_b64 exec, exec, s[38:39]
	v_mov_b32_e32 v6, 0
	v_mov_b32_e32 v7, 0x3ff00000
.LBB35_63:                              ;   in Loop: Header=BB35_59 Depth=2
	s_or_b64 exec, exec, s[36:37]
	v_mul_u32_u24_e32 v8, 0x48, v15
	v_lshl_add_u32 v11, s41, 3, v8
	ds_read_b64 v[8:9], v11 offset:576
	s_cmp_eq_u32 s41, 0
	s_cbranch_scc1 .LBB35_66
; %bb.64:                               ;   in Loop: Header=BB35_59 Depth=2
	s_mov_b32 s36, 0
	v_mov_b32_e32 v12, v1
	s_mov_b32 s37, s40
.LBB35_65:                              ;   Parent Loop BB35_18 Depth=1
                                        ;     Parent Loop BB35_59 Depth=2
                                        ; =>    This Inner Loop Header: Depth=3
	v_mov_b32_e32 v13, s37
	ds_read_b64 v[26:27], v12
	ds_read_b64 v[28:29], v13
	s_add_i32 s36, s36, 1
	s_add_i32 s37, s37, 8
	v_add_u32_e32 v12, 8, v12
	s_cmp_ge_u32 s36, s41
	s_waitcnt lgkmcnt(0)
	v_fmac_f64_e32 v[8:9], v[28:29], v[26:27]
	s_cbranch_scc0 .LBB35_65
.LBB35_66:                              ;   in Loop: Header=BB35_59 Depth=2
	s_waitcnt lgkmcnt(0)
	v_add_f64 v[4:5], v[4:5], -v[8:9]
	v_div_scale_f64 v[8:9], s[36:37], v[6:7], v[6:7], v[4:5]
	v_rcp_f64_e32 v[12:13], v[8:9]
	v_div_scale_f64 v[26:27], vcc, v[4:5], v[6:7], v[4:5]
	v_add_u32_e32 v10, 0x480, v10
	v_fma_f64 v[28:29], -v[8:9], v[12:13], 1.0
	v_fmac_f64_e32 v[12:13], v[12:13], v[28:29]
	v_fma_f64 v[28:29], -v[8:9], v[12:13], 1.0
	v_fmac_f64_e32 v[12:13], v[12:13], v[28:29]
	v_mul_f64 v[28:29], v[26:27], v[12:13]
	v_fma_f64 v[8:9], -v[8:9], v[28:29], v[26:27]
	v_div_fmas_f64 v[8:9], v[8:9], v[12:13], v[28:29]
	v_div_fixup_f64 v[4:5], v[8:9], v[6:7], v[4:5]
	v_mul_u32_u24_e32 v6, 0x48, v14
	v_lshl_add_u32 v12, s41, 3, v6
	ds_write_b64 v10, v[4:5]
	s_waitcnt lgkmcnt(0)
	ds_read_b64 v[6:7], v12 offset:1152
	ds_read_b64 v[8:9], v3
	v_add_u32_e32 v11, 0x240, v11
	s_waitcnt lgkmcnt(0)
	v_fmac_f64_e32 v[8:9], v[4:5], v[6:7]
	v_mov_b32_e32 v4, s42
	ds_write_b64 v3, v[8:9]
	s_waitcnt lgkmcnt(0)
	ds_read_b64 v[6:7], v4 offset:80
	ds_read_b64 v[4:5], v10 offset:8
	s_waitcnt lgkmcnt(1)
	v_cmp_neq_f64_e32 vcc, 0, v[6:7]
	s_or_b64 s[36:37], vcc, s[4:5]
	v_cndmask_b32_e32 v7, v24, v7, vcc
	s_xor_b64 s[38:39], s[36:37], -1
	v_cndmask_b32_e32 v6, 0, v6, vcc
	s_and_saveexec_b64 s[36:37], s[38:39]
	s_cbranch_execz .LBB35_70
; %bb.67:                               ;   in Loop: Header=BB35_59 Depth=2
	v_mbcnt_lo_u32_b32 v6, exec_lo, 0
	v_mbcnt_hi_u32_b32 v6, exec_hi, v6
	v_cmp_eq_u32_e32 vcc, 0, v6
	s_and_saveexec_b64 s[38:39], vcc
	s_cbranch_execz .LBB35_69
; %bb.68:                               ;   in Loop: Header=BB35_59 Depth=2
	v_mov_b32_e32 v6, s35
	global_atomic_smin v0, v6, s[14:15]
.LBB35_69:                              ;   in Loop: Header=BB35_59 Depth=2
	s_or_b64 exec, exec, s[38:39]
	v_mov_b32_e32 v6, 0
	v_mov_b32_e32 v7, 0x3ff00000
.LBB35_70:                              ;   in Loop: Header=BB35_59 Depth=2
	s_or_b64 exec, exec, s[36:37]
	ds_read_b64 v[8:9], v11 offset:8
	v_add_u32_e32 v11, 0x480, v12
	s_mov_b32 s36, 0
	s_mov_b32 s37, -1
.LBB35_71:                              ;   Parent Loop BB35_18 Depth=1
                                        ;     Parent Loop BB35_59 Depth=2
                                        ; =>    This Inner Loop Header: Depth=3
	s_add_i32 s38, s40, s36
	v_add_u32_e32 v12, s36, v1
	v_mov_b32_e32 v25, s38
	ds_read_b64 v[12:13], v12
	ds_read_b64 v[26:27], v25 offset:72
	s_add_i32 s36, s36, 8
	s_add_i32 s37, s37, 1
	s_cmp_lt_u32 s37, s41
	s_waitcnt lgkmcnt(0)
	v_fmac_f64_e32 v[8:9], v[26:27], v[12:13]
	s_cbranch_scc1 .LBB35_71
; %bb.72:                               ;   in Loop: Header=BB35_59 Depth=2
	v_add_f64 v[4:5], v[4:5], -v[8:9]
	v_div_scale_f64 v[8:9], s[36:37], v[6:7], v[6:7], v[4:5]
	v_rcp_f64_e32 v[12:13], v[8:9]
	v_div_scale_f64 v[26:27], vcc, v[4:5], v[6:7], v[4:5]
	s_add_i32 s41, s41, 2
	v_fma_f64 v[28:29], -v[8:9], v[12:13], 1.0
	v_fmac_f64_e32 v[12:13], v[12:13], v[28:29]
	v_fma_f64 v[28:29], -v[8:9], v[12:13], 1.0
	v_fmac_f64_e32 v[12:13], v[12:13], v[28:29]
	v_mul_f64 v[28:29], v[26:27], v[12:13]
	v_fma_f64 v[8:9], -v[8:9], v[28:29], v[26:27]
	v_div_fmas_f64 v[8:9], v[8:9], v[12:13], v[28:29]
	v_div_fixup_f64 v[4:5], v[8:9], v[6:7], v[4:5]
	ds_write_b64 v10, v[4:5] offset:8
	s_waitcnt lgkmcnt(0)
	ds_read_b64 v[6:7], v11 offset:8
	ds_read_b64 v[8:9], v3
	s_addk_i32 s40, 0x90
	s_cmp_eq_u32 s41, s49
	s_mov_b32 s42, s49
	s_waitcnt lgkmcnt(0)
	v_fmac_f64_e32 v[8:9], v[4:5], v[6:7]
	ds_write_b64 v3, v[8:9]
	s_waitcnt lgkmcnt(0)
	s_cbranch_scc0 .LBB35_59
.LBB35_73:                              ;   in Loop: Header=BB35_18 Depth=1
	s_andn2_b64 vcc, exec, s[30:31]
	s_cbranch_vccnz .LBB35_82
; %bb.74:                               ;   in Loop: Header=BB35_18 Depth=1
	s_lshl_b32 s36, s42, 3
	s_mul_i32 s40, s42, 0x48
	s_add_i32 s37, s36, s40
	v_mov_b32_e32 v4, s37
	ds_read_b64 v[6:7], v4
	v_mov_b32_e32 v4, s36
	v_mad_u32_u24 v10, v15, s47, v4
	ds_read_b64 v[4:5], v10 offset:1152
	s_waitcnt lgkmcnt(1)
	v_cmp_neq_f64_e32 vcc, 0, v[6:7]
	s_or_b64 s[36:37], vcc, s[4:5]
	v_cndmask_b32_e32 v7, v24, v7, vcc
	s_xor_b64 s[38:39], s[36:37], -1
	v_cndmask_b32_e32 v6, 0, v6, vcc
	s_and_saveexec_b64 s[36:37], s[38:39]
	s_cbranch_execz .LBB35_78
; %bb.75:                               ;   in Loop: Header=BB35_18 Depth=1
	v_mbcnt_lo_u32_b32 v6, exec_lo, 0
	v_mbcnt_hi_u32_b32 v6, exec_hi, v6
	v_cmp_eq_u32_e32 vcc, 0, v6
	s_and_saveexec_b64 s[38:39], vcc
	s_cbranch_execz .LBB35_77
; %bb.76:                               ;   in Loop: Header=BB35_18 Depth=1
	v_mov_b32_e32 v6, s35
	global_atomic_smin v0, v6, s[14:15]
.LBB35_77:                              ;   in Loop: Header=BB35_18 Depth=1
	s_or_b64 exec, exec, s[38:39]
	v_mov_b32_e32 v6, 0
	v_mov_b32_e32 v7, 0x3ff00000
.LBB35_78:                              ;   in Loop: Header=BB35_18 Depth=1
	s_or_b64 exec, exec, s[36:37]
	v_mul_u32_u24_e32 v8, 0x48, v15
	v_lshl_add_u32 v8, s42, 3, v8
	ds_read_b64 v[8:9], v8 offset:576
	s_cmp_eq_u32 s42, 0
	s_cbranch_scc1 .LBB35_81
; %bb.79:                               ;   in Loop: Header=BB35_18 Depth=1
	s_mov_b32 s35, 0
	v_mov_b32_e32 v11, v1
.LBB35_80:                              ;   Parent Loop BB35_18 Depth=1
                                        ; =>  This Inner Loop Header: Depth=2
	v_mov_b32_e32 v25, s40
	ds_read_b64 v[12:13], v11
	ds_read_b64 v[26:27], v25
	s_add_i32 s35, s35, 1
	s_add_i32 s40, s40, 8
	v_add_u32_e32 v11, 8, v11
	s_cmp_lt_u32 s35, s42
	s_waitcnt lgkmcnt(0)
	v_fmac_f64_e32 v[8:9], v[26:27], v[12:13]
	s_cbranch_scc1 .LBB35_80
.LBB35_81:                              ;   in Loop: Header=BB35_18 Depth=1
	s_waitcnt lgkmcnt(0)
	v_add_f64 v[4:5], v[4:5], -v[8:9]
	v_div_scale_f64 v[8:9], s[36:37], v[6:7], v[6:7], v[4:5]
	v_rcp_f64_e32 v[12:13], v[8:9]
	v_div_scale_f64 v[26:27], vcc, v[4:5], v[6:7], v[4:5]
	v_add_u32_e32 v10, 0x480, v10
	v_fma_f64 v[28:29], -v[8:9], v[12:13], 1.0
	v_fmac_f64_e32 v[12:13], v[12:13], v[28:29]
	v_fma_f64 v[28:29], -v[8:9], v[12:13], 1.0
	v_fmac_f64_e32 v[12:13], v[12:13], v[28:29]
	v_mul_f64 v[28:29], v[26:27], v[12:13]
	v_fma_f64 v[8:9], -v[8:9], v[28:29], v[26:27]
	v_div_fmas_f64 v[8:9], v[8:9], v[12:13], v[28:29]
	v_div_fixup_f64 v[4:5], v[8:9], v[6:7], v[4:5]
	v_mul_u32_u24_e32 v6, 0x48, v14
	v_lshl_add_u32 v6, s42, 3, v6
	ds_write_b64 v10, v[4:5]
	s_waitcnt lgkmcnt(0)
	ds_read_b64 v[6:7], v6 offset:1152
	ds_read_b64 v[8:9], v3
	s_waitcnt lgkmcnt(0)
	v_fmac_f64_e32 v[8:9], v[4:5], v[6:7]
	ds_write_b64 v3, v[8:9]
	s_waitcnt lgkmcnt(0)
.LBB35_82:                              ;   in Loop: Header=BB35_18 Depth=1
	s_and_saveexec_b64 s[36:37], s[24:25]
	s_cbranch_execz .LBB35_16
; %bb.83:                               ;   in Loop: Header=BB35_18 Depth=1
	s_mul_i32 s35, s34, s45
	v_add_u32_e32 v6, s35, v23
	ds_read_b64 v[4:5], v19
	v_mad_u64_u32 v[6:7], s[38:39], v6, s45, v[2:3]
	v_ashrrev_i32_e32 v7, 31, v6
	v_lshlrev_b64 v[6:7], 3, v[6:7]
	v_mov_b32_e32 v8, s21
	v_add_co_u32_e32 v6, vcc, s20, v6
	v_addc_co_u32_e32 v7, vcc, v8, v7, vcc
	s_waitcnt lgkmcnt(0)
	global_store_dwordx2 v[6:7], v[4:5], off
	s_branch .LBB35_16
.LBB35_84:
	s_cmp_eq_u32 s46, 0
	v_max_i32_e32 v0, v14, v15
	s_cselect_b64 s[0:1], -1, 0
	v_cmp_gt_i32_e64 s[2:3], s45, v0
	v_pk_mov_b32 v[0:1], 0, 0
	s_and_saveexec_b64 s[4:5], s[2:3]
	s_cbranch_execz .LBB35_86
; %bb.85:
	v_cndmask_b32_e64 v1, v14, v15, s[0:1]
	s_mul_i32 s8, s33, s45
	v_cndmask_b32_e64 v0, v15, v14, s[0:1]
	v_add_u32_e32 v1, s8, v1
	v_mad_u64_u32 v[0:1], s[8:9], v1, s45, v[0:1]
	v_ashrrev_i32_e32 v1, 31, v0
	v_lshlrev_b64 v[0:1], 3, v[0:1]
	v_mov_b32_e32 v2, s21
	v_add_co_u32_e32 v0, vcc, s20, v0
	v_addc_co_u32_e32 v1, vcc, v2, v1, vcc
	global_load_dwordx2 v[0:1], v[0:1], off
.LBB35_86:
	s_or_b64 exec, exec, s[4:5]
	s_movk_i32 s8, 0x48
	v_mad_u32_u24 v2, v15, s8, v17
	s_cmp_lt_i32 s45, 1
	s_waitcnt vmcnt(0)
	ds_write_b64 v2, v[0:1] offset:1152
	s_waitcnt lgkmcnt(0)
	s_cbranch_scc1 .LBB35_118
; %bb.87:
	v_or_b32_e32 v0, v14, v15
	v_cmp_ne_u32_e64 s[4:5], 0, v0
	s_add_i32 s22, s12, s13
	v_mad_u32_u24 v0, v15, s8, v16
	s_mov_b32 s16, 0
	v_add_u32_e32 v4, 0x480, v0
	s_cmp_eq_u32 s45, 1
	v_add_u32_e32 v5, 0x6c0, v0
	s_cbranch_scc1 .LBB35_108
; %bb.88:
	v_mov_b32_e32 v0, 0x480
	v_mad_u32_u24 v6, v14, s8, v0
	v_mad_u32_u24 v7, v15, s8, v0
	s_mov_b32 s8, 0
	s_and_b32 s23, s45, 0x7ffffffe
	s_movk_i32 s24, 0x480
	s_brev_b32 s9, 8
	v_mov_b32_e32 v8, 0x260
	v_mov_b32_e32 v9, 0x3ff00000
	;; [unrolled: 1-line block ×4, first 2 shown]
	s_branch .LBB35_90
.LBB35_89:                              ;   in Loop: Header=BB35_90 Depth=1
	s_or_b64 exec, exec, s[16:17]
	s_addk_i32 s24, 0xa0
	s_add_i32 s16, s26, 1
	v_add_u32_e32 v6, 16, v6
	s_cmp_eq_u32 s16, s23
	v_add_u32_e32 v7, 16, v7
	s_waitcnt lgkmcnt(0)
	s_cbranch_scc1 .LBB35_107
.LBB35_90:                              ; =>This Inner Loop Header: Depth=1
	s_mov_b32 s25, s16
	v_cmp_eq_u32_e32 vcc, s25, v15
	s_and_saveexec_b64 s[16:17], vcc
	s_cbranch_execz .LBB35_92
; %bb.91:                               ;   in Loop: Header=BB35_90 Depth=1
	ds_read_b64 v[0:1], v4
	ds_read_b64 v[12:13], v5
	s_waitcnt lgkmcnt(0)
	v_add_f64 v[0:1], v[0:1], -v[12:13]
	v_xor_b32_e32 v12, 0x80000000, v1
	v_cmp_gt_f64_e32 vcc, 0, v[0:1]
	v_cndmask_b32_e32 v1, v1, v12, vcc
	v_cndmask_b32_e32 v0, v0, v0, vcc
	v_cmp_gt_f64_e32 vcc, s[8:9], v[0:1]
	v_cndmask_b32_e64 v12, 0, 1, vcc
	v_lshlrev_b32_e32 v12, 8, v12
	v_ldexp_f64 v[0:1], v[0:1], v12
	v_rsq_f64_e32 v[12:13], v[0:1]
	v_cndmask_b32_e32 v20, 0, v11, vcc
	v_cmp_class_f64_e32 vcc, v[0:1], v8
	v_mul_f64 v[16:17], v[0:1], v[12:13]
	v_mul_f64 v[12:13], v[12:13], 0.5
	v_fma_f64 v[18:19], -v[12:13], v[16:17], 0.5
	v_fmac_f64_e32 v[16:17], v[16:17], v[18:19]
	v_fmac_f64_e32 v[12:13], v[12:13], v[18:19]
	v_fma_f64 v[18:19], -v[16:17], v[16:17], v[0:1]
	v_fmac_f64_e32 v[16:17], v[18:19], v[12:13]
	v_fma_f64 v[18:19], -v[16:17], v[16:17], v[0:1]
	v_fmac_f64_e32 v[16:17], v[18:19], v[12:13]
	v_ldexp_f64 v[12:13], v[16:17], v20
	v_cndmask_b32_e32 v1, v13, v1, vcc
	v_cndmask_b32_e32 v0, v12, v0, vcc
	ds_write_b64 v4, v[0:1]
.LBB35_92:                              ;   in Loop: Header=BB35_90 Depth=1
	s_or_b64 exec, exec, s[16:17]
	v_mov_b32_e32 v0, s24
	s_waitcnt lgkmcnt(0)
	ds_read_b64 v[0:1], v0
	s_waitcnt lgkmcnt(0)
	v_cmp_neq_f64_e32 vcc, 0, v[0:1]
	s_or_b64 s[16:17], vcc, s[4:5]
	v_cndmask_b32_e32 v1, v9, v1, vcc
	s_xor_b64 s[18:19], s[16:17], -1
	v_cndmask_b32_e32 v0, 0, v0, vcc
	s_and_saveexec_b64 s[16:17], s[18:19]
	s_cbranch_execz .LBB35_96
; %bb.93:                               ;   in Loop: Header=BB35_90 Depth=1
	v_mbcnt_lo_u32_b32 v0, exec_lo, 0
	v_mbcnt_hi_u32_b32 v0, exec_hi, v0
	v_cmp_eq_u32_e32 vcc, 0, v0
	s_and_saveexec_b64 s[18:19], vcc
	s_cbranch_execz .LBB35_95
; %bb.94:                               ;   in Loop: Header=BB35_90 Depth=1
	v_mov_b32_e32 v0, s22
	global_atomic_smin v10, v0, s[14:15]
.LBB35_95:                              ;   in Loop: Header=BB35_90 Depth=1
	s_or_b64 exec, exec, s[18:19]
	v_mov_b32_e32 v0, 0
	v_mov_b32_e32 v1, 0x3ff00000
.LBB35_96:                              ;   in Loop: Header=BB35_90 Depth=1
	s_or_b64 exec, exec, s[16:17]
	v_cmp_lt_u32_e32 vcc, s25, v15
	s_and_saveexec_b64 s[16:17], vcc
	s_cbranch_execz .LBB35_98
; %bb.97:                               ;   in Loop: Header=BB35_90 Depth=1
	ds_read2_b64 v[16:19], v7 offset1:72
	s_waitcnt lgkmcnt(0)
	v_add_f64 v[12:13], v[16:17], -v[18:19]
	v_div_scale_f64 v[16:17], s[18:19], v[0:1], v[0:1], v[12:13]
	v_rcp_f64_e32 v[18:19], v[16:17]
	v_div_scale_f64 v[20:21], vcc, v[12:13], v[0:1], v[12:13]
	v_fma_f64 v[22:23], -v[16:17], v[18:19], 1.0
	v_fmac_f64_e32 v[18:19], v[18:19], v[22:23]
	v_fma_f64 v[22:23], -v[16:17], v[18:19], 1.0
	v_fmac_f64_e32 v[18:19], v[18:19], v[22:23]
	v_mul_f64 v[22:23], v[20:21], v[18:19]
	v_fma_f64 v[16:17], -v[16:17], v[22:23], v[20:21]
	v_div_fmas_f64 v[16:17], v[16:17], v[18:19], v[22:23]
	v_div_fixup_f64 v[0:1], v[16:17], v[0:1], v[12:13]
	ds_write_b64 v7, v[0:1]
	s_waitcnt lgkmcnt(0)
	ds_read_b64 v[12:13], v6
	ds_read_b64 v[16:17], v3
	s_waitcnt lgkmcnt(0)
	v_fmac_f64_e32 v[16:17], v[0:1], v[12:13]
	ds_write_b64 v3, v[16:17]
.LBB35_98:                              ;   in Loop: Header=BB35_90 Depth=1
	s_or_b64 exec, exec, s[16:17]
	s_add_i32 s26, s25, 1
	v_cmp_eq_u32_e32 vcc, s26, v15
	s_waitcnt lgkmcnt(0)
	s_and_saveexec_b64 s[16:17], vcc
	s_cbranch_execz .LBB35_100
; %bb.99:                               ;   in Loop: Header=BB35_90 Depth=1
	ds_read_b64 v[0:1], v4
	ds_read_b64 v[12:13], v5
	s_waitcnt lgkmcnt(0)
	v_add_f64 v[0:1], v[0:1], -v[12:13]
	v_xor_b32_e32 v12, 0x80000000, v1
	v_cmp_gt_f64_e32 vcc, 0, v[0:1]
	v_cndmask_b32_e32 v1, v1, v12, vcc
	v_cndmask_b32_e32 v0, v0, v0, vcc
	v_cmp_gt_f64_e32 vcc, s[8:9], v[0:1]
	v_cndmask_b32_e64 v12, 0, 1, vcc
	v_lshlrev_b32_e32 v12, 8, v12
	v_ldexp_f64 v[0:1], v[0:1], v12
	v_rsq_f64_e32 v[12:13], v[0:1]
	v_cndmask_b32_e32 v20, 0, v11, vcc
	v_cmp_class_f64_e32 vcc, v[0:1], v8
	v_mul_f64 v[16:17], v[0:1], v[12:13]
	v_mul_f64 v[12:13], v[12:13], 0.5
	v_fma_f64 v[18:19], -v[12:13], v[16:17], 0.5
	v_fmac_f64_e32 v[16:17], v[16:17], v[18:19]
	v_fmac_f64_e32 v[12:13], v[12:13], v[18:19]
	v_fma_f64 v[18:19], -v[16:17], v[16:17], v[0:1]
	v_fmac_f64_e32 v[16:17], v[18:19], v[12:13]
	v_fma_f64 v[18:19], -v[16:17], v[16:17], v[0:1]
	v_fmac_f64_e32 v[16:17], v[18:19], v[12:13]
	v_ldexp_f64 v[12:13], v[16:17], v20
	v_cndmask_b32_e32 v1, v13, v1, vcc
	v_cndmask_b32_e32 v0, v12, v0, vcc
	ds_write_b64 v4, v[0:1]
.LBB35_100:                             ;   in Loop: Header=BB35_90 Depth=1
	s_or_b64 exec, exec, s[16:17]
	v_mov_b32_e32 v0, s24
	s_waitcnt lgkmcnt(0)
	ds_read_b64 v[0:1], v0 offset:80
	s_waitcnt lgkmcnt(0)
	v_cmp_neq_f64_e32 vcc, 0, v[0:1]
	s_or_b64 s[16:17], vcc, s[4:5]
	v_cndmask_b32_e32 v1, v9, v1, vcc
	s_xor_b64 s[18:19], s[16:17], -1
	v_cndmask_b32_e32 v0, 0, v0, vcc
	s_and_saveexec_b64 s[16:17], s[18:19]
	s_cbranch_execz .LBB35_104
; %bb.101:                              ;   in Loop: Header=BB35_90 Depth=1
	v_mbcnt_lo_u32_b32 v0, exec_lo, 0
	v_mbcnt_hi_u32_b32 v0, exec_hi, v0
	v_cmp_eq_u32_e32 vcc, 0, v0
	s_and_saveexec_b64 s[18:19], vcc
	s_cbranch_execz .LBB35_103
; %bb.102:                              ;   in Loop: Header=BB35_90 Depth=1
	v_mov_b32_e32 v0, s22
	global_atomic_smin v10, v0, s[14:15]
.LBB35_103:                             ;   in Loop: Header=BB35_90 Depth=1
	s_or_b64 exec, exec, s[18:19]
	v_mov_b32_e32 v0, 0
	v_mov_b32_e32 v1, 0x3ff00000
.LBB35_104:                             ;   in Loop: Header=BB35_90 Depth=1
	s_or_b64 exec, exec, s[16:17]
	v_cmp_lt_u32_e32 vcc, s26, v15
	s_and_saveexec_b64 s[16:17], vcc
	s_cbranch_execz .LBB35_89
; %bb.105:                              ;   in Loop: Header=BB35_90 Depth=1
	ds_read2_b64 v[16:19], v7 offset0:1 offset1:73
	s_waitcnt lgkmcnt(0)
	v_add_f64 v[12:13], v[16:17], -v[18:19]
	v_div_scale_f64 v[16:17], s[18:19], v[0:1], v[0:1], v[12:13]
	v_rcp_f64_e32 v[18:19], v[16:17]
	v_div_scale_f64 v[20:21], vcc, v[12:13], v[0:1], v[12:13]
	v_fma_f64 v[22:23], -v[16:17], v[18:19], 1.0
	v_fmac_f64_e32 v[18:19], v[18:19], v[22:23]
	v_fma_f64 v[22:23], -v[16:17], v[18:19], 1.0
	v_fmac_f64_e32 v[18:19], v[18:19], v[22:23]
	v_mul_f64 v[22:23], v[20:21], v[18:19]
	v_fma_f64 v[16:17], -v[16:17], v[22:23], v[20:21]
	v_div_fmas_f64 v[16:17], v[16:17], v[18:19], v[22:23]
	v_div_fixup_f64 v[0:1], v[16:17], v[0:1], v[12:13]
	ds_write_b64 v7, v[0:1] offset:8
	s_waitcnt lgkmcnt(0)
	ds_read_b64 v[12:13], v6 offset:8
	ds_read_b64 v[16:17], v3
	s_waitcnt lgkmcnt(0)
	v_fmac_f64_e32 v[16:17], v[0:1], v[12:13]
	ds_write_b64 v3, v[16:17]
	s_branch .LBB35_89
.LBB35_106:
	s_mov_b64 s[0:1], 0
	s_cbranch_execnz .LBB35_121
	s_branch .LBB35_126
.LBB35_107:
	s_add_i32 s16, s25, 2
.LBB35_108:
	s_bitcmp0_b32 s45, 0
	s_cbranch_scc1 .LBB35_118
; %bb.109:
	v_cmp_eq_u32_e32 vcc, s16, v15
	s_and_saveexec_b64 s[8:9], vcc
	s_cbranch_execz .LBB35_111
; %bb.110:
	ds_read_b64 v[0:1], v4
	ds_read_b64 v[6:7], v5
	s_mov_b32 s18, 0
	s_brev_b32 s19, 8
	s_waitcnt lgkmcnt(0)
	v_add_f64 v[0:1], v[0:1], -v[6:7]
	v_xor_b32_e32 v5, 0x80000000, v1
	v_cmp_gt_f64_e32 vcc, 0, v[0:1]
	v_cndmask_b32_e32 v1, v1, v5, vcc
	v_cndmask_b32_e32 v0, v0, v0, vcc
	v_cmp_gt_f64_e32 vcc, s[18:19], v[0:1]
	v_cndmask_b32_e64 v5, 0, 1, vcc
	v_lshlrev_b32_e32 v5, 8, v5
	v_ldexp_f64 v[0:1], v[0:1], v5
	v_rsq_f64_e32 v[6:7], v[0:1]
	v_mov_b32_e32 v5, 0xffffff80
	v_cndmask_b32_e32 v5, 0, v5, vcc
	v_mul_f64 v[8:9], v[0:1], v[6:7]
	v_mul_f64 v[6:7], v[6:7], 0.5
	v_fma_f64 v[10:11], -v[6:7], v[8:9], 0.5
	v_fmac_f64_e32 v[8:9], v[8:9], v[10:11]
	v_fma_f64 v[12:13], -v[8:9], v[8:9], v[0:1]
	v_fmac_f64_e32 v[6:7], v[6:7], v[10:11]
	v_fmac_f64_e32 v[8:9], v[12:13], v[6:7]
	v_fma_f64 v[10:11], -v[8:9], v[8:9], v[0:1]
	v_fmac_f64_e32 v[8:9], v[10:11], v[6:7]
	v_ldexp_f64 v[6:7], v[8:9], v5
	v_mov_b32_e32 v5, 0x260
	v_cmp_class_f64_e32 vcc, v[0:1], v5
	v_cndmask_b32_e32 v1, v7, v1, vcc
	v_cndmask_b32_e32 v0, v6, v0, vcc
	ds_write_b64 v4, v[0:1]
.LBB35_111:
	s_or_b64 exec, exec, s[8:9]
	s_lshl_b32 s17, s16, 3
	s_mul_i32 s8, s16, 0x48
	s_add_i32 s8, s8, s17
	v_mov_b32_e32 v0, s8
	s_waitcnt lgkmcnt(0)
	ds_read_b64 v[0:1], v0 offset:1152
	v_mov_b32_e32 v4, 0x3ff00000
	s_waitcnt lgkmcnt(0)
	v_cmp_neq_f64_e32 vcc, 0, v[0:1]
	s_or_b64 s[4:5], vcc, s[4:5]
	v_cndmask_b32_e32 v1, v4, v1, vcc
	s_xor_b64 s[8:9], s[4:5], -1
	v_cndmask_b32_e32 v0, 0, v0, vcc
	s_and_saveexec_b64 s[4:5], s[8:9]
	s_cbranch_execz .LBB35_115
; %bb.112:
	v_mbcnt_lo_u32_b32 v0, exec_lo, 0
	v_mbcnt_hi_u32_b32 v0, exec_hi, v0
	v_cmp_eq_u32_e32 vcc, 0, v0
	s_and_saveexec_b64 s[8:9], vcc
	s_cbranch_execz .LBB35_114
; %bb.113:
	v_mov_b32_e32 v0, 0
	v_mov_b32_e32 v1, s22
	global_atomic_smin v0, v1, s[14:15]
.LBB35_114:
	s_or_b64 exec, exec, s[8:9]
	v_mov_b32_e32 v0, 0
	v_mov_b32_e32 v1, 0x3ff00000
.LBB35_115:
	s_or_b64 exec, exec, s[4:5]
	v_cmp_lt_u32_e32 vcc, s16, v15
	s_and_saveexec_b64 s[4:5], vcc
	s_cbranch_execz .LBB35_117
; %bb.116:
	s_add_i32 s8, s17, 0x480
	s_movk_i32 s16, 0x48
	v_mov_b32_e32 v16, s8
	v_mov_b32_e32 v4, s17
	v_mad_u32_u24 v17, v15, s16, v16
	v_mad_u32_u24 v6, v15, s16, v4
	ds_read_b64 v[4:5], v17
	ds_read_b64 v[6:7], v6 offset:1728
	s_waitcnt lgkmcnt(0)
	v_add_f64 v[4:5], v[4:5], -v[6:7]
	v_div_scale_f64 v[6:7], s[8:9], v[0:1], v[0:1], v[4:5]
	v_rcp_f64_e32 v[8:9], v[6:7]
	v_div_scale_f64 v[10:11], vcc, v[4:5], v[0:1], v[4:5]
	v_fma_f64 v[12:13], -v[6:7], v[8:9], 1.0
	v_fmac_f64_e32 v[8:9], v[8:9], v[12:13]
	v_fma_f64 v[12:13], -v[6:7], v[8:9], 1.0
	v_fmac_f64_e32 v[8:9], v[8:9], v[12:13]
	v_mul_f64 v[12:13], v[10:11], v[8:9]
	v_fma_f64 v[6:7], -v[6:7], v[12:13], v[10:11]
	v_div_fmas_f64 v[6:7], v[6:7], v[8:9], v[12:13]
	v_div_fixup_f64 v[0:1], v[6:7], v[0:1], v[4:5]
	v_mad_u32_u24 v4, v14, s16, v16
	ds_write_b64 v17, v[0:1]
	s_waitcnt lgkmcnt(0)
	ds_read_b64 v[4:5], v4
	ds_read_b64 v[6:7], v3
	s_waitcnt lgkmcnt(0)
	v_fmac_f64_e32 v[6:7], v[0:1], v[4:5]
	ds_write_b64 v3, v[6:7]
.LBB35_117:
	s_or_b64 exec, exec, s[4:5]
	s_waitcnt lgkmcnt(0)
.LBB35_118:
	s_and_saveexec_b64 s[4:5], s[2:3]
	s_cbranch_execz .LBB35_120
; %bb.119:
	s_mul_i32 s33, s33, s45
	v_cndmask_b32_e64 v3, v14, v15, s[0:1]
	v_add_u32_e32 v0, 0x480, v2
	v_cndmask_b32_e64 v2, v15, v14, s[0:1]
	v_add_u32_e32 v3, s33, v3
	ds_read_b64 v[0:1], v0
	v_mad_u64_u32 v[2:3], s[0:1], v3, s45, v[2:3]
	v_ashrrev_i32_e32 v3, 31, v2
	v_lshlrev_b64 v[2:3], 3, v[2:3]
	v_mov_b32_e32 v4, s21
	v_add_co_u32_e32 v2, vcc, s20, v2
	v_addc_co_u32_e32 v3, vcc, v4, v3, vcc
	s_waitcnt lgkmcnt(0)
	global_store_dwordx2 v[2:3], v[0:1], off
.LBB35_120:
	s_or_b64 exec, exec, s[4:5]
	v_or_b32_e32 v0, v14, v15
	v_cmp_eq_u32_e64 s[0:1], 0, v0
	s_branch .LBB35_126
.LBB35_121:
	v_or_b32_e32 v0, v14, v15
	v_cmp_eq_u32_e32 vcc, 0, v0
	s_and_saveexec_b64 s[2:3], vcc
	s_cbranch_execz .LBB35_125
; %bb.122:
	v_mbcnt_lo_u32_b32 v0, exec_lo, 0
	v_mbcnt_hi_u32_b32 v0, exec_hi, v0
	v_cmp_eq_u32_e32 vcc, 0, v0
	s_and_saveexec_b64 s[4:5], vcc
	s_cbranch_execz .LBB35_124
; %bb.123:
	s_add_i32 s8, s12, s13
	v_mov_b32_e32 v0, 0
	v_mov_b32_e32 v1, s8
	global_atomic_smin v0, v1, s[14:15]
.LBB35_124:
	s_or_b64 exec, exec, s[4:5]
	s_or_b64 s[0:1], s[0:1], exec
.LBB35_125:
	s_or_b64 exec, exec, s[2:3]
.LBB35_126:
	s_and_saveexec_b64 s[2:3], s[0:1]
	s_cbranch_execnz .LBB35_128
; %bb.127:
	s_endpgm
.LBB35_128:
	s_add_u32 s0, s10, s6
	s_addc_u32 s1, s11, s7
	v_mov_b32_e32 v0, 0
	v_mov_b32_e32 v1, 1
	s_waitcnt vmcnt(0)
	global_store_dword v0, v1, s[0:1]
	s_endpgm
	.section	.rodata,"a",@progbits
	.p2align	6, 0x0
	.amdhsa_kernel _ZN9rocsparseL17bsric0_2_8_kernelILi64ELi128ELi8EdEEv20rocsparse_direction_iiPKiS3_PT2_S3_PiS3_S6_21rocsparse_index_base_
		.amdhsa_group_segment_fixed_size 3840
		.amdhsa_private_segment_fixed_size 0
		.amdhsa_kernarg_size 76
		.amdhsa_user_sgpr_count 6
		.amdhsa_user_sgpr_private_segment_buffer 1
		.amdhsa_user_sgpr_dispatch_ptr 0
		.amdhsa_user_sgpr_queue_ptr 0
		.amdhsa_user_sgpr_kernarg_segment_ptr 1
		.amdhsa_user_sgpr_dispatch_id 0
		.amdhsa_user_sgpr_flat_scratch_init 0
		.amdhsa_user_sgpr_kernarg_preload_length 0
		.amdhsa_user_sgpr_kernarg_preload_offset 0
		.amdhsa_user_sgpr_private_segment_size 0
		.amdhsa_uses_dynamic_stack 0
		.amdhsa_system_sgpr_private_segment_wavefront_offset 0
		.amdhsa_system_sgpr_workgroup_id_x 1
		.amdhsa_system_sgpr_workgroup_id_y 0
		.amdhsa_system_sgpr_workgroup_id_z 0
		.amdhsa_system_sgpr_workgroup_info 0
		.amdhsa_system_vgpr_workitem_id 1
		.amdhsa_next_free_vgpr 72
		.amdhsa_next_free_sgpr 56
		.amdhsa_accum_offset 72
		.amdhsa_reserve_vcc 1
		.amdhsa_reserve_flat_scratch 0
		.amdhsa_float_round_mode_32 0
		.amdhsa_float_round_mode_16_64 0
		.amdhsa_float_denorm_mode_32 3
		.amdhsa_float_denorm_mode_16_64 3
		.amdhsa_dx10_clamp 1
		.amdhsa_ieee_mode 1
		.amdhsa_fp16_overflow 0
		.amdhsa_tg_split 0
		.amdhsa_exception_fp_ieee_invalid_op 0
		.amdhsa_exception_fp_denorm_src 0
		.amdhsa_exception_fp_ieee_div_zero 0
		.amdhsa_exception_fp_ieee_overflow 0
		.amdhsa_exception_fp_ieee_underflow 0
		.amdhsa_exception_fp_ieee_inexact 0
		.amdhsa_exception_int_div_zero 0
	.end_amdhsa_kernel
	.section	.text._ZN9rocsparseL17bsric0_2_8_kernelILi64ELi128ELi8EdEEv20rocsparse_direction_iiPKiS3_PT2_S3_PiS3_S6_21rocsparse_index_base_,"axG",@progbits,_ZN9rocsparseL17bsric0_2_8_kernelILi64ELi128ELi8EdEEv20rocsparse_direction_iiPKiS3_PT2_S3_PiS3_S6_21rocsparse_index_base_,comdat
.Lfunc_end35:
	.size	_ZN9rocsparseL17bsric0_2_8_kernelILi64ELi128ELi8EdEEv20rocsparse_direction_iiPKiS3_PT2_S3_PiS3_S6_21rocsparse_index_base_, .Lfunc_end35-_ZN9rocsparseL17bsric0_2_8_kernelILi64ELi128ELi8EdEEv20rocsparse_direction_iiPKiS3_PT2_S3_PiS3_S6_21rocsparse_index_base_
                                        ; -- End function
	.section	.AMDGPU.csdata,"",@progbits
; Kernel info:
; codeLenInByte = 6104
; NumSgprs: 60
; NumVgprs: 72
; NumAgprs: 0
; TotalNumVgprs: 72
; ScratchSize: 0
; MemoryBound: 0
; FloatMode: 240
; IeeeMode: 1
; LDSByteSize: 3840 bytes/workgroup (compile time only)
; SGPRBlocks: 7
; VGPRBlocks: 8
; NumSGPRsForWavesPerEU: 60
; NumVGPRsForWavesPerEU: 72
; AccumOffset: 72
; Occupancy: 5
; WaveLimiterHint : 1
; COMPUTE_PGM_RSRC2:SCRATCH_EN: 0
; COMPUTE_PGM_RSRC2:USER_SGPR: 6
; COMPUTE_PGM_RSRC2:TRAP_HANDLER: 0
; COMPUTE_PGM_RSRC2:TGID_X_EN: 1
; COMPUTE_PGM_RSRC2:TGID_Y_EN: 0
; COMPUTE_PGM_RSRC2:TGID_Z_EN: 0
; COMPUTE_PGM_RSRC2:TIDIG_COMP_CNT: 1
; COMPUTE_PGM_RSRC3_GFX90A:ACCUM_OFFSET: 17
; COMPUTE_PGM_RSRC3_GFX90A:TG_SPLIT: 0
	.section	.text._ZN9rocsparseL18bsric0_9_16_kernelILi64ELi128ELi16EdEEv20rocsparse_direction_iiPKiS3_PT2_S3_PiS3_S6_21rocsparse_index_base_,"axG",@progbits,_ZN9rocsparseL18bsric0_9_16_kernelILi64ELi128ELi16EdEEv20rocsparse_direction_iiPKiS3_PT2_S3_PiS3_S6_21rocsparse_index_base_,comdat
	.globl	_ZN9rocsparseL18bsric0_9_16_kernelILi64ELi128ELi16EdEEv20rocsparse_direction_iiPKiS3_PT2_S3_PiS3_S6_21rocsparse_index_base_ ; -- Begin function _ZN9rocsparseL18bsric0_9_16_kernelILi64ELi128ELi16EdEEv20rocsparse_direction_iiPKiS3_PT2_S3_PiS3_S6_21rocsparse_index_base_
	.p2align	8
	.type	_ZN9rocsparseL18bsric0_9_16_kernelILi64ELi128ELi16EdEEv20rocsparse_direction_iiPKiS3_PT2_S3_PiS3_S6_21rocsparse_index_base_,@function
_ZN9rocsparseL18bsric0_9_16_kernelILi64ELi128ELi16EdEEv20rocsparse_direction_iiPKiS3_PT2_S3_PiS3_S6_21rocsparse_index_base_: ; @_ZN9rocsparseL18bsric0_9_16_kernelILi64ELi128ELi16EdEEv20rocsparse_direction_iiPKiS3_PT2_S3_PiS3_S6_21rocsparse_index_base_
; %bb.0:
	s_load_dwordx8 s[8:15], s[4:5], 0x28
	s_mov_b32 s7, 0
	s_lshl_b64 s[0:1], s[6:7], 2
	v_and_b32_e32 v1, 0x3ff, v0
	v_bfe_u32 v0, v0, 10, 10
	s_waitcnt lgkmcnt(0)
	s_add_u32 s0, s12, s0
	s_addc_u32 s1, s13, s1
	s_load_dword s12, s[0:1], 0x0
	s_waitcnt lgkmcnt(0)
	s_ashr_i32 s13, s12, 31
	s_lshl_b64 s[6:7], s[12:13], 2
	s_add_u32 s0, s8, s6
	s_addc_u32 s1, s9, s7
	s_load_dword s33, s[0:1], 0x0
	s_load_dword s13, s[4:5], 0x48
	s_waitcnt lgkmcnt(0)
	s_cmp_lg_u32 s33, -1
	s_cbranch_scc0 .LBB36_143
; %bb.1:
	s_load_dwordx4 s[16:19], s[4:5], 0x10
	v_lshlrev_b32_e32 v3, 2, v0
	v_add_u32_e32 v4, v3, v1
	s_waitcnt lgkmcnt(0)
	s_add_u32 s0, s16, s6
	s_addc_u32 s1, s17, s7
	s_load_dword s28, s[0:1], 0x0
	s_waitcnt lgkmcnt(0)
	s_sub_i32 s44, s28, s13
	v_add_u32_e32 v2, s44, v4
	v_cmp_ge_i32_e32 vcc, s33, v2
	s_and_saveexec_b64 s[2:3], vcc
	s_cbranch_execz .LBB36_16
; %bb.2:
	v_add_u32_e32 v4, s28, v4
	v_subrev_u32_e32 v4, s13, v4
	v_add_u32_e32 v4, 64, v4
	s_add_i32 s0, s33, 1
	v_max_i32_e32 v4, s0, v4
	v_not_b32_e32 v5, v1
	v_add3_u32 v4, v4, s13, v5
	v_add_u32_e32 v3, s28, v3
	v_sub_u32_e32 v3, v4, v3
	s_movk_i32 s0, 0x640
	v_cmp_gt_u32_e32 vcc, s0, v3
	s_movk_i32 s0, 0x63f
	v_cmp_lt_u32_e64 s[0:1], s0, v3
	s_and_saveexec_b64 s[20:21], s[0:1]
	s_cbranch_execz .LBB36_13
; %bb.3:
	v_and_b32_e32 v4, 0xffffffc0, v3
	v_add_u32_e32 v4, v2, v4
	v_cmp_ge_i32_e64 s[0:1], v4, v2
	s_mov_b64 s[24:25], -1
	s_and_saveexec_b64 s[22:23], s[0:1]
	s_cbranch_execz .LBB36_12
; %bb.4:
	v_lshrrev_b32_e32 v14, 6, v3
	v_add_u32_e32 v4, -1, v14
	v_add_u32_e32 v3, 64, v2
	v_lshrrev_b32_e32 v5, 1, v4
	v_add_u32_e32 v15, 1, v5
	v_cmp_lt_u32_e64 s[0:1], 13, v4
	v_pk_mov_b32 v[4:5], v[2:3], v[2:3] op_sel:[0,1]
	s_and_saveexec_b64 s[24:25], s[0:1]
	s_cbranch_execz .LBB36_8
; %bb.5:
	v_and_b32_e32 v16, -8, v15
	s_mov_b64 s[26:27], 0
	v_mov_b32_e32 v17, s19
	v_pk_mov_b32 v[4:5], v[2:3], v[2:3] op_sel:[0,1]
.LBB36_6:                               ; =>This Inner Loop Header: Depth=1
	v_ashrrev_i32_e32 v21, 31, v4
	v_mov_b32_e32 v20, v4
	v_lshlrev_b64 v[20:21], 2, v[20:21]
	v_ashrrev_i32_e32 v19, 31, v5
	v_mov_b32_e32 v18, v5
	v_add_co_u32_e64 v20, s[0:1], s18, v20
	v_add_u32_e32 v6, 0x80, v4
	v_lshlrev_b64 v[18:19], 2, v[18:19]
	v_addc_co_u32_e64 v21, s[0:1], v17, v21, s[0:1]
	v_ashrrev_i32_e32 v7, 31, v6
	v_add_co_u32_e64 v18, s[0:1], s18, v18
	v_add_u32_e32 v8, 0x80, v5
	v_addc_co_u32_e64 v19, s[0:1], v17, v19, s[0:1]
	v_lshlrev_b64 v[42:43], 2, v[6:7]
	v_ashrrev_i32_e32 v9, 31, v8
	global_load_dword v3, v[20:21], off
	global_load_dword v7, v[18:19], off
	v_add_co_u32_e64 v18, s[0:1], s18, v42
	v_add_u32_e32 v10, 0x100, v4
	v_lshlrev_b64 v[44:45], 2, v[8:9]
	v_addc_co_u32_e64 v19, s[0:1], v17, v43, s[0:1]
	v_ashrrev_i32_e32 v11, 31, v10
	v_add_co_u32_e64 v20, s[0:1], s18, v44
	v_add_u32_e32 v12, 0x100, v5
	v_lshlrev_b64 v[46:47], 2, v[10:11]
	v_addc_co_u32_e64 v21, s[0:1], v17, v45, s[0:1]
	v_ashrrev_i32_e32 v13, 31, v12
	;; [unrolled: 5-line block ×12, first 2 shown]
	v_add_co_u32_e64 v62, s[0:1], s18, v66
	v_lshlrev_b64 v[68:69], 2, v[40:41]
	v_addc_co_u32_e64 v63, s[0:1], v17, v67, s[0:1]
	v_add_co_u32_e64 v64, s[0:1], s18, v68
	v_addc_co_u32_e64 v65, s[0:1], v17, v69, s[0:1]
	global_load_dword v9, v[20:21], off
	global_load_dword v11, v[18:19], off
	global_load_dword v13, v[44:45], off
	global_load_dword v23, v[42:43], off
	global_load_dword v25, v[48:49], off
	global_load_dword v27, v[46:47], off
	global_load_dword v29, v[52:53], off
	global_load_dword v31, v[50:51], off
	global_load_dword v33, v[56:57], off
	global_load_dword v35, v[54:55], off
	global_load_dword v37, v[60:61], off
	global_load_dword v39, v[58:59], off
	global_load_dword v41, v[64:65], off
	global_load_dword v66, v[62:63], off
	v_subrev_u32_e32 v19, s44, v4
	v_add_u32_e32 v16, -8, v16
	v_subrev_u32_e32 v18, s44, v5
	v_lshlrev_b32_e32 v19, 2, v19
	v_subrev_u32_e32 v6, s44, v6
	v_cmp_eq_u32_e64 s[0:1], 0, v16
	s_waitcnt vmcnt(14)
	v_subrev_u32_e32 v7, s13, v7
	v_subrev_u32_e32 v3, s13, v3
	v_add_u32_e32 v5, 0x400, v5
	v_add_u32_e32 v4, 0x400, v4
	v_lshlrev_b32_e32 v18, 2, v18
	v_subrev_u32_e32 v8, s44, v8
	v_subrev_u32_e32 v12, s44, v12
	;; [unrolled: 1-line block ×13, first 2 shown]
	v_lshlrev_b32_e32 v6, 2, v6
	s_or_b64 s[26:27], s[0:1], s[26:27]
	ds_write_b32 v19, v3 offset:9728
	ds_write_b32 v18, v7 offset:9728
	v_lshlrev_b32_e32 v8, 2, v8
	v_lshlrev_b32_e32 v10, 2, v10
	;; [unrolled: 1-line block ×13, first 2 shown]
	s_waitcnt vmcnt(13)
	v_subrev_u32_e32 v3, s13, v9
	s_waitcnt vmcnt(12)
	v_subrev_u32_e32 v7, s13, v11
	;; [unrolled: 2-line block ×14, first 2 shown]
	ds_write_b32 v6, v7 offset:9728
	ds_write_b32 v8, v3 offset:9728
	;; [unrolled: 1-line block ×14, first 2 shown]
	s_andn2_b64 exec, exec, s[26:27]
	s_cbranch_execnz .LBB36_6
; %bb.7:
	s_or_b64 exec, exec, s[26:27]
.LBB36_8:
	s_or_b64 exec, exec, s[24:25]
	v_and_b32_e32 v3, 7, v15
	v_cmp_ne_u32_e64 s[0:1], 0, v3
	s_and_saveexec_b64 s[24:25], s[0:1]
	s_cbranch_execz .LBB36_11
; %bb.9:
	s_mov_b64 s[26:27], 0
	v_mov_b32_e32 v6, s19
.LBB36_10:                              ; =>This Inner Loop Header: Depth=1
	v_ashrrev_i32_e32 v11, 31, v4
	v_mov_b32_e32 v10, v4
	v_lshlrev_b64 v[10:11], 2, v[10:11]
	v_ashrrev_i32_e32 v9, 31, v5
	v_mov_b32_e32 v8, v5
	v_add_co_u32_e64 v10, s[0:1], s18, v10
	v_lshlrev_b64 v[8:9], 2, v[8:9]
	v_addc_co_u32_e64 v11, s[0:1], v6, v11, s[0:1]
	v_add_co_u32_e64 v8, s[0:1], s18, v8
	v_addc_co_u32_e64 v9, s[0:1], v6, v9, s[0:1]
	global_load_dword v7, v[8:9], off
	global_load_dword v12, v[10:11], off
	v_add_u32_e32 v3, -1, v3
	v_subrev_u32_e32 v9, s44, v4
	v_cmp_eq_u32_e64 s[0:1], 0, v3
	v_subrev_u32_e32 v8, s44, v5
	v_add_u32_e32 v5, 0x80, v5
	v_add_u32_e32 v4, 0x80, v4
	v_lshlrev_b32_e32 v9, 2, v9
	s_or_b64 s[26:27], s[0:1], s[26:27]
	v_lshlrev_b32_e32 v8, 2, v8
	s_waitcnt vmcnt(1)
	v_subrev_u32_e32 v7, s13, v7
	s_waitcnt vmcnt(0)
	v_subrev_u32_e32 v10, s13, v12
	ds_write_b32 v9, v10 offset:9728
	ds_write_b32 v8, v7 offset:9728
	s_andn2_b64 exec, exec, s[26:27]
	s_cbranch_execnz .LBB36_10
.LBB36_11:
	s_or_b64 exec, exec, s[24:25]
	v_add_u32_e32 v3, 1, v14
	v_and_b32_e32 v4, 0x7fffffe, v3
	v_cmp_ne_u32_e64 s[0:1], v3, v4
	v_lshl_add_u32 v2, v4, 6, v2
	s_orn2_b64 s[24:25], s[0:1], exec
.LBB36_12:
	s_or_b64 exec, exec, s[22:23]
	s_andn2_b64 s[0:1], vcc, exec
	s_and_b64 s[22:23], s[24:25], exec
	s_or_b64 vcc, s[0:1], s[22:23]
.LBB36_13:
	s_or_b64 exec, exec, s[20:21]
	s_and_b64 exec, exec, vcc
	s_cbranch_execz .LBB36_16
; %bb.14:
	v_add_u32_e32 v3, s13, v2
	v_subrev_u32_e32 v3, s28, v3
	v_mov_b32_e32 v4, 0x2600
	v_lshl_add_u32 v4, v3, 2, v4
	s_mov_b64 s[0:1], 0
	v_mov_b32_e32 v5, s19
.LBB36_15:                              ; =>This Inner Loop Header: Depth=1
	v_ashrrev_i32_e32 v3, 31, v2
	v_lshlrev_b64 v[6:7], 2, v[2:3]
	v_add_co_u32_e32 v6, vcc, s18, v6
	v_addc_co_u32_e32 v7, vcc, v5, v7, vcc
	global_load_dword v3, v[6:7], off
	v_add_u32_e32 v2, 64, v2
	v_cmp_lt_i32_e32 vcc, s33, v2
	s_or_b64 s[0:1], vcc, s[0:1]
	s_waitcnt vmcnt(0)
	v_subrev_u32_e32 v3, s13, v3
	ds_write_b32 v4, v3
	v_add_u32_e32 v4, 0x100, v4
	s_andn2_b64 exec, exec, s[0:1]
	s_cbranch_execnz .LBB36_15
.LBB36_16:
	s_or_b64 exec, exec, s[2:3]
	s_load_dwordx2 s[20:21], s[4:5], 0x20
	v_cmp_gt_u32_e32 vcc, 16, v1
	v_lshlrev_b32_e32 v14, 3, v1
	s_and_saveexec_b64 s[0:1], vcc
	s_cbranch_execz .LBB36_19
; %bb.17:
	v_mul_u32_u24_e32 v2, 0x88, v0
	s_movk_i32 s2, 0x1980
	v_add3_u32 v5, v2, v14, s2
	v_mov_b32_e32 v2, 0
	v_add_u32_e32 v4, -4, v1
	s_mov_b64 s[2:3], 0
	v_mov_b32_e32 v3, v2
.LBB36_18:                              ; =>This Inner Loop Header: Depth=1
	v_add_u32_e32 v4, 4, v4
	v_cmp_lt_u32_e32 vcc, 11, v4
	ds_write_b64 v5, v[2:3]
	s_or_b64 s[2:3], vcc, s[2:3]
	v_add_u32_e32 v5, 32, v5
	s_andn2_b64 exec, exec, s[2:3]
	s_cbranch_execnz .LBB36_18
.LBB36_19:
	s_or_b64 exec, exec, s[0:1]
	s_load_dword s45, s[4:5], 0x8
	s_load_dword s46, s[4:5], 0x0
	s_cmp_ge_i32 s44, s33
	s_waitcnt lgkmcnt(0)
	v_cmp_gt_i32_e64 s[0:1], s45, v1
	s_cbranch_scc1 .LBB36_104
; %bb.20:
	v_or_b32_e32 v2, v1, v0
	s_mul_i32 s24, s45, s44
	s_cmp_lg_u32 s46, 0
	v_cmp_ne_u32_e64 s[4:5], 0, v2
	s_movk_i32 s48, 0x88
	v_add_u32_e32 v2, s24, v0
	s_cselect_b64 s[22:23], -1, 0
	s_cmp_gt_i32 s45, 0
	v_mad_u32_u24 v16, v0, s48, v14
	v_mul_lo_u32 v19, s45, v2
	v_mov_b32_e32 v2, 0x1100
	v_cmp_gt_i32_e64 s[2:3], s45, v0
	s_mul_i32 s47, s45, s45
	v_mul_lo_u32 v15, v0, s45
	v_add_u32_e32 v17, 0x880, v16
	v_mul_lo_u32 v18, v1, s45
	s_cselect_b64 s[24:25], -1, 0
	s_lshl_b32 s49, s45, 2
	v_mad_u32_u24 v20, v0, s48, v2
	v_mad_u32_u24 v21, v1, s48, v2
	v_add_u32_e32 v22, 0x1980, v16
	v_add_u32_e32 v23, 0x1100, v16
	v_mov_b32_e32 v2, 0
	v_mul_u32_u24_e32 v24, 0x88, v0
	v_mov_b32_e32 v25, 0x3ff00000
	s_mov_b32 s26, s44
	s_branch .LBB36_22
.LBB36_21:                              ;   in Loop: Header=BB36_22 Depth=1
	s_or_b64 exec, exec, s[28:29]
	s_add_i32 s26, s26, 1
	s_cmp_ge_i32 s26, s33
	s_waitcnt vmcnt(0)
	buffer_wbinvl1_vol
	v_add_u32_e32 v19, s47, v19
	s_cselect_b64 s[28:29], -1, 0
	s_and_b64 vcc, exec, s[28:29]
	s_cbranch_vccnz .LBB36_104
.LBB36_22:                              ; =>This Loop Header: Depth=1
                                        ;     Child Loop BB36_26 Depth 2
                                        ;     Child Loop BB36_39 Depth 2
	;; [unrolled: 1-line block ×5, first 2 shown]
                                        ;       Child Loop BB36_71 Depth 3
                                        ;     Child Loop BB36_84 Depth 2
                                        ;       Child Loop BB36_90 Depth 3
                                        ;       Child Loop BB36_93 Depth 3
                                        ;     Child Loop BB36_98 Depth 2
	s_ashr_i32 s27, s26, 31
	s_lshl_b64 s[28:29], s[26:27], 2
	s_add_u32 s28, s18, s28
	s_addc_u32 s29, s19, s29
	s_load_dword s50, s[28:29], 0x0
	s_waitcnt lgkmcnt(0)
	s_sub_i32 s30, s50, s13
	s_ashr_i32 s31, s30, 31
	s_lshl_b64 s[28:29], s[30:31], 2
	s_add_u32 s34, s8, s28
	s_addc_u32 s35, s9, s29
	s_load_dword s31, s[34:35], 0x0
	s_waitcnt lgkmcnt(0)
	s_cmp_eq_u32 s31, -1
	s_cbranch_scc1 .LBB36_103
; %bb.23:                               ;   in Loop: Header=BB36_22 Depth=1
	s_add_u32 s34, s16, s28
	s_addc_u32 s35, s17, s29
	s_load_dword s51, s[34:35], 0x0
	s_mul_i32 s27, s26, s45
	s_and_saveexec_b64 s[34:35], s[0:1]
	s_cbranch_execz .LBB36_36
; %bb.24:                               ;   in Loop: Header=BB36_22 Depth=1
	s_mov_b64 s[36:37], 0
	v_mov_b32_e32 v8, v17
	v_mov_b32_e32 v9, v1
	s_branch .LBB36_26
.LBB36_25:                              ;   in Loop: Header=BB36_26 Depth=2
	s_or_b64 exec, exec, s[40:41]
	v_add_u32_e32 v9, 4, v9
	v_mov_b32_e32 v3, v2
	v_cmp_le_i32_e32 vcc, s45, v9
	s_waitcnt vmcnt(0)
	ds_write_b64 v8, v[6:7] offset:2176
	ds_write_b64 v8, v[2:3]
	s_or_b64 s[36:37], vcc, s[36:37]
	v_add_u32_e32 v8, 32, v8
	s_andn2_b64 exec, exec, s[36:37]
	s_cbranch_execz .LBB36_36
.LBB36_26:                              ;   Parent Loop BB36_22 Depth=1
                                        ; =>  This Inner Loop Header: Depth=2
	s_and_b64 vcc, exec, s[22:23]
	s_cbranch_vccz .LBB36_31
; %bb.27:                               ;   in Loop: Header=BB36_26 Depth=2
	s_mov_b64 s[40:41], 0
	s_mov_b64 s[38:39], 0
                                        ; implicit-def: $vgpr4
	s_and_saveexec_b64 s[42:43], s[2:3]
	s_xor_b64 s[42:43], exec, s[42:43]
; %bb.28:                               ;   in Loop: Header=BB36_26 Depth=2
	v_add_u32_e32 v3, s27, v9
	s_mov_b64 s[38:39], exec
	v_mad_u64_u32 v[4:5], s[52:53], v3, s45, v[0:1]
; %bb.29:                               ;   in Loop: Header=BB36_26 Depth=2
	s_or_b64 exec, exec, s[42:43]
	s_and_b64 vcc, exec, s[40:41]
	s_cbranch_vccnz .LBB36_32
.LBB36_30:                              ;   in Loop: Header=BB36_26 Depth=2
	v_pk_mov_b32 v[6:7], s[40:41], s[40:41] op_sel:[0,1]
	s_and_saveexec_b64 s[40:41], s[38:39]
	s_cbranch_execz .LBB36_25
	s_branch .LBB36_35
.LBB36_31:                              ;   in Loop: Header=BB36_26 Depth=2
	s_mov_b64 s[40:41], -1
	s_mov_b64 s[38:39], 0
                                        ; implicit-def: $vgpr4
	s_cbranch_execz .LBB36_30
.LBB36_32:                              ;   in Loop: Header=BB36_26 Depth=2
                                        ; implicit-def: $vgpr4
	s_and_saveexec_b64 s[40:41], s[2:3]
; %bb.33:                               ;   in Loop: Header=BB36_26 Depth=2
	v_add_u32_e32 v4, v19, v9
	s_or_b64 s[38:39], s[38:39], exec
; %bb.34:                               ;   in Loop: Header=BB36_26 Depth=2
	s_or_b64 exec, exec, s[40:41]
	s_mov_b64 s[40:41], 0
	v_pk_mov_b32 v[6:7], s[40:41], s[40:41] op_sel:[0,1]
	s_and_saveexec_b64 s[40:41], s[38:39]
	s_cbranch_execz .LBB36_25
.LBB36_35:                              ;   in Loop: Header=BB36_26 Depth=2
	v_ashrrev_i32_e32 v5, 31, v4
	v_lshlrev_b64 v[4:5], 3, v[4:5]
	v_mov_b32_e32 v3, s21
	v_add_co_u32_e32 v4, vcc, s20, v4
	v_addc_co_u32_e32 v5, vcc, v3, v5, vcc
	global_load_dwordx2 v[6:7], v[4:5], off
	s_branch .LBB36_25
.LBB36_36:                              ;   in Loop: Header=BB36_22 Depth=1
	s_or_b64 exec, exec, s[34:35]
; %bb.37:                               ;   in Loop: Header=BB36_22 Depth=1
	ds_read_b32 v3, v2 offset:9728
	s_waitcnt lgkmcnt(0)
	s_sub_i32 s34, s51, s13
	s_cmp_le_i32 s34, s31
	s_cselect_b64 s[36:37], -1, 0
	s_mov_b32 s40, 0
	v_cmp_ge_i32_e32 vcc, s30, v3
	s_and_b64 s[36:37], s[36:37], vcc
	s_andn2_b64 vcc, exec, s[36:37]
	s_cbranch_vccnz .LBB36_49
; %bb.38:                               ;   in Loop: Header=BB36_22 Depth=1
	s_mov_b32 s38, 0
	s_mov_b32 s39, 0
.LBB36_39:                              ;   Parent Loop BB36_22 Depth=1
                                        ; =>  This Inner Loop Header: Depth=2
	s_ashr_i32 s35, s34, 31
	s_lshl_b64 s[36:37], s[34:35], 2
	s_add_u32 s36, s18, s36
	s_addc_u32 s37, s19, s37
	s_load_dword s35, s[36:37], 0x0
	s_lshl_b32 s36, s39, 2
	v_mov_b32_e32 v3, s36
	ds_read_b32 v3, v3 offset:9728
	s_mov_b64 s[36:37], -1
	s_waitcnt lgkmcnt(0)
	s_sub_i32 s43, s35, s13
                                        ; implicit-def: $sgpr40
                                        ; implicit-def: $sgpr42
                                        ; implicit-def: $sgpr41
	v_cmp_ge_i32_e32 vcc, s43, v3
	v_readfirstlane_b32 s35, v3
	s_cbranch_vccz .LBB36_45
; %bb.40:                               ;   in Loop: Header=BB36_39 Depth=2
	s_cmp_le_i32 s43, s35
                                        ; implicit-def: $sgpr40
                                        ; implicit-def: $sgpr42
                                        ; implicit-def: $sgpr41
	s_cbranch_scc0 .LBB36_42
; %bb.41:                               ;   in Loop: Header=BB36_39 Depth=2
	s_add_i32 s36, s39, s44
	s_mul_i32 s36, s36, s47
	s_lshl_b32 s37, s38, 2
	v_mov_b32_e32 v4, s36
	s_mul_i32 s36, s34, s47
	v_mov_b32_e32 v3, s37
	v_mov_b32_e32 v5, s36
	ds_write2st64_b32 v3, v5, v4 offset0:34 offset1:36
	s_add_i32 s41, s39, 1
	s_add_i32 s42, s34, 1
	;; [unrolled: 1-line block ×3, first 2 shown]
	s_mov_b64 s[36:37], 0
.LBB36_42:                              ;   in Loop: Header=BB36_39 Depth=2
	s_andn2_b64 vcc, exec, s[36:37]
	s_cbranch_vccnz .LBB36_44
; %bb.43:                               ;   in Loop: Header=BB36_39 Depth=2
	s_add_i32 s41, s39, 1
	s_mov_b32 s40, s38
	s_mov_b32 s42, s34
.LBB36_44:                              ;   in Loop: Header=BB36_39 Depth=2
	s_mov_b64 s[36:37], 0
.LBB36_45:                              ;   in Loop: Header=BB36_39 Depth=2
	s_andn2_b64 vcc, exec, s[36:37]
	s_cbranch_vccnz .LBB36_47
; %bb.46:                               ;   in Loop: Header=BB36_39 Depth=2
	s_add_i32 s42, s34, 1
	s_mov_b32 s41, s39
	s_mov_b32 s40, s38
.LBB36_47:                              ;   in Loop: Header=BB36_39 Depth=2
	s_cmp_le_i32 s42, s31
	s_cselect_b64 s[36:37], -1, 0
	s_cmp_le_i32 s35, s30
	s_cselect_b64 s[34:35], -1, 0
	s_and_b64 s[34:35], s[36:37], s[34:35]
	s_and_b64 vcc, exec, s[34:35]
	s_cbranch_vccz .LBB36_49
; %bb.48:                               ;   in Loop: Header=BB36_39 Depth=2
	s_mov_b32 s38, s40
	s_mov_b32 s34, s42
	;; [unrolled: 1-line block ×3, first 2 shown]
	s_branch .LBB36_39
.LBB36_49:                              ;   in Loop: Header=BB36_22 Depth=1
	s_add_u32 s28, s10, s28
	s_addc_u32 s29, s11, s29
	s_waitcnt lgkmcnt(0)
.LBB36_50:                              ;   Parent Loop BB36_22 Depth=1
                                        ; =>  This Inner Loop Header: Depth=2
	global_load_dword v3, v2, s[28:29] glc
	s_waitcnt vmcnt(0)
	v_cmp_eq_u32_e32 vcc, 0, v3
	s_cbranch_vccnz .LBB36_50
; %bb.51:                               ;   in Loop: Header=BB36_22 Depth=1
	buffer_wbinvl1_vol
	s_and_saveexec_b64 s[28:29], s[0:1]
	s_cbranch_execz .LBB36_64
; %bb.52:                               ;   in Loop: Header=BB36_22 Depth=1
	s_mul_i32 s41, s31, s45
	v_add_u32_e32 v3, s41, v0
	v_mul_lo_u32 v3, v3, s45
	s_mov_b64 s[30:31], 0
	v_mov_b32_e32 v8, v16
	v_mov_b32_e32 v9, v1
	s_branch .LBB36_54
.LBB36_53:                              ;   in Loop: Header=BB36_54 Depth=2
	s_or_b64 exec, exec, s[36:37]
	v_add_u32_e32 v9, 4, v9
	v_cmp_le_i32_e32 vcc, s45, v9
	s_waitcnt vmcnt(0)
	ds_write_b64 v8, v[6:7]
	s_or_b64 s[30:31], vcc, s[30:31]
	v_add_u32_e32 v8, 32, v8
	s_andn2_b64 exec, exec, s[30:31]
	s_cbranch_execz .LBB36_64
.LBB36_54:                              ;   Parent Loop BB36_22 Depth=1
                                        ; =>  This Inner Loop Header: Depth=2
	s_and_b64 vcc, exec, s[22:23]
	s_cbranch_vccz .LBB36_59
; %bb.55:                               ;   in Loop: Header=BB36_54 Depth=2
	s_mov_b64 s[36:37], 0
	s_mov_b64 s[34:35], 0
                                        ; implicit-def: $vgpr4
	s_and_saveexec_b64 s[38:39], s[2:3]
	s_xor_b64 s[38:39], exec, s[38:39]
; %bb.56:                               ;   in Loop: Header=BB36_54 Depth=2
	v_add_u32_e32 v4, s41, v9
	s_mov_b64 s[34:35], exec
	v_mad_u64_u32 v[4:5], s[42:43], v4, s45, v[0:1]
; %bb.57:                               ;   in Loop: Header=BB36_54 Depth=2
	s_or_b64 exec, exec, s[38:39]
	s_and_b64 vcc, exec, s[36:37]
	s_cbranch_vccnz .LBB36_60
.LBB36_58:                              ;   in Loop: Header=BB36_54 Depth=2
	v_pk_mov_b32 v[6:7], s[36:37], s[36:37] op_sel:[0,1]
	s_and_saveexec_b64 s[36:37], s[34:35]
	s_cbranch_execz .LBB36_53
	s_branch .LBB36_63
.LBB36_59:                              ;   in Loop: Header=BB36_54 Depth=2
	s_mov_b64 s[36:37], -1
	s_mov_b64 s[34:35], 0
                                        ; implicit-def: $vgpr4
	s_cbranch_execz .LBB36_58
.LBB36_60:                              ;   in Loop: Header=BB36_54 Depth=2
                                        ; implicit-def: $vgpr4
	s_and_saveexec_b64 s[36:37], s[2:3]
; %bb.61:                               ;   in Loop: Header=BB36_54 Depth=2
	v_add_u32_e32 v4, v3, v9
	s_or_b64 s[34:35], s[34:35], exec
; %bb.62:                               ;   in Loop: Header=BB36_54 Depth=2
	s_or_b64 exec, exec, s[36:37]
	s_mov_b64 s[36:37], 0
	v_pk_mov_b32 v[6:7], s[36:37], s[36:37] op_sel:[0,1]
	s_and_saveexec_b64 s[36:37], s[34:35]
	s_cbranch_execz .LBB36_53
.LBB36_63:                              ;   in Loop: Header=BB36_54 Depth=2
	v_ashrrev_i32_e32 v5, 31, v4
	v_lshlrev_b64 v[4:5], 3, v[4:5]
	v_mov_b32_e32 v6, s21
	v_add_co_u32_e32 v4, vcc, s20, v4
	v_addc_co_u32_e32 v5, vcc, v6, v5, vcc
	global_load_dwordx2 v[6:7], v[4:5], off
	s_branch .LBB36_53
.LBB36_64:                              ;   in Loop: Header=BB36_22 Depth=1
	s_or_b64 exec, exec, s[28:29]
; %bb.65:                               ;   in Loop: Header=BB36_22 Depth=1
	s_cmp_lt_i32 s40, 2
	s_cbranch_scc1 .LBB36_81
; %bb.66:                               ;   in Loop: Header=BB36_22 Depth=1
	s_add_i32 s36, s40, -2
	s_mov_b32 s37, 0
	s_branch .LBB36_68
.LBB36_67:                              ;   in Loop: Header=BB36_68 Depth=2
	s_or_b64 exec, exec, s[28:29]
	s_add_i32 s28, s37, 1
	s_cmp_eq_u32 s37, s36
	s_mov_b32 s37, s28
	s_cbranch_scc1 .LBB36_81
.LBB36_68:                              ;   Parent Loop BB36_22 Depth=1
                                        ; =>  This Loop Header: Depth=2
                                        ;       Child Loop BB36_71 Depth 3
	s_and_saveexec_b64 s[28:29], s[0:1]
	s_cbranch_execz .LBB36_67
; %bb.69:                               ;   in Loop: Header=BB36_68 Depth=2
	s_lshl_b32 s30, s37, 2
	v_mov_b32_e32 v3, s30
	ds_read2st64_b32 v[4:5], v3 offset0:34 offset1:36
	s_mov_b64 s[30:31], 0
	v_mov_b32_e32 v29, v1
	s_waitcnt lgkmcnt(0)
	v_add_u32_e32 v3, v5, v15
	v_add_u32_e32 v26, v0, v5
	;; [unrolled: 1-line block ×4, first 2 shown]
	s_branch .LBB36_71
.LBB36_70:                              ;   in Loop: Header=BB36_71 Depth=3
	v_lshlrev_b32_e32 v4, 3, v29
	v_mad_u32_u24 v6, v0, s48, v4
	ds_read_b64 v[4:5], v6 offset:2176
	v_add_u32_e32 v29, 4, v29
	v_cmp_le_i32_e32 vcc, s45, v29
	v_add_u32_e32 v27, 4, v27
	s_or_b64 s[30:31], vcc, s[30:31]
	s_waitcnt lgkmcnt(0)
	v_add_f64 v[4:5], v[10:11], v[4:5]
	v_add_u32_e32 v28, s49, v28
	ds_write_b64 v6, v[4:5] offset:2176
	s_andn2_b64 exec, exec, s[30:31]
	s_cbranch_execz .LBB36_67
.LBB36_71:                              ;   Parent Loop BB36_22 Depth=1
                                        ;     Parent Loop BB36_68 Depth=2
                                        ; =>    This Inner Loop Header: Depth=3
	s_mov_b32 s38, 0
	v_pk_mov_b32 v[8:9], 0, 0
	v_mov_b32_e32 v4, v27
	v_mov_b32_e32 v6, v26
	s_and_b64 vcc, exec, s[22:23]
	s_cbranch_vccz .LBB36_75
.LBB36_72:                              ;   in Loop: Header=BB36_71 Depth=3
	v_ashrrev_i32_e32 v5, 31, v4
	v_lshlrev_b64 v[10:11], 3, v[4:5]
	v_mov_b32_e32 v5, s21
	v_add_co_u32_e32 v10, vcc, s20, v10
	v_addc_co_u32_e32 v11, vcc, v5, v11, vcc
	global_load_dwordx2 v[10:11], v[10:11], off
	v_pk_mov_b32 v[12:13], 0, 0
	s_and_saveexec_b64 s[34:35], s[2:3]
	s_cbranch_execz .LBB36_74
; %bb.73:                               ;   in Loop: Header=BB36_71 Depth=3
	v_ashrrev_i32_e32 v7, 31, v6
	v_lshlrev_b64 v[12:13], 3, v[6:7]
	v_mov_b32_e32 v5, s21
	v_add_co_u32_e32 v12, vcc, s20, v12
	v_addc_co_u32_e32 v13, vcc, v5, v13, vcc
	global_load_dwordx2 v[12:13], v[12:13], off
.LBB36_74:                              ;   in Loop: Header=BB36_71 Depth=3
	s_or_b64 exec, exec, s[34:35]
	s_waitcnt vmcnt(0)
	v_fma_f64 v[10:11], v[10:11], v[12:13], v[8:9]
	s_branch .LBB36_79
.LBB36_75:                              ;   in Loop: Header=BB36_71 Depth=3
                                        ; implicit-def: $vgpr10_vgpr11
	s_cbranch_execz .LBB36_79
; %bb.76:                               ;   in Loop: Header=BB36_71 Depth=3
	v_add_u32_e32 v10, s38, v28
	v_ashrrev_i32_e32 v11, 31, v10
	v_lshlrev_b64 v[10:11], 3, v[10:11]
	v_mov_b32_e32 v5, s21
	v_add_co_u32_e32 v10, vcc, s20, v10
	v_addc_co_u32_e32 v11, vcc, v5, v11, vcc
	global_load_dwordx2 v[10:11], v[10:11], off
	v_pk_mov_b32 v[12:13], 0, 0
	s_and_saveexec_b64 s[34:35], s[2:3]
	s_cbranch_execz .LBB36_78
; %bb.77:                               ;   in Loop: Header=BB36_71 Depth=3
	v_add_u32_e32 v12, s38, v3
	v_ashrrev_i32_e32 v13, 31, v12
	v_lshlrev_b64 v[12:13], 3, v[12:13]
	v_mov_b32_e32 v5, s21
	v_add_co_u32_e32 v12, vcc, s20, v12
	v_addc_co_u32_e32 v13, vcc, v5, v13, vcc
	global_load_dwordx2 v[12:13], v[12:13], off
.LBB36_78:                              ;   in Loop: Header=BB36_71 Depth=3
	s_or_b64 exec, exec, s[34:35]
	s_waitcnt vmcnt(0)
	v_fmac_f64_e32 v[8:9], v[10:11], v[12:13]
	v_pk_mov_b32 v[10:11], v[8:9], v[8:9] op_sel:[0,1]
.LBB36_79:                              ;   in Loop: Header=BB36_71 Depth=3
	s_add_i32 s38, s38, 1
	v_add_u32_e32 v6, s45, v6
	s_cmp_eq_u32 s45, s38
	v_add_u32_e32 v4, s45, v4
	s_cbranch_scc1 .LBB36_70
; %bb.80:                               ;   in Loop: Header=BB36_71 Depth=3
	v_pk_mov_b32 v[8:9], v[10:11], v[10:11] op_sel:[0,1]
	s_and_b64 vcc, exec, s[22:23]
	s_cbranch_vccnz .LBB36_72
	s_branch .LBB36_75
.LBB36_81:                              ;   in Loop: Header=BB36_22 Depth=1
	s_andn2_b64 vcc, exec, s[24:25]
	s_waitcnt lgkmcnt(0)
	s_cbranch_vccnz .LBB36_94
; %bb.82:                               ;   in Loop: Header=BB36_22 Depth=1
	s_mov_b32 s34, 0
	s_mov_b32 s35, 0
	v_mov_b32_e32 v3, v21
	s_branch .LBB36_84
.LBB36_83:                              ;   in Loop: Header=BB36_84 Depth=2
	s_or_b64 exec, exec, s[28:29]
	s_add_i32 s35, s35, 1
	s_addk_i32 s34, 0x88
	s_cmp_eq_u32 s35, s45
	v_add_u32_e32 v3, 8, v3
	s_waitcnt lgkmcnt(0)
	s_cbranch_scc1 .LBB36_94
.LBB36_84:                              ;   Parent Loop BB36_22 Depth=1
                                        ; =>  This Loop Header: Depth=2
                                        ;       Child Loop BB36_90 Depth 3
                                        ;       Child Loop BB36_93 Depth 3
	s_lshl_b32 s28, s35, 3
	s_mul_i32 s29, s35, 0x88
	s_add_i32 s29, s28, s29
	v_mov_b32_e32 v4, s29
	ds_read_b64 v[6:7], v4
	v_mov_b32_e32 v4, s28
	v_mad_u32_u24 v10, v0, s48, v4
	ds_read_b64 v[4:5], v10 offset:4352
	s_waitcnt lgkmcnt(1)
	v_cmp_neq_f64_e32 vcc, 0, v[6:7]
	s_or_b64 s[28:29], vcc, s[4:5]
	v_cndmask_b32_e32 v7, v25, v7, vcc
	s_xor_b64 s[30:31], s[28:29], -1
	v_cndmask_b32_e32 v6, 0, v6, vcc
	s_and_saveexec_b64 s[28:29], s[30:31]
	s_cbranch_execz .LBB36_88
; %bb.85:                               ;   in Loop: Header=BB36_84 Depth=2
	v_mbcnt_lo_u32_b32 v6, exec_lo, 0
	v_mbcnt_hi_u32_b32 v6, exec_hi, v6
	v_cmp_eq_u32_e32 vcc, 0, v6
	s_and_saveexec_b64 s[30:31], vcc
	s_cbranch_execz .LBB36_87
; %bb.86:                               ;   in Loop: Header=BB36_84 Depth=2
	v_mov_b32_e32 v6, s50
	global_atomic_smin v2, v6, s[14:15]
.LBB36_87:                              ;   in Loop: Header=BB36_84 Depth=2
	s_or_b64 exec, exec, s[30:31]
	v_mov_b32_e32 v6, 0
	v_mov_b32_e32 v7, 0x3ff00000
.LBB36_88:                              ;   in Loop: Header=BB36_84 Depth=2
	s_or_b64 exec, exec, s[28:29]
	v_lshl_add_u32 v8, s35, 3, v24
	ds_read_b64 v[8:9], v8 offset:2176
	s_cmp_eq_u32 s35, 0
	s_cbranch_scc1 .LBB36_91
; %bb.89:                               ;   in Loop: Header=BB36_84 Depth=2
	s_mov_b32 s28, 0
	v_mov_b32_e32 v11, v20
	s_mov_b32 s29, s34
.LBB36_90:                              ;   Parent Loop BB36_22 Depth=1
                                        ;     Parent Loop BB36_84 Depth=2
                                        ; =>    This Inner Loop Header: Depth=3
	v_mov_b32_e32 v26, s29
	ds_read_b64 v[12:13], v11
	ds_read_b64 v[26:27], v26
	s_add_i32 s28, s28, 1
	s_add_i32 s29, s29, 8
	v_add_u32_e32 v11, 8, v11
	s_cmp_ge_u32 s28, s35
	s_waitcnt lgkmcnt(0)
	v_fmac_f64_e32 v[8:9], v[26:27], v[12:13]
	s_cbranch_scc0 .LBB36_90
.LBB36_91:                              ;   in Loop: Header=BB36_84 Depth=2
	s_waitcnt lgkmcnt(0)
	v_add_f64 v[4:5], v[4:5], -v[8:9]
	v_div_scale_f64 v[8:9], s[28:29], v[6:7], v[6:7], v[4:5]
	v_rcp_f64_e32 v[12:13], v[8:9]
	v_div_scale_f64 v[26:27], vcc, v[4:5], v[6:7], v[4:5]
	v_add_u32_e32 v10, 0x1100, v10
	v_fma_f64 v[28:29], -v[8:9], v[12:13], 1.0
	v_fmac_f64_e32 v[12:13], v[12:13], v[28:29]
	v_fma_f64 v[28:29], -v[8:9], v[12:13], 1.0
	v_fmac_f64_e32 v[12:13], v[12:13], v[28:29]
	v_mul_f64 v[28:29], v[26:27], v[12:13]
	v_fma_f64 v[8:9], -v[8:9], v[28:29], v[26:27]
	v_div_fmas_f64 v[8:9], v[8:9], v[12:13], v[28:29]
	v_div_fixup_f64 v[4:5], v[8:9], v[6:7], v[4:5]
	ds_write_b64 v10, v[4:5]
	s_waitcnt lgkmcnt(0)
	s_and_saveexec_b64 s[28:29], s[0:1]
	s_cbranch_execz .LBB36_83
; %bb.92:                               ;   in Loop: Header=BB36_84 Depth=2
	s_mov_b64 s[30:31], 0
	v_mov_b32_e32 v6, v22
	v_mov_b32_e32 v7, v3
	;; [unrolled: 1-line block ×3, first 2 shown]
.LBB36_93:                              ;   Parent Loop BB36_22 Depth=1
                                        ;     Parent Loop BB36_84 Depth=2
                                        ; =>    This Inner Loop Header: Depth=3
	ds_read_b64 v[10:11], v7
	ds_read_b64 v[12:13], v6
	v_add_u32_e32 v8, 4, v8
	v_cmp_le_i32_e32 vcc, s45, v8
	v_add_u32_e32 v7, 0x220, v7
	s_or_b64 s[30:31], vcc, s[30:31]
	s_waitcnt lgkmcnt(0)
	v_fmac_f64_e32 v[12:13], v[4:5], v[10:11]
	ds_write_b64 v6, v[12:13]
	v_add_u32_e32 v6, 32, v6
	s_andn2_b64 exec, exec, s[30:31]
	s_cbranch_execnz .LBB36_93
	s_branch .LBB36_83
.LBB36_94:                              ;   in Loop: Header=BB36_22 Depth=1
	s_and_saveexec_b64 s[28:29], s[0:1]
	s_cbranch_execz .LBB36_21
; %bb.95:                               ;   in Loop: Header=BB36_22 Depth=1
	s_mov_b64 s[30:31], 0
	v_mov_b32_e32 v3, v23
	v_mov_b32_e32 v8, v1
	s_branch .LBB36_98
.LBB36_96:                              ;   in Loop: Header=BB36_98 Depth=2
	v_ashrrev_i32_e32 v7, 31, v6
	v_lshlrev_b64 v[6:7], 3, v[6:7]
	v_mov_b32_e32 v9, s21
	v_add_co_u32_e32 v6, vcc, s20, v6
	v_addc_co_u32_e32 v7, vcc, v9, v7, vcc
	s_waitcnt lgkmcnt(0)
	global_store_dwordx2 v[6:7], v[4:5], off
.LBB36_97:                              ;   in Loop: Header=BB36_98 Depth=2
	s_or_b64 exec, exec, s[34:35]
	v_add_u32_e32 v8, 4, v8
	v_cmp_le_i32_e32 vcc, s45, v8
	s_or_b64 s[30:31], vcc, s[30:31]
	v_add_u32_e32 v3, 32, v3
	s_andn2_b64 exec, exec, s[30:31]
	s_cbranch_execz .LBB36_21
.LBB36_98:                              ;   Parent Loop BB36_22 Depth=1
                                        ; =>  This Inner Loop Header: Depth=2
	s_and_saveexec_b64 s[34:35], s[2:3]
	s_cbranch_execz .LBB36_97
; %bb.99:                               ;   in Loop: Header=BB36_98 Depth=2
	ds_read_b64 v[4:5], v3
	s_and_b64 vcc, exec, s[22:23]
	s_cbranch_vccz .LBB36_101
; %bb.100:                              ;   in Loop: Header=BB36_98 Depth=2
	v_add_u32_e32 v6, s27, v8
	v_mad_u64_u32 v[6:7], s[36:37], v6, s45, v[0:1]
	s_cbranch_execnz .LBB36_96
	s_branch .LBB36_102
.LBB36_101:                             ;   in Loop: Header=BB36_98 Depth=2
                                        ; implicit-def: $vgpr6
.LBB36_102:                             ;   in Loop: Header=BB36_98 Depth=2
	v_add_u32_e32 v6, v19, v8
	s_branch .LBB36_96
.LBB36_103:                             ;   in Loop: Header=BB36_22 Depth=1
                                        ; implicit-def: $sgpr26
                                        ; implicit-def: $vgpr19
	s_cbranch_execz .LBB36_22
.LBB36_104:
	v_cmp_gt_i32_e64 s[0:1], s45, v1
	s_and_saveexec_b64 s[4:5], s[0:1]
	s_cbranch_execz .LBB36_117
; %bb.105:
	s_mul_i32 s26, s33, s45
	v_add_u32_e32 v2, s26, v0
	s_cmp_lg_u32 s46, 0
	v_mul_lo_u32 v6, v2, s45
	v_mul_u32_u24_e32 v2, 0x88, v0
	s_movk_i32 s16, 0x1100
	s_cselect_b64 s[8:9], -1, 0
	v_cmp_gt_i32_e64 s[2:3], s45, v0
	v_add3_u32 v7, v2, v14, s16
	s_mov_b64 s[16:17], 0
	v_mov_b32_e32 v8, v1
	s_branch .LBB36_107
.LBB36_106:                             ;   in Loop: Header=BB36_107 Depth=1
	s_or_b64 exec, exec, s[22:23]
	v_add_u32_e32 v8, 4, v8
	v_cmp_le_i32_e32 vcc, s45, v8
	s_waitcnt vmcnt(0)
	ds_write_b64 v7, v[4:5]
	s_or_b64 s[16:17], vcc, s[16:17]
	v_add_u32_e32 v7, 32, v7
	s_andn2_b64 exec, exec, s[16:17]
	s_cbranch_execz .LBB36_117
.LBB36_107:                             ; =>This Inner Loop Header: Depth=1
	s_and_b64 vcc, exec, s[8:9]
	s_cbranch_vccz .LBB36_112
; %bb.108:                              ;   in Loop: Header=BB36_107 Depth=1
	s_mov_b64 s[22:23], 0
	s_mov_b64 s[18:19], 0
                                        ; implicit-def: $vgpr2
	s_and_saveexec_b64 s[24:25], s[2:3]
	s_xor_b64 s[24:25], exec, s[24:25]
; %bb.109:                              ;   in Loop: Header=BB36_107 Depth=1
	v_add_u32_e32 v2, s26, v8
	s_mov_b64 s[18:19], exec
	v_mad_u64_u32 v[2:3], s[28:29], v2, s45, v[0:1]
; %bb.110:                              ;   in Loop: Header=BB36_107 Depth=1
	s_or_b64 exec, exec, s[24:25]
	s_and_b64 vcc, exec, s[22:23]
	s_cbranch_vccnz .LBB36_113
.LBB36_111:                             ;   in Loop: Header=BB36_107 Depth=1
	v_pk_mov_b32 v[4:5], s[22:23], s[22:23] op_sel:[0,1]
	s_and_saveexec_b64 s[22:23], s[18:19]
	s_cbranch_execz .LBB36_106
	s_branch .LBB36_116
.LBB36_112:                             ;   in Loop: Header=BB36_107 Depth=1
	s_mov_b64 s[22:23], -1
	s_mov_b64 s[18:19], 0
                                        ; implicit-def: $vgpr2
	s_cbranch_execz .LBB36_111
.LBB36_113:                             ;   in Loop: Header=BB36_107 Depth=1
                                        ; implicit-def: $vgpr2
	s_and_saveexec_b64 s[22:23], s[2:3]
; %bb.114:                              ;   in Loop: Header=BB36_107 Depth=1
	v_add_u32_e32 v2, v6, v8
	s_or_b64 s[18:19], s[18:19], exec
; %bb.115:                              ;   in Loop: Header=BB36_107 Depth=1
	s_or_b64 exec, exec, s[22:23]
	s_mov_b64 s[22:23], 0
	v_pk_mov_b32 v[4:5], s[22:23], s[22:23] op_sel:[0,1]
	s_and_saveexec_b64 s[22:23], s[18:19]
	s_cbranch_execz .LBB36_106
.LBB36_116:                             ;   in Loop: Header=BB36_107 Depth=1
	v_ashrrev_i32_e32 v3, 31, v2
	v_lshlrev_b64 v[2:3], 3, v[2:3]
	v_mov_b32_e32 v4, s21
	v_add_co_u32_e32 v2, vcc, s20, v2
	v_addc_co_u32_e32 v3, vcc, v4, v3, vcc
	global_load_dwordx2 v[4:5], v[2:3], off
	s_branch .LBB36_106
.LBB36_117:
	s_or_b64 exec, exec, s[4:5]
; %bb.118:
	s_cmp_lt_i32 s45, 1
	s_waitcnt lgkmcnt(0)
	s_cbranch_scc1 .LBB36_131
; %bb.119:
	v_or_b32_e32 v2, v1, v0
	v_cmp_ne_u32_e64 s[2:3], 0, v2
	v_lshlrev_b32_e32 v2, 3, v0
	s_movk_i32 s22, 0x88
	v_mad_u32_u24 v2, v0, s22, v2
	v_mul_u32_u24_e32 v7, 0x88, v0
	s_movk_i32 s4, 0x1980
	v_add_u32_e32 v6, 0x1100, v2
	v_add_u32_e32 v8, 0x1980, v2
	v_mov_b32_e32 v2, 0x1100
	v_add3_u32 v10, v7, v14, s4
	s_mov_b32 s4, 0
	s_mov_b32 s18, 0
	s_add_i32 s19, s12, s13
	v_mad_u32_u24 v9, v1, s22, v2
	s_brev_b32 s5, 8
	v_mov_b32_e32 v11, 0x260
	v_mov_b32_e32 v12, 0x3ff00000
	;; [unrolled: 1-line block ×4, first 2 shown]
	s_branch .LBB36_121
.LBB36_120:                             ;   in Loop: Header=BB36_121 Depth=1
	s_or_b64 exec, exec, s[8:9]
	s_add_i32 s18, s18, 1
	s_cmp_eq_u32 s18, s45
	v_add_u32_e32 v9, 8, v9
	s_waitcnt lgkmcnt(0)
	s_cbranch_scc1 .LBB36_131
.LBB36_121:                             ; =>This Loop Header: Depth=1
                                        ;     Child Loop BB36_130 Depth 2
	v_cmp_eq_u32_e32 vcc, s18, v0
	s_and_saveexec_b64 s[8:9], vcc
	s_cbranch_execz .LBB36_123
; %bb.122:                              ;   in Loop: Header=BB36_121 Depth=1
	ds_read_b64 v[2:3], v6
	ds_read_b64 v[4:5], v8
	s_waitcnt lgkmcnt(0)
	v_add_f64 v[2:3], v[2:3], -v[4:5]
	v_xor_b32_e32 v4, 0x80000000, v3
	v_cmp_gt_f64_e32 vcc, 0, v[2:3]
	v_cndmask_b32_e32 v3, v3, v4, vcc
	v_cndmask_b32_e32 v2, v2, v2, vcc
	v_cmp_gt_f64_e32 vcc, s[4:5], v[2:3]
	v_cndmask_b32_e64 v4, 0, 1, vcc
	v_lshlrev_b32_e32 v4, 8, v4
	v_ldexp_f64 v[2:3], v[2:3], v4
	v_rsq_f64_e32 v[4:5], v[2:3]
	v_cndmask_b32_e32 v20, 0, v15, vcc
	v_cmp_class_f64_e32 vcc, v[2:3], v11
	v_mul_f64 v[16:17], v[2:3], v[4:5]
	v_mul_f64 v[4:5], v[4:5], 0.5
	v_fma_f64 v[18:19], -v[4:5], v[16:17], 0.5
	v_fmac_f64_e32 v[16:17], v[16:17], v[18:19]
	v_fmac_f64_e32 v[4:5], v[4:5], v[18:19]
	v_fma_f64 v[18:19], -v[16:17], v[16:17], v[2:3]
	v_fmac_f64_e32 v[16:17], v[18:19], v[4:5]
	v_fma_f64 v[18:19], -v[16:17], v[16:17], v[2:3]
	v_fmac_f64_e32 v[16:17], v[18:19], v[4:5]
	v_ldexp_f64 v[4:5], v[16:17], v20
	v_cndmask_b32_e32 v3, v5, v3, vcc
	v_cndmask_b32_e32 v2, v4, v2, vcc
	ds_write_b64 v6, v[2:3]
.LBB36_123:                             ;   in Loop: Header=BB36_121 Depth=1
	s_or_b64 exec, exec, s[8:9]
	s_lshl_b32 s8, s18, 3
	s_mul_i32 s9, s18, 0x88
	s_add_i32 s9, s9, s8
	v_mov_b32_e32 v2, s9
	s_waitcnt lgkmcnt(0)
	ds_read_b64 v[4:5], v2 offset:4352
	v_mov_b32_e32 v2, s8
	v_mad_u32_u24 v16, v0, s22, v2
	ds_read_b64 v[2:3], v16 offset:4352
	s_waitcnt lgkmcnt(1)
	v_cmp_neq_f64_e32 vcc, 0, v[4:5]
	s_or_b64 s[8:9], vcc, s[2:3]
	v_cndmask_b32_e32 v5, v12, v5, vcc
	s_xor_b64 s[16:17], s[8:9], -1
	v_cndmask_b32_e32 v4, 0, v4, vcc
	s_and_saveexec_b64 s[8:9], s[16:17]
	s_cbranch_execz .LBB36_127
; %bb.124:                              ;   in Loop: Header=BB36_121 Depth=1
	v_mbcnt_lo_u32_b32 v4, exec_lo, 0
	v_mbcnt_hi_u32_b32 v4, exec_hi, v4
	v_cmp_eq_u32_e32 vcc, 0, v4
	s_and_saveexec_b64 s[16:17], vcc
	s_cbranch_execz .LBB36_126
; %bb.125:                              ;   in Loop: Header=BB36_121 Depth=1
	v_mov_b32_e32 v4, s19
	global_atomic_smin v13, v4, s[14:15]
.LBB36_126:                             ;   in Loop: Header=BB36_121 Depth=1
	s_or_b64 exec, exec, s[16:17]
	v_mov_b32_e32 v4, 0
	v_mov_b32_e32 v5, 0x3ff00000
.LBB36_127:                             ;   in Loop: Header=BB36_121 Depth=1
	s_or_b64 exec, exec, s[8:9]
	v_cmp_lt_u32_e32 vcc, s18, v0
	s_and_saveexec_b64 s[8:9], vcc
	s_cbranch_execz .LBB36_120
; %bb.128:                              ;   in Loop: Header=BB36_121 Depth=1
	v_lshl_add_u32 v17, s18, 3, v7
	ds_read_b64 v[18:19], v17 offset:6528
	v_add_u32_e32 v24, 0x1100, v16
	s_waitcnt lgkmcnt(0)
	v_add_f64 v[2:3], v[2:3], -v[18:19]
	v_div_scale_f64 v[18:19], s[16:17], v[4:5], v[4:5], v[2:3]
	v_rcp_f64_e32 v[20:21], v[18:19]
	v_div_scale_f64 v[16:17], vcc, v[2:3], v[4:5], v[2:3]
	v_fma_f64 v[22:23], -v[18:19], v[20:21], 1.0
	v_fmac_f64_e32 v[20:21], v[20:21], v[22:23]
	v_fma_f64 v[22:23], -v[18:19], v[20:21], 1.0
	v_fmac_f64_e32 v[20:21], v[20:21], v[22:23]
	v_mul_f64 v[22:23], v[16:17], v[20:21]
	v_fma_f64 v[16:17], -v[18:19], v[22:23], v[16:17]
	v_div_fmas_f64 v[16:17], v[16:17], v[20:21], v[22:23]
	v_div_fixup_f64 v[2:3], v[16:17], v[4:5], v[2:3]
	ds_write_b64 v24, v[2:3]
	s_waitcnt lgkmcnt(0)
	s_and_b64 exec, exec, s[0:1]
	s_cbranch_execz .LBB36_120
; %bb.129:                              ;   in Loop: Header=BB36_121 Depth=1
	s_mov_b64 s[16:17], 0
	v_mov_b32_e32 v4, v10
	v_mov_b32_e32 v5, v9
	;; [unrolled: 1-line block ×3, first 2 shown]
.LBB36_130:                             ;   Parent Loop BB36_121 Depth=1
                                        ; =>  This Inner Loop Header: Depth=2
	ds_read_b64 v[18:19], v5
	ds_read_b64 v[20:21], v4
	v_add_u32_e32 v16, 4, v16
	v_cmp_le_i32_e32 vcc, s45, v16
	v_add_u32_e32 v5, 0x220, v5
	s_or_b64 s[16:17], vcc, s[16:17]
	s_waitcnt lgkmcnt(0)
	v_fmac_f64_e32 v[20:21], v[2:3], v[18:19]
	ds_write_b64 v4, v[20:21]
	v_add_u32_e32 v4, 32, v4
	s_andn2_b64 exec, exec, s[16:17]
	s_cbranch_execnz .LBB36_130
	s_branch .LBB36_120
.LBB36_131:
	s_and_saveexec_b64 s[2:3], s[0:1]
	s_cbranch_execz .LBB36_140
; %bb.132:
	s_mul_i32 s33, s33, s45
	v_add_u32_e32 v2, s33, v0
	s_cmp_lg_u32 s46, 0
	v_mul_lo_u32 v6, v2, s45
	v_mul_u32_u24_e32 v2, 0x88, v0
	s_movk_i32 s8, 0x1100
	v_cmp_gt_i32_e64 s[0:1], s45, v0
	s_cselect_b64 s[4:5], -1, 0
	v_add3_u32 v7, v2, v14, s8
	s_mov_b64 s[8:9], 0
	v_mov_b32_e32 v8, v1
	s_branch .LBB36_135
.LBB36_133:                             ;   in Loop: Header=BB36_135 Depth=1
	v_ashrrev_i32_e32 v5, 31, v4
	v_lshlrev_b64 v[4:5], 3, v[4:5]
	v_mov_b32_e32 v9, s21
	v_add_co_u32_e32 v4, vcc, s20, v4
	v_addc_co_u32_e32 v5, vcc, v9, v5, vcc
	s_waitcnt lgkmcnt(0)
	global_store_dwordx2 v[4:5], v[2:3], off
.LBB36_134:                             ;   in Loop: Header=BB36_135 Depth=1
	s_or_b64 exec, exec, s[16:17]
	v_add_u32_e32 v8, 4, v8
	v_cmp_le_i32_e32 vcc, s45, v8
	s_or_b64 s[8:9], vcc, s[8:9]
	v_add_u32_e32 v7, 32, v7
	s_andn2_b64 exec, exec, s[8:9]
	s_cbranch_execz .LBB36_140
.LBB36_135:                             ; =>This Inner Loop Header: Depth=1
	s_and_saveexec_b64 s[16:17], s[0:1]
	s_cbranch_execz .LBB36_134
; %bb.136:                              ;   in Loop: Header=BB36_135 Depth=1
	ds_read_b64 v[2:3], v7
	s_and_b64 vcc, exec, s[4:5]
	s_cbranch_vccz .LBB36_138
; %bb.137:                              ;   in Loop: Header=BB36_135 Depth=1
	v_add_u32_e32 v4, s33, v8
	v_mad_u64_u32 v[4:5], s[18:19], v4, s45, v[0:1]
	s_cbranch_execnz .LBB36_133
	s_branch .LBB36_139
.LBB36_138:                             ;   in Loop: Header=BB36_135 Depth=1
                                        ; implicit-def: $vgpr4
.LBB36_139:                             ;   in Loop: Header=BB36_135 Depth=1
	v_add_u32_e32 v4, v6, v8
	s_branch .LBB36_133
.LBB36_140:
	s_or_b64 exec, exec, s[2:3]
	v_or_b32_e32 v2, v1, v0
	v_cmp_eq_u32_e64 s[0:1], 0, v2
.LBB36_141:
	s_and_saveexec_b64 s[2:3], s[0:1]
	s_cbranch_execnz .LBB36_149
.LBB36_142:
	s_endpgm
.LBB36_143:
	s_mov_b64 s[0:1], 0
	s_cbranch_execz .LBB36_141
; %bb.144:
	v_or_b32_e32 v0, v1, v0
	v_cmp_eq_u32_e32 vcc, 0, v0
	s_and_saveexec_b64 s[2:3], vcc
	s_cbranch_execz .LBB36_148
; %bb.145:
	v_mbcnt_lo_u32_b32 v0, exec_lo, 0
	v_mbcnt_hi_u32_b32 v0, exec_hi, v0
	v_cmp_eq_u32_e32 vcc, 0, v0
	s_and_saveexec_b64 s[4:5], vcc
	s_cbranch_execz .LBB36_147
; %bb.146:
	s_add_i32 s8, s12, s13
	v_mov_b32_e32 v0, 0
	v_mov_b32_e32 v1, s8
	global_atomic_smin v0, v1, s[14:15]
.LBB36_147:
	s_or_b64 exec, exec, s[4:5]
	s_or_b64 s[0:1], s[0:1], exec
.LBB36_148:
	s_or_b64 exec, exec, s[2:3]
	s_and_saveexec_b64 s[2:3], s[0:1]
	s_cbranch_execz .LBB36_142
.LBB36_149:
	s_add_u32 s0, s10, s6
	s_addc_u32 s1, s11, s7
	v_mov_b32_e32 v0, 0
	v_mov_b32_e32 v1, 1
	s_waitcnt vmcnt(0)
	global_store_dword v0, v1, s[0:1]
	s_endpgm
	.section	.rodata,"a",@progbits
	.p2align	6, 0x0
	.amdhsa_kernel _ZN9rocsparseL18bsric0_9_16_kernelILi64ELi128ELi16EdEEv20rocsparse_direction_iiPKiS3_PT2_S3_PiS3_S6_21rocsparse_index_base_
		.amdhsa_group_segment_fixed_size 10240
		.amdhsa_private_segment_fixed_size 0
		.amdhsa_kernarg_size 76
		.amdhsa_user_sgpr_count 6
		.amdhsa_user_sgpr_private_segment_buffer 1
		.amdhsa_user_sgpr_dispatch_ptr 0
		.amdhsa_user_sgpr_queue_ptr 0
		.amdhsa_user_sgpr_kernarg_segment_ptr 1
		.amdhsa_user_sgpr_dispatch_id 0
		.amdhsa_user_sgpr_flat_scratch_init 0
		.amdhsa_user_sgpr_kernarg_preload_length 0
		.amdhsa_user_sgpr_kernarg_preload_offset 0
		.amdhsa_user_sgpr_private_segment_size 0
		.amdhsa_uses_dynamic_stack 0
		.amdhsa_system_sgpr_private_segment_wavefront_offset 0
		.amdhsa_system_sgpr_workgroup_id_x 1
		.amdhsa_system_sgpr_workgroup_id_y 0
		.amdhsa_system_sgpr_workgroup_id_z 0
		.amdhsa_system_sgpr_workgroup_info 0
		.amdhsa_system_vgpr_workitem_id 1
		.amdhsa_next_free_vgpr 70
		.amdhsa_next_free_sgpr 54
		.amdhsa_accum_offset 72
		.amdhsa_reserve_vcc 1
		.amdhsa_reserve_flat_scratch 0
		.amdhsa_float_round_mode_32 0
		.amdhsa_float_round_mode_16_64 0
		.amdhsa_float_denorm_mode_32 3
		.amdhsa_float_denorm_mode_16_64 3
		.amdhsa_dx10_clamp 1
		.amdhsa_ieee_mode 1
		.amdhsa_fp16_overflow 0
		.amdhsa_tg_split 0
		.amdhsa_exception_fp_ieee_invalid_op 0
		.amdhsa_exception_fp_denorm_src 0
		.amdhsa_exception_fp_ieee_div_zero 0
		.amdhsa_exception_fp_ieee_overflow 0
		.amdhsa_exception_fp_ieee_underflow 0
		.amdhsa_exception_fp_ieee_inexact 0
		.amdhsa_exception_int_div_zero 0
	.end_amdhsa_kernel
	.section	.text._ZN9rocsparseL18bsric0_9_16_kernelILi64ELi128ELi16EdEEv20rocsparse_direction_iiPKiS3_PT2_S3_PiS3_S6_21rocsparse_index_base_,"axG",@progbits,_ZN9rocsparseL18bsric0_9_16_kernelILi64ELi128ELi16EdEEv20rocsparse_direction_iiPKiS3_PT2_S3_PiS3_S6_21rocsparse_index_base_,comdat
.Lfunc_end36:
	.size	_ZN9rocsparseL18bsric0_9_16_kernelILi64ELi128ELi16EdEEv20rocsparse_direction_iiPKiS3_PT2_S3_PiS3_S6_21rocsparse_index_base_, .Lfunc_end36-_ZN9rocsparseL18bsric0_9_16_kernelILi64ELi128ELi16EdEEv20rocsparse_direction_iiPKiS3_PT2_S3_PiS3_S6_21rocsparse_index_base_
                                        ; -- End function
	.section	.AMDGPU.csdata,"",@progbits
; Kernel info:
; codeLenInByte = 5424
; NumSgprs: 58
; NumVgprs: 70
; NumAgprs: 0
; TotalNumVgprs: 70
; ScratchSize: 0
; MemoryBound: 0
; FloatMode: 240
; IeeeMode: 1
; LDSByteSize: 10240 bytes/workgroup (compile time only)
; SGPRBlocks: 7
; VGPRBlocks: 8
; NumSGPRsForWavesPerEU: 58
; NumVGPRsForWavesPerEU: 70
; AccumOffset: 72
; Occupancy: 2
; WaveLimiterHint : 1
; COMPUTE_PGM_RSRC2:SCRATCH_EN: 0
; COMPUTE_PGM_RSRC2:USER_SGPR: 6
; COMPUTE_PGM_RSRC2:TRAP_HANDLER: 0
; COMPUTE_PGM_RSRC2:TGID_X_EN: 1
; COMPUTE_PGM_RSRC2:TGID_Y_EN: 0
; COMPUTE_PGM_RSRC2:TGID_Z_EN: 0
; COMPUTE_PGM_RSRC2:TIDIG_COMP_CNT: 1
; COMPUTE_PGM_RSRC3_GFX90A:ACCUM_OFFSET: 17
; COMPUTE_PGM_RSRC3_GFX90A:TG_SPLIT: 0
	.section	.text._ZN9rocsparseL19bsric0_17_32_kernelILi64ELi128ELi32EdEEv20rocsparse_direction_iiPKiS3_PT2_S3_PiS3_S6_21rocsparse_index_base_,"axG",@progbits,_ZN9rocsparseL19bsric0_17_32_kernelILi64ELi128ELi32EdEEv20rocsparse_direction_iiPKiS3_PT2_S3_PiS3_S6_21rocsparse_index_base_,comdat
	.globl	_ZN9rocsparseL19bsric0_17_32_kernelILi64ELi128ELi32EdEEv20rocsparse_direction_iiPKiS3_PT2_S3_PiS3_S6_21rocsparse_index_base_ ; -- Begin function _ZN9rocsparseL19bsric0_17_32_kernelILi64ELi128ELi32EdEEv20rocsparse_direction_iiPKiS3_PT2_S3_PiS3_S6_21rocsparse_index_base_
	.p2align	8
	.type	_ZN9rocsparseL19bsric0_17_32_kernelILi64ELi128ELi32EdEEv20rocsparse_direction_iiPKiS3_PT2_S3_PiS3_S6_21rocsparse_index_base_,@function
_ZN9rocsparseL19bsric0_17_32_kernelILi64ELi128ELi32EdEEv20rocsparse_direction_iiPKiS3_PT2_S3_PiS3_S6_21rocsparse_index_base_: ; @_ZN9rocsparseL19bsric0_17_32_kernelILi64ELi128ELi32EdEEv20rocsparse_direction_iiPKiS3_PT2_S3_PiS3_S6_21rocsparse_index_base_
; %bb.0:
	s_load_dwordx8 s[8:15], s[4:5], 0x28
	s_mov_b32 s7, 0
	s_lshl_b64 s[0:1], s[6:7], 2
	v_and_b32_e32 v1, 0x3ff, v0
	v_bfe_u32 v0, v0, 10, 10
	s_waitcnt lgkmcnt(0)
	s_add_u32 s0, s12, s0
	s_addc_u32 s1, s13, s1
	s_load_dword s12, s[0:1], 0x0
	s_waitcnt lgkmcnt(0)
	s_ashr_i32 s13, s12, 31
	s_lshl_b64 s[6:7], s[12:13], 2
	s_add_u32 s0, s8, s6
	s_addc_u32 s1, s9, s7
	s_load_dword s33, s[0:1], 0x0
	s_load_dword s13, s[4:5], 0x48
	s_waitcnt lgkmcnt(0)
	s_cmp_lg_u32 s33, -1
	s_cbranch_scc0 .LBB37_131
; %bb.1:
	s_load_dwordx4 s[16:19], s[4:5], 0x10
	v_lshlrev_b32_e32 v3, 1, v0
	v_add_u32_e32 v4, v3, v1
	s_waitcnt lgkmcnt(0)
	s_add_u32 s0, s16, s6
	s_addc_u32 s1, s17, s7
	s_load_dword s28, s[0:1], 0x0
	s_waitcnt lgkmcnt(0)
	s_sub_i32 s46, s28, s13
	v_add_u32_e32 v2, s46, v4
	v_cmp_ge_i32_e32 vcc, s33, v2
	s_and_saveexec_b64 s[2:3], vcc
	s_cbranch_execz .LBB37_16
; %bb.2:
	v_add_u32_e32 v4, s28, v4
	v_subrev_u32_e32 v4, s13, v4
	v_add_u32_e32 v4, 64, v4
	s_add_i32 s0, s33, 1
	v_max_i32_e32 v4, s0, v4
	v_not_b32_e32 v5, v1
	v_add3_u32 v4, v4, s13, v5
	v_add_u32_e32 v3, s28, v3
	v_sub_u32_e32 v3, v4, v3
	s_movk_i32 s0, 0x640
	v_cmp_gt_u32_e32 vcc, s0, v3
	s_movk_i32 s0, 0x63f
	v_cmp_lt_u32_e64 s[0:1], s0, v3
	s_and_saveexec_b64 s[20:21], s[0:1]
	s_cbranch_execz .LBB37_13
; %bb.3:
	v_and_b32_e32 v4, 0xffffffc0, v3
	v_add_u32_e32 v4, v2, v4
	v_cmp_ge_i32_e64 s[0:1], v4, v2
	s_mov_b64 s[24:25], -1
	s_and_saveexec_b64 s[22:23], s[0:1]
	s_cbranch_execz .LBB37_12
; %bb.4:
	v_lshrrev_b32_e32 v14, 6, v3
	v_add_u32_e32 v4, -1, v14
	v_add_u32_e32 v3, 64, v2
	v_lshrrev_b32_e32 v5, 1, v4
	v_add_u32_e32 v15, 1, v5
	v_cmp_lt_u32_e64 s[0:1], 13, v4
	v_pk_mov_b32 v[4:5], v[2:3], v[2:3] op_sel:[0,1]
	s_and_saveexec_b64 s[24:25], s[0:1]
	s_cbranch_execz .LBB37_8
; %bb.5:
	v_and_b32_e32 v16, -8, v15
	s_mov_b64 s[26:27], 0
	v_mov_b32_e32 v17, s19
	v_pk_mov_b32 v[4:5], v[2:3], v[2:3] op_sel:[0,1]
.LBB37_6:                               ; =>This Inner Loop Header: Depth=1
	v_ashrrev_i32_e32 v21, 31, v4
	v_mov_b32_e32 v20, v4
	v_lshlrev_b64 v[20:21], 2, v[20:21]
	v_ashrrev_i32_e32 v19, 31, v5
	v_mov_b32_e32 v18, v5
	v_add_co_u32_e64 v20, s[0:1], s18, v20
	v_add_u32_e32 v6, 0x80, v4
	v_lshlrev_b64 v[18:19], 2, v[18:19]
	v_addc_co_u32_e64 v21, s[0:1], v17, v21, s[0:1]
	v_ashrrev_i32_e32 v7, 31, v6
	v_add_co_u32_e64 v18, s[0:1], s18, v18
	v_add_u32_e32 v8, 0x80, v5
	v_addc_co_u32_e64 v19, s[0:1], v17, v19, s[0:1]
	v_lshlrev_b64 v[42:43], 2, v[6:7]
	v_ashrrev_i32_e32 v9, 31, v8
	global_load_dword v3, v[20:21], off
	global_load_dword v7, v[18:19], off
	v_add_co_u32_e64 v18, s[0:1], s18, v42
	v_add_u32_e32 v10, 0x100, v4
	v_lshlrev_b64 v[44:45], 2, v[8:9]
	v_addc_co_u32_e64 v19, s[0:1], v17, v43, s[0:1]
	v_ashrrev_i32_e32 v11, 31, v10
	v_add_co_u32_e64 v20, s[0:1], s18, v44
	v_add_u32_e32 v12, 0x100, v5
	v_lshlrev_b64 v[46:47], 2, v[10:11]
	v_addc_co_u32_e64 v21, s[0:1], v17, v45, s[0:1]
	v_ashrrev_i32_e32 v13, 31, v12
	;; [unrolled: 5-line block ×12, first 2 shown]
	v_add_co_u32_e64 v62, s[0:1], s18, v66
	v_lshlrev_b64 v[68:69], 2, v[40:41]
	v_addc_co_u32_e64 v63, s[0:1], v17, v67, s[0:1]
	v_add_co_u32_e64 v64, s[0:1], s18, v68
	v_addc_co_u32_e64 v65, s[0:1], v17, v69, s[0:1]
	global_load_dword v9, v[20:21], off
	global_load_dword v11, v[18:19], off
	;; [unrolled: 1-line block ×14, first 2 shown]
	v_subrev_u32_e32 v19, s46, v4
	v_add_u32_e32 v16, -8, v16
	v_subrev_u32_e32 v18, s46, v5
	v_lshlrev_b32_e32 v19, 2, v19
	v_subrev_u32_e32 v6, s46, v6
	v_cmp_eq_u32_e64 s[0:1], 0, v16
	s_waitcnt vmcnt(14)
	v_subrev_u32_e32 v7, s13, v7
	v_subrev_u32_e32 v3, s13, v3
	v_add_u32_e32 v5, 0x400, v5
	v_add_u32_e32 v4, 0x400, v4
	v_lshlrev_b32_e32 v18, 2, v18
	v_subrev_u32_e32 v8, s46, v8
	v_subrev_u32_e32 v12, s46, v12
	;; [unrolled: 1-line block ×13, first 2 shown]
	v_lshlrev_b32_e32 v6, 2, v6
	s_or_b64 s[26:27], s[0:1], s[26:27]
	ds_write_b32 v19, v3 offset:26368
	ds_write_b32 v18, v7 offset:26368
	v_lshlrev_b32_e32 v8, 2, v8
	v_lshlrev_b32_e32 v10, 2, v10
	;; [unrolled: 1-line block ×13, first 2 shown]
	s_waitcnt vmcnt(13)
	v_subrev_u32_e32 v3, s13, v9
	s_waitcnt vmcnt(12)
	v_subrev_u32_e32 v7, s13, v11
	;; [unrolled: 2-line block ×14, first 2 shown]
	ds_write_b32 v6, v7 offset:26368
	ds_write_b32 v8, v3 offset:26368
	;; [unrolled: 1-line block ×14, first 2 shown]
	s_andn2_b64 exec, exec, s[26:27]
	s_cbranch_execnz .LBB37_6
; %bb.7:
	s_or_b64 exec, exec, s[26:27]
.LBB37_8:
	s_or_b64 exec, exec, s[24:25]
	v_and_b32_e32 v3, 7, v15
	v_cmp_ne_u32_e64 s[0:1], 0, v3
	s_and_saveexec_b64 s[24:25], s[0:1]
	s_cbranch_execz .LBB37_11
; %bb.9:
	s_mov_b64 s[26:27], 0
	v_mov_b32_e32 v6, s19
.LBB37_10:                              ; =>This Inner Loop Header: Depth=1
	v_ashrrev_i32_e32 v11, 31, v4
	v_mov_b32_e32 v10, v4
	v_lshlrev_b64 v[10:11], 2, v[10:11]
	v_ashrrev_i32_e32 v9, 31, v5
	v_mov_b32_e32 v8, v5
	v_add_co_u32_e64 v10, s[0:1], s18, v10
	v_lshlrev_b64 v[8:9], 2, v[8:9]
	v_addc_co_u32_e64 v11, s[0:1], v6, v11, s[0:1]
	v_add_co_u32_e64 v8, s[0:1], s18, v8
	v_addc_co_u32_e64 v9, s[0:1], v6, v9, s[0:1]
	global_load_dword v7, v[8:9], off
	global_load_dword v12, v[10:11], off
	v_add_u32_e32 v3, -1, v3
	v_subrev_u32_e32 v9, s46, v4
	v_cmp_eq_u32_e64 s[0:1], 0, v3
	v_subrev_u32_e32 v8, s46, v5
	v_add_u32_e32 v5, 0x80, v5
	v_add_u32_e32 v4, 0x80, v4
	v_lshlrev_b32_e32 v9, 2, v9
	s_or_b64 s[26:27], s[0:1], s[26:27]
	v_lshlrev_b32_e32 v8, 2, v8
	s_waitcnt vmcnt(1)
	v_subrev_u32_e32 v7, s13, v7
	s_waitcnt vmcnt(0)
	v_subrev_u32_e32 v10, s13, v12
	ds_write_b32 v9, v10 offset:26368
	ds_write_b32 v8, v7 offset:26368
	s_andn2_b64 exec, exec, s[26:27]
	s_cbranch_execnz .LBB37_10
.LBB37_11:
	s_or_b64 exec, exec, s[24:25]
	v_add_u32_e32 v3, 1, v14
	v_and_b32_e32 v4, 0x7fffffe, v3
	v_cmp_ne_u32_e64 s[0:1], v3, v4
	v_lshl_add_u32 v2, v4, 6, v2
	s_orn2_b64 s[24:25], s[0:1], exec
.LBB37_12:
	s_or_b64 exec, exec, s[22:23]
	s_andn2_b64 s[0:1], vcc, exec
	s_and_b64 s[22:23], s[24:25], exec
	s_or_b64 vcc, s[0:1], s[22:23]
.LBB37_13:
	s_or_b64 exec, exec, s[20:21]
	s_and_b64 exec, exec, vcc
	s_cbranch_execz .LBB37_16
; %bb.14:
	v_add_u32_e32 v3, s13, v2
	v_subrev_u32_e32 v3, s28, v3
	v_mov_b32_e32 v4, 0x6700
	v_lshl_add_u32 v4, v3, 2, v4
	s_mov_b64 s[0:1], 0
	v_mov_b32_e32 v5, s19
.LBB37_15:                              ; =>This Inner Loop Header: Depth=1
	v_ashrrev_i32_e32 v3, 31, v2
	v_lshlrev_b64 v[6:7], 2, v[2:3]
	v_add_co_u32_e32 v6, vcc, s18, v6
	v_addc_co_u32_e32 v7, vcc, v5, v7, vcc
	global_load_dword v3, v[6:7], off
	v_add_u32_e32 v2, 64, v2
	v_cmp_lt_i32_e32 vcc, s33, v2
	s_or_b64 s[0:1], vcc, s[0:1]
	s_waitcnt vmcnt(0)
	v_subrev_u32_e32 v3, s13, v3
	ds_write_b32 v4, v3
	v_add_u32_e32 v4, 0x100, v4
	s_andn2_b64 exec, exec, s[0:1]
	s_cbranch_execnz .LBB37_15
.LBB37_16:
	s_or_b64 exec, exec, s[2:3]
	s_load_dwordx2 s[20:21], s[4:5], 0x20
	v_cmp_gt_u32_e32 vcc, 32, v1
	v_lshlrev_b32_e32 v14, 3, v1
	s_and_saveexec_b64 s[0:1], vcc
	s_cbranch_execz .LBB37_19
; %bb.17:
	v_mul_u32_u24_e32 v2, 0x108, v0
	s_movk_i32 s2, 0x4200
	v_add3_u32 v5, v2, v14, s2
	v_mov_b32_e32 v2, 0
	v_add_u32_e32 v4, -2, v1
	s_mov_b64 s[2:3], 0
	v_mov_b32_e32 v3, v2
.LBB37_18:                              ; =>This Inner Loop Header: Depth=1
	v_add_u32_e32 v4, 2, v4
	v_cmp_lt_u32_e32 vcc, 29, v4
	ds_write_b64 v5, v[2:3]
	s_or_b64 s[2:3], vcc, s[2:3]
	v_add_u32_e32 v5, 16, v5
	s_andn2_b64 exec, exec, s[2:3]
	s_cbranch_execnz .LBB37_18
.LBB37_19:
	s_or_b64 exec, exec, s[0:1]
	s_load_dword s47, s[4:5], 0x8
	s_load_dword s48, s[4:5], 0x0
	s_cmp_ge_i32 s46, s33
	s_waitcnt lgkmcnt(0)
	v_cmp_gt_i32_e64 s[0:1], s47, v1
	s_cbranch_scc1 .LBB37_92
; %bb.20:
	s_cmp_eq_u32 s48, 0
	v_or_b32_e32 v2, v1, v0
	s_mul_i32 s26, s47, s46
	s_cselect_b64 s[22:23], -1, 0
	s_cmp_lg_u32 s48, 0
	v_cmp_ne_u32_e64 s[4:5], 0, v2
	s_movk_i32 s50, 0x108
	v_add_u32_e32 v2, s26, v0
	s_cselect_b64 s[24:25], -1, 0
	s_cmp_gt_i32 s47, 0
	v_mad_u32_u24 v16, v0, s50, v14
	v_mul_lo_u32 v18, s47, v2
	v_mov_b32_e32 v2, 0x2100
	s_mul_i32 s49, s47, s47
	v_cmp_gt_i32_e64 s[2:3], s47, v0
	v_mul_lo_u32 v15, v0, s47
	v_mul_lo_u32 v17, v1, s47
	s_cselect_b64 s[26:27], -1, 0
	s_lshl_b32 s51, s47, 1
	v_mad_u32_u24 v19, v0, s50, v2
	v_mad_u32_u24 v20, v1, s50, v2
	v_add_u32_e32 v21, 0x4200, v16
	v_add_u32_e32 v22, 0x2100, v16
	v_mov_b32_e32 v2, 0
	v_mul_u32_u24_e32 v23, 0x108, v0
	v_mov_b32_e32 v24, 0x3ff00000
	s_mov_b32 s28, s46
	s_branch .LBB37_22
.LBB37_21:                              ;   in Loop: Header=BB37_22 Depth=1
	s_or_b64 exec, exec, s[30:31]
	s_add_i32 s28, s28, 1
	s_cmp_ge_i32 s28, s33
	s_waitcnt vmcnt(0)
	buffer_wbinvl1_vol
	v_add_u32_e32 v18, s49, v18
	s_cselect_b64 s[30:31], -1, 0
	s_and_b64 vcc, exec, s[30:31]
	s_cbranch_vccnz .LBB37_92
.LBB37_22:                              ; =>This Loop Header: Depth=1
                                        ;     Child Loop BB37_26 Depth 2
                                        ;     Child Loop BB37_39 Depth 2
	;; [unrolled: 1-line block ×4, first 2 shown]
                                        ;       Child Loop BB37_57 Depth 3
                                        ;     Child Loop BB37_70 Depth 2
                                        ;       Child Loop BB37_77 Depth 3
                                        ;       Child Loop BB37_81 Depth 3
                                        ;     Child Loop BB37_86 Depth 2
	s_ashr_i32 s29, s28, 31
	s_lshl_b64 s[30:31], s[28:29], 2
	s_add_u32 s30, s18, s30
	s_addc_u32 s31, s19, s31
	s_load_dword s52, s[30:31], 0x0
	s_waitcnt lgkmcnt(0)
	s_sub_i32 s34, s52, s13
	s_ashr_i32 s35, s34, 31
	s_lshl_b64 s[30:31], s[34:35], 2
	s_add_u32 s36, s8, s30
	s_addc_u32 s37, s9, s31
	s_load_dword s53, s[36:37], 0x0
	s_waitcnt lgkmcnt(0)
	s_cmp_eq_u32 s53, -1
	s_cbranch_scc1 .LBB37_91
; %bb.23:                               ;   in Loop: Header=BB37_22 Depth=1
	s_add_u32 s36, s16, s30
	s_addc_u32 s37, s17, s31
	s_load_dword s35, s[36:37], 0x0
	s_mul_i32 s29, s28, s47
	s_and_saveexec_b64 s[36:37], s[0:1]
	s_cbranch_execz .LBB37_36
; %bb.24:                               ;   in Loop: Header=BB37_22 Depth=1
	s_mov_b64 s[38:39], 0
	v_mov_b32_e32 v8, v16
	v_mov_b32_e32 v9, v1
	s_branch .LBB37_26
.LBB37_25:                              ;   in Loop: Header=BB37_26 Depth=2
	s_or_b64 exec, exec, s[42:43]
	v_add_u32_e32 v9, 2, v9
	v_mov_b32_e32 v3, v2
	v_cmp_le_i32_e32 vcc, s47, v9
	s_waitcnt vmcnt(0)
	ds_write_b64 v8, v[6:7] offset:8448
	ds_write_b64 v8, v[2:3]
	s_or_b64 s[38:39], vcc, s[38:39]
	v_add_u32_e32 v8, 16, v8
	s_andn2_b64 exec, exec, s[38:39]
	s_cbranch_execz .LBB37_36
.LBB37_26:                              ;   Parent Loop BB37_22 Depth=1
                                        ; =>  This Inner Loop Header: Depth=2
	s_and_b64 vcc, exec, s[24:25]
	s_cbranch_vccz .LBB37_30
; %bb.27:                               ;   in Loop: Header=BB37_26 Depth=2
	s_mov_b64 s[42:43], 0
	s_mov_b64 s[40:41], 0
                                        ; implicit-def: $vgpr4
	s_and_saveexec_b64 s[44:45], s[2:3]
	s_xor_b64 s[44:45], exec, s[44:45]
; %bb.28:                               ;   in Loop: Header=BB37_26 Depth=2
	v_add_u32_e32 v3, s29, v9
	s_mov_b64 s[40:41], exec
	v_mad_u64_u32 v[4:5], s[54:55], v3, s47, v[0:1]
; %bb.29:                               ;   in Loop: Header=BB37_26 Depth=2
	s_or_b64 exec, exec, s[44:45]
	s_and_b64 vcc, exec, s[42:43]
	s_cbranch_vccnz .LBB37_31
	s_branch .LBB37_34
.LBB37_30:                              ;   in Loop: Header=BB37_26 Depth=2
	s_mov_b64 s[42:43], -1
	s_mov_b64 s[40:41], 0
                                        ; implicit-def: $vgpr4
	s_cbranch_execz .LBB37_34
.LBB37_31:                              ;   in Loop: Header=BB37_26 Depth=2
                                        ; implicit-def: $vgpr4
	s_and_saveexec_b64 s[42:43], s[2:3]
; %bb.32:                               ;   in Loop: Header=BB37_26 Depth=2
	v_add_u32_e32 v4, v18, v9
	s_or_b64 s[40:41], s[40:41], exec
; %bb.33:                               ;   in Loop: Header=BB37_26 Depth=2
	s_or_b64 exec, exec, s[42:43]
	s_mov_b64 s[42:43], 0
.LBB37_34:                              ;   in Loop: Header=BB37_26 Depth=2
	v_pk_mov_b32 v[6:7], s[42:43], s[42:43] op_sel:[0,1]
	s_and_saveexec_b64 s[42:43], s[40:41]
	s_cbranch_execz .LBB37_25
; %bb.35:                               ;   in Loop: Header=BB37_26 Depth=2
	v_ashrrev_i32_e32 v5, 31, v4
	v_lshlrev_b64 v[4:5], 3, v[4:5]
	v_mov_b32_e32 v3, s21
	v_add_co_u32_e32 v4, vcc, s20, v4
	v_addc_co_u32_e32 v5, vcc, v3, v5, vcc
	global_load_dwordx2 v[6:7], v[4:5], off
	s_branch .LBB37_25
.LBB37_36:                              ;   in Loop: Header=BB37_22 Depth=1
	s_or_b64 exec, exec, s[36:37]
; %bb.37:                               ;   in Loop: Header=BB37_22 Depth=1
	ds_read_b32 v3, v2 offset:26368
	s_waitcnt lgkmcnt(0)
	s_sub_i32 s36, s35, s13
	s_cmp_le_i32 s36, s53
	s_cselect_b64 s[38:39], -1, 0
	s_mov_b32 s37, 0
	v_cmp_ge_i32_e32 vcc, s34, v3
	s_and_b64 s[38:39], s[38:39], vcc
	s_andn2_b64 vcc, exec, s[38:39]
	s_cbranch_vccnz .LBB37_49
; %bb.38:                               ;   in Loop: Header=BB37_22 Depth=1
	s_mov_b32 s35, 0
	s_mov_b32 s40, 0
.LBB37_39:                              ;   Parent Loop BB37_22 Depth=1
                                        ; =>  This Inner Loop Header: Depth=2
	s_ashr_i32 s37, s36, 31
	s_lshl_b64 s[38:39], s[36:37], 2
	s_add_u32 s38, s18, s38
	s_addc_u32 s39, s19, s39
	s_load_dword s37, s[38:39], 0x0
	s_lshl_b32 s38, s40, 2
	v_mov_b32_e32 v3, s38
	ds_read_b32 v3, v3 offset:26368
	s_mov_b64 s[38:39], -1
	s_waitcnt lgkmcnt(0)
	s_sub_i32 s44, s37, s13
                                        ; implicit-def: $sgpr37
                                        ; implicit-def: $sgpr43
                                        ; implicit-def: $sgpr42
	v_cmp_ge_i32_e32 vcc, s44, v3
	v_readfirstlane_b32 s41, v3
	s_cbranch_vccz .LBB37_45
; %bb.40:                               ;   in Loop: Header=BB37_39 Depth=2
	s_cmp_le_i32 s44, s41
                                        ; implicit-def: $sgpr37
                                        ; implicit-def: $sgpr43
                                        ; implicit-def: $sgpr42
	s_cbranch_scc0 .LBB37_42
; %bb.41:                               ;   in Loop: Header=BB37_39 Depth=2
	s_add_i32 s37, s40, s46
	s_mul_i32 s37, s37, s49
	s_lshl_b32 s38, s35, 2
	v_mov_b32_e32 v4, s37
	s_mul_i32 s37, s36, s49
	v_mov_b32_e32 v3, s38
	v_mov_b32_e32 v5, s37
	ds_write2st64_b32 v3, v5, v4 offset0:99 offset1:101
	s_add_i32 s42, s40, 1
	s_add_i32 s43, s36, 1
	;; [unrolled: 1-line block ×3, first 2 shown]
	s_mov_b64 s[38:39], 0
.LBB37_42:                              ;   in Loop: Header=BB37_39 Depth=2
	s_andn2_b64 vcc, exec, s[38:39]
	s_cbranch_vccnz .LBB37_44
; %bb.43:                               ;   in Loop: Header=BB37_39 Depth=2
	s_add_i32 s42, s40, 1
	s_mov_b32 s37, s35
	s_mov_b32 s43, s36
.LBB37_44:                              ;   in Loop: Header=BB37_39 Depth=2
	s_mov_b64 s[38:39], 0
.LBB37_45:                              ;   in Loop: Header=BB37_39 Depth=2
	s_andn2_b64 vcc, exec, s[38:39]
	s_cbranch_vccnz .LBB37_47
; %bb.46:                               ;   in Loop: Header=BB37_39 Depth=2
	s_add_i32 s43, s36, 1
	s_mov_b32 s42, s40
	s_mov_b32 s37, s35
.LBB37_47:                              ;   in Loop: Header=BB37_39 Depth=2
	s_cmp_le_i32 s43, s53
	s_cselect_b64 s[38:39], -1, 0
	s_cmp_le_i32 s41, s34
	s_cselect_b64 s[40:41], -1, 0
	s_and_b64 s[38:39], s[38:39], s[40:41]
	s_and_b64 vcc, exec, s[38:39]
	s_cbranch_vccz .LBB37_49
; %bb.48:                               ;   in Loop: Header=BB37_39 Depth=2
	s_mov_b32 s35, s37
	s_mov_b32 s36, s43
	;; [unrolled: 1-line block ×3, first 2 shown]
	s_branch .LBB37_39
.LBB37_49:                              ;   in Loop: Header=BB37_22 Depth=1
	s_add_u32 s30, s10, s30
	s_addc_u32 s31, s11, s31
	s_waitcnt lgkmcnt(0)
.LBB37_50:                              ;   Parent Loop BB37_22 Depth=1
                                        ; =>  This Inner Loop Header: Depth=2
	global_load_dword v3, v2, s[30:31] glc
	s_waitcnt vmcnt(0)
	v_cmp_eq_u32_e32 vcc, 0, v3
	s_cbranch_vccnz .LBB37_50
; %bb.51:                               ;   in Loop: Header=BB37_22 Depth=1
	s_cmp_lt_i32 s37, 2
	buffer_wbinvl1_vol
	s_cbranch_scc1 .LBB37_67
; %bb.52:                               ;   in Loop: Header=BB37_22 Depth=1
	s_add_i32 s38, s37, -2
	s_mov_b32 s39, 0
	s_branch .LBB37_54
.LBB37_53:                              ;   in Loop: Header=BB37_54 Depth=2
	s_or_b64 exec, exec, s[30:31]
	s_add_i32 s30, s39, 1
	s_cmp_eq_u32 s39, s38
	s_mov_b32 s39, s30
	s_cbranch_scc1 .LBB37_67
.LBB37_54:                              ;   Parent Loop BB37_22 Depth=1
                                        ; =>  This Loop Header: Depth=2
                                        ;       Child Loop BB37_57 Depth 3
	s_and_saveexec_b64 s[30:31], s[0:1]
	s_cbranch_execz .LBB37_53
; %bb.55:                               ;   in Loop: Header=BB37_54 Depth=2
	s_lshl_b32 s34, s39, 2
	v_mov_b32_e32 v3, s34
	ds_read2st64_b32 v[4:5], v3 offset0:99 offset1:101
	s_mov_b64 s[34:35], 0
	v_mov_b32_e32 v28, v1
	s_waitcnt lgkmcnt(0)
	v_add_u32_e32 v3, v5, v15
	v_add_u32_e32 v25, v0, v5
	;; [unrolled: 1-line block ×4, first 2 shown]
	s_branch .LBB37_57
.LBB37_56:                              ;   in Loop: Header=BB37_57 Depth=3
	v_lshlrev_b32_e32 v4, 3, v28
	v_mad_u32_u24 v6, v0, s50, v4
	ds_read_b64 v[4:5], v6
	v_add_u32_e32 v28, 2, v28
	v_cmp_le_i32_e32 vcc, s47, v28
	v_add_u32_e32 v26, 2, v26
	s_or_b64 s[34:35], vcc, s[34:35]
	s_waitcnt lgkmcnt(0)
	v_add_f64 v[4:5], v[10:11], v[4:5]
	v_add_u32_e32 v27, s51, v27
	ds_write_b64 v6, v[4:5]
	s_andn2_b64 exec, exec, s[34:35]
	s_cbranch_execz .LBB37_53
.LBB37_57:                              ;   Parent Loop BB37_22 Depth=1
                                        ;     Parent Loop BB37_54 Depth=2
                                        ; =>    This Inner Loop Header: Depth=3
	s_mov_b32 s40, 0
	v_pk_mov_b32 v[8:9], 0, 0
	v_mov_b32_e32 v4, v26
	v_mov_b32_e32 v6, v25
	s_and_b64 vcc, exec, s[24:25]
	s_cbranch_vccz .LBB37_61
.LBB37_58:                              ;   in Loop: Header=BB37_57 Depth=3
	v_ashrrev_i32_e32 v5, 31, v4
	v_lshlrev_b64 v[10:11], 3, v[4:5]
	v_mov_b32_e32 v5, s21
	v_add_co_u32_e32 v10, vcc, s20, v10
	v_addc_co_u32_e32 v11, vcc, v5, v11, vcc
	global_load_dwordx2 v[10:11], v[10:11], off
	v_pk_mov_b32 v[12:13], 0, 0
	s_and_saveexec_b64 s[36:37], s[2:3]
	s_cbranch_execz .LBB37_60
; %bb.59:                               ;   in Loop: Header=BB37_57 Depth=3
	v_ashrrev_i32_e32 v7, 31, v6
	v_lshlrev_b64 v[12:13], 3, v[6:7]
	v_mov_b32_e32 v5, s21
	v_add_co_u32_e32 v12, vcc, s20, v12
	v_addc_co_u32_e32 v13, vcc, v5, v13, vcc
	global_load_dwordx2 v[12:13], v[12:13], off
.LBB37_60:                              ;   in Loop: Header=BB37_57 Depth=3
	s_or_b64 exec, exec, s[36:37]
	s_waitcnt vmcnt(0)
	v_fma_f64 v[10:11], v[10:11], v[12:13], v[8:9]
	s_branch .LBB37_65
.LBB37_61:                              ;   in Loop: Header=BB37_57 Depth=3
                                        ; implicit-def: $vgpr10_vgpr11
	s_cbranch_execz .LBB37_65
; %bb.62:                               ;   in Loop: Header=BB37_57 Depth=3
	v_add_u32_e32 v10, s40, v27
	v_ashrrev_i32_e32 v11, 31, v10
	v_lshlrev_b64 v[10:11], 3, v[10:11]
	v_mov_b32_e32 v5, s21
	v_add_co_u32_e32 v10, vcc, s20, v10
	v_addc_co_u32_e32 v11, vcc, v5, v11, vcc
	global_load_dwordx2 v[10:11], v[10:11], off
	v_pk_mov_b32 v[12:13], 0, 0
	s_and_saveexec_b64 s[36:37], s[2:3]
	s_cbranch_execz .LBB37_64
; %bb.63:                               ;   in Loop: Header=BB37_57 Depth=3
	v_add_u32_e32 v12, s40, v3
	v_ashrrev_i32_e32 v13, 31, v12
	v_lshlrev_b64 v[12:13], 3, v[12:13]
	v_mov_b32_e32 v5, s21
	v_add_co_u32_e32 v12, vcc, s20, v12
	v_addc_co_u32_e32 v13, vcc, v5, v13, vcc
	global_load_dwordx2 v[12:13], v[12:13], off
.LBB37_64:                              ;   in Loop: Header=BB37_57 Depth=3
	s_or_b64 exec, exec, s[36:37]
	s_waitcnt vmcnt(0)
	v_fmac_f64_e32 v[8:9], v[10:11], v[12:13]
	v_pk_mov_b32 v[10:11], v[8:9], v[8:9] op_sel:[0,1]
.LBB37_65:                              ;   in Loop: Header=BB37_57 Depth=3
	s_add_i32 s40, s40, 1
	v_add_u32_e32 v6, s47, v6
	s_cmp_eq_u32 s47, s40
	v_add_u32_e32 v4, s47, v4
	s_cbranch_scc1 .LBB37_56
; %bb.66:                               ;   in Loop: Header=BB37_57 Depth=3
	v_pk_mov_b32 v[8:9], v[10:11], v[10:11] op_sel:[0,1]
	s_and_b64 vcc, exec, s[24:25]
	s_cbranch_vccz .LBB37_61
	s_branch .LBB37_58
.LBB37_67:                              ;   in Loop: Header=BB37_22 Depth=1
	s_andn2_b64 vcc, exec, s[26:27]
	s_waitcnt lgkmcnt(0)
	s_cbranch_vccnz .LBB37_82
; %bb.68:                               ;   in Loop: Header=BB37_22 Depth=1
	s_mul_i32 s36, s49, s53
	s_mov_b32 s37, 0
	v_mov_b32_e32 v3, v20
	s_mov_b32 s38, s36
	s_branch .LBB37_70
.LBB37_69:                              ;   in Loop: Header=BB37_70 Depth=2
	s_or_b64 exec, exec, s[30:31]
	s_add_i32 s37, s37, 1
	s_add_i32 s38, s38, 1
	s_cmp_eq_u32 s37, s47
	v_add_u32_e32 v3, 8, v3
	s_waitcnt lgkmcnt(0)
	s_cbranch_scc1 .LBB37_82
.LBB37_70:                              ;   Parent Loop BB37_22 Depth=1
                                        ; =>  This Loop Header: Depth=2
                                        ;       Child Loop BB37_77 Depth 3
                                        ;       Child Loop BB37_81 Depth 3
	s_mul_i32 s39, s37, s47
	s_add_i32 s39, s39, s36
	s_add_i32 s30, s39, s37
	s_ashr_i32 s31, s30, 31
	s_lshl_b64 s[30:31], s[30:31], 3
	s_add_u32 s30, s20, s30
	s_addc_u32 s31, s21, s31
	global_load_dwordx2 v[6:7], v2, s[30:31]
	v_lshl_add_u32 v10, s37, 3, v23
	ds_read_b64 v[4:5], v10 offset:8448
	s_waitcnt vmcnt(0)
	v_cmp_neq_f64_e32 vcc, 0, v[6:7]
	s_or_b64 s[30:31], vcc, s[4:5]
	v_cndmask_b32_e32 v7, v24, v7, vcc
	s_xor_b64 s[34:35], s[30:31], -1
	v_cndmask_b32_e32 v6, 0, v6, vcc
	s_and_saveexec_b64 s[30:31], s[34:35]
	s_cbranch_execz .LBB37_74
; %bb.71:                               ;   in Loop: Header=BB37_70 Depth=2
	v_mbcnt_lo_u32_b32 v6, exec_lo, 0
	v_mbcnt_hi_u32_b32 v6, exec_hi, v6
	v_cmp_eq_u32_e32 vcc, 0, v6
	s_and_saveexec_b64 s[34:35], vcc
	s_cbranch_execz .LBB37_73
; %bb.72:                               ;   in Loop: Header=BB37_70 Depth=2
	v_mov_b32_e32 v6, s52
	global_atomic_smin v2, v6, s[14:15]
.LBB37_73:                              ;   in Loop: Header=BB37_70 Depth=2
	s_or_b64 exec, exec, s[34:35]
	v_mov_b32_e32 v6, 0
	v_mov_b32_e32 v7, 0x3ff00000
.LBB37_74:                              ;   in Loop: Header=BB37_70 Depth=2
	s_or_b64 exec, exec, s[30:31]
	ds_read_b64 v[8:9], v10
	s_cmp_eq_u32 s37, 0
	s_cbranch_scc1 .LBB37_79
; %bb.75:                               ;   in Loop: Header=BB37_70 Depth=2
	s_mov_b32 s34, 0
	s_mov_b32 s35, s38
	v_mov_b32_e32 v11, v19
	s_branch .LBB37_77
.LBB37_76:                              ;   in Loop: Header=BB37_77 Depth=3
	s_ashr_i32 s31, s30, 31
	s_lshl_b64 s[30:31], s[30:31], 3
	s_add_u32 s30, s20, s30
	s_addc_u32 s31, s21, s31
	global_load_dwordx2 v[12:13], v2, s[30:31]
	ds_read_b64 v[26:27], v11
	s_add_i32 s34, s34, 1
	s_add_i32 s35, s35, s47
	s_cmp_ge_u32 s34, s37
	v_add_u32_e32 v11, 8, v11
	s_waitcnt vmcnt(0) lgkmcnt(0)
	v_fmac_f64_e32 v[8:9], v[12:13], v[26:27]
	s_cbranch_scc1 .LBB37_79
.LBB37_77:                              ;   Parent Loop BB37_22 Depth=1
                                        ;     Parent Loop BB37_70 Depth=2
                                        ; =>    This Inner Loop Header: Depth=3
	s_andn2_b64 vcc, exec, s[22:23]
	s_mov_b32 s30, s35
	s_cbranch_vccnz .LBB37_76
; %bb.78:                               ;   in Loop: Header=BB37_77 Depth=3
	s_add_i32 s30, s34, s39
	s_branch .LBB37_76
.LBB37_79:                              ;   in Loop: Header=BB37_70 Depth=2
	s_waitcnt lgkmcnt(0)
	v_add_f64 v[4:5], v[4:5], -v[8:9]
	v_div_scale_f64 v[8:9], s[30:31], v[6:7], v[6:7], v[4:5]
	v_rcp_f64_e32 v[12:13], v[8:9]
	v_div_scale_f64 v[26:27], vcc, v[4:5], v[6:7], v[4:5]
	v_add_u32_e32 v10, 0x2100, v10
	v_fma_f64 v[28:29], -v[8:9], v[12:13], 1.0
	v_fmac_f64_e32 v[12:13], v[12:13], v[28:29]
	v_fma_f64 v[28:29], -v[8:9], v[12:13], 1.0
	v_fmac_f64_e32 v[12:13], v[12:13], v[28:29]
	v_mul_f64 v[28:29], v[26:27], v[12:13]
	v_fma_f64 v[8:9], -v[8:9], v[28:29], v[26:27]
	v_div_fmas_f64 v[8:9], v[8:9], v[12:13], v[28:29]
	v_div_fixup_f64 v[4:5], v[8:9], v[6:7], v[4:5]
	ds_write_b64 v10, v[4:5]
	s_waitcnt lgkmcnt(0)
	s_and_saveexec_b64 s[30:31], s[0:1]
	s_cbranch_execz .LBB37_69
; %bb.80:                               ;   in Loop: Header=BB37_70 Depth=2
	s_mov_b64 s[34:35], 0
	v_mov_b32_e32 v6, v21
	v_mov_b32_e32 v7, v3
	;; [unrolled: 1-line block ×3, first 2 shown]
.LBB37_81:                              ;   Parent Loop BB37_22 Depth=1
                                        ;     Parent Loop BB37_70 Depth=2
                                        ; =>    This Inner Loop Header: Depth=3
	ds_read_b64 v[10:11], v7
	ds_read_b64 v[12:13], v6
	v_add_u32_e32 v8, 2, v8
	v_cmp_le_i32_e32 vcc, s47, v8
	v_add_u32_e32 v7, 0x210, v7
	s_or_b64 s[34:35], vcc, s[34:35]
	s_waitcnt lgkmcnt(0)
	v_fmac_f64_e32 v[12:13], v[4:5], v[10:11]
	ds_write_b64 v6, v[12:13]
	v_add_u32_e32 v6, 16, v6
	s_andn2_b64 exec, exec, s[34:35]
	s_cbranch_execnz .LBB37_81
	s_branch .LBB37_69
.LBB37_82:                              ;   in Loop: Header=BB37_22 Depth=1
	s_and_saveexec_b64 s[30:31], s[0:1]
	s_cbranch_execz .LBB37_21
; %bb.83:                               ;   in Loop: Header=BB37_22 Depth=1
	s_mov_b64 s[34:35], 0
	v_mov_b32_e32 v3, v22
	v_mov_b32_e32 v8, v1
	s_branch .LBB37_86
.LBB37_84:                              ;   in Loop: Header=BB37_86 Depth=2
	v_ashrrev_i32_e32 v7, 31, v6
	v_lshlrev_b64 v[6:7], 3, v[6:7]
	v_mov_b32_e32 v9, s21
	v_add_co_u32_e32 v6, vcc, s20, v6
	v_addc_co_u32_e32 v7, vcc, v9, v7, vcc
	s_waitcnt lgkmcnt(0)
	global_store_dwordx2 v[6:7], v[4:5], off
.LBB37_85:                              ;   in Loop: Header=BB37_86 Depth=2
	s_or_b64 exec, exec, s[36:37]
	v_add_u32_e32 v8, 2, v8
	v_cmp_le_i32_e32 vcc, s47, v8
	s_or_b64 s[34:35], vcc, s[34:35]
	v_add_u32_e32 v3, 16, v3
	s_andn2_b64 exec, exec, s[34:35]
	s_cbranch_execz .LBB37_21
.LBB37_86:                              ;   Parent Loop BB37_22 Depth=1
                                        ; =>  This Inner Loop Header: Depth=2
	s_and_saveexec_b64 s[36:37], s[2:3]
	s_cbranch_execz .LBB37_85
; %bb.87:                               ;   in Loop: Header=BB37_86 Depth=2
	ds_read_b64 v[4:5], v3
	s_and_b64 vcc, exec, s[24:25]
	s_cbranch_vccz .LBB37_89
; %bb.88:                               ;   in Loop: Header=BB37_86 Depth=2
	v_add_u32_e32 v6, s29, v8
	v_mad_u64_u32 v[6:7], s[38:39], v6, s47, v[0:1]
	s_cbranch_execnz .LBB37_84
	s_branch .LBB37_90
.LBB37_89:                              ;   in Loop: Header=BB37_86 Depth=2
                                        ; implicit-def: $vgpr6
.LBB37_90:                              ;   in Loop: Header=BB37_86 Depth=2
	v_add_u32_e32 v6, v18, v8
	s_branch .LBB37_84
.LBB37_91:                              ;   in Loop: Header=BB37_22 Depth=1
                                        ; implicit-def: $sgpr28
                                        ; implicit-def: $vgpr18
	s_cbranch_execz .LBB37_22
.LBB37_92:
	v_cmp_gt_i32_e64 s[0:1], s47, v1
	s_and_saveexec_b64 s[4:5], s[0:1]
	s_cbranch_execz .LBB37_105
; %bb.93:
	s_mul_i32 s26, s33, s47
	v_add_u32_e32 v2, s26, v0
	s_cmp_lg_u32 s48, 0
	v_mul_lo_u32 v6, v2, s47
	v_mul_u32_u24_e32 v2, 0x108, v0
	s_movk_i32 s16, 0x2100
	s_cselect_b64 s[8:9], -1, 0
	v_cmp_gt_i32_e64 s[2:3], s47, v0
	v_add3_u32 v7, v2, v14, s16
	s_mov_b64 s[16:17], 0
	v_mov_b32_e32 v8, v1
	s_branch .LBB37_95
.LBB37_94:                              ;   in Loop: Header=BB37_95 Depth=1
	s_or_b64 exec, exec, s[22:23]
	v_add_u32_e32 v8, 2, v8
	v_cmp_le_i32_e32 vcc, s47, v8
	s_waitcnt vmcnt(0)
	ds_write_b64 v7, v[4:5]
	s_or_b64 s[16:17], vcc, s[16:17]
	v_add_u32_e32 v7, 16, v7
	s_andn2_b64 exec, exec, s[16:17]
	s_cbranch_execz .LBB37_105
.LBB37_95:                              ; =>This Inner Loop Header: Depth=1
	s_and_b64 vcc, exec, s[8:9]
	s_cbranch_vccz .LBB37_100
; %bb.96:                               ;   in Loop: Header=BB37_95 Depth=1
	s_mov_b64 s[22:23], 0
	s_mov_b64 s[18:19], 0
                                        ; implicit-def: $vgpr2
	s_and_saveexec_b64 s[24:25], s[2:3]
	s_xor_b64 s[24:25], exec, s[24:25]
; %bb.97:                               ;   in Loop: Header=BB37_95 Depth=1
	v_add_u32_e32 v2, s26, v8
	s_mov_b64 s[18:19], exec
	v_mad_u64_u32 v[2:3], s[28:29], v2, s47, v[0:1]
; %bb.98:                               ;   in Loop: Header=BB37_95 Depth=1
	s_or_b64 exec, exec, s[24:25]
	s_and_b64 vcc, exec, s[22:23]
	s_cbranch_vccnz .LBB37_101
.LBB37_99:                              ;   in Loop: Header=BB37_95 Depth=1
	v_pk_mov_b32 v[4:5], s[22:23], s[22:23] op_sel:[0,1]
	s_and_saveexec_b64 s[22:23], s[18:19]
	s_cbranch_execz .LBB37_94
	s_branch .LBB37_104
.LBB37_100:                             ;   in Loop: Header=BB37_95 Depth=1
	s_mov_b64 s[22:23], -1
	s_mov_b64 s[18:19], 0
                                        ; implicit-def: $vgpr2
	s_cbranch_execz .LBB37_99
.LBB37_101:                             ;   in Loop: Header=BB37_95 Depth=1
                                        ; implicit-def: $vgpr2
	s_and_saveexec_b64 s[22:23], s[2:3]
; %bb.102:                              ;   in Loop: Header=BB37_95 Depth=1
	v_add_u32_e32 v2, v6, v8
	s_or_b64 s[18:19], s[18:19], exec
; %bb.103:                              ;   in Loop: Header=BB37_95 Depth=1
	s_or_b64 exec, exec, s[22:23]
	s_mov_b64 s[22:23], 0
	v_pk_mov_b32 v[4:5], s[22:23], s[22:23] op_sel:[0,1]
	s_and_saveexec_b64 s[22:23], s[18:19]
	s_cbranch_execz .LBB37_94
.LBB37_104:                             ;   in Loop: Header=BB37_95 Depth=1
	v_ashrrev_i32_e32 v3, 31, v2
	v_lshlrev_b64 v[2:3], 3, v[2:3]
	v_mov_b32_e32 v4, s21
	v_add_co_u32_e32 v2, vcc, s20, v2
	v_addc_co_u32_e32 v3, vcc, v4, v3, vcc
	global_load_dwordx2 v[4:5], v[2:3], off
	s_branch .LBB37_94
.LBB37_105:
	s_or_b64 exec, exec, s[4:5]
; %bb.106:
	s_cmp_lt_i32 s47, 1
	s_waitcnt lgkmcnt(0)
	s_cbranch_scc1 .LBB37_119
; %bb.107:
	v_or_b32_e32 v2, v1, v0
	v_cmp_ne_u32_e64 s[2:3], 0, v2
	v_lshlrev_b32_e32 v2, 3, v0
	s_movk_i32 s22, 0x108
	v_mad_u32_u24 v2, v0, s22, v2
	v_mul_u32_u24_e32 v7, 0x108, v0
	s_movk_i32 s4, 0x4200
	v_add_u32_e32 v6, 0x2100, v2
	v_add_u32_e32 v8, 0x4200, v2
	v_mov_b32_e32 v2, 0x2100
	v_add3_u32 v10, v7, v14, s4
	s_mov_b32 s4, 0
	s_mov_b32 s18, 0
	s_add_i32 s19, s12, s13
	v_mad_u32_u24 v9, v1, s22, v2
	s_brev_b32 s5, 8
	v_mov_b32_e32 v11, 0x260
	v_mov_b32_e32 v12, 0x3ff00000
	;; [unrolled: 1-line block ×4, first 2 shown]
	s_branch .LBB37_109
.LBB37_108:                             ;   in Loop: Header=BB37_109 Depth=1
	s_or_b64 exec, exec, s[8:9]
	s_add_i32 s18, s18, 1
	s_cmp_eq_u32 s18, s47
	v_add_u32_e32 v9, 8, v9
	s_waitcnt lgkmcnt(0)
	s_cbranch_scc1 .LBB37_119
.LBB37_109:                             ; =>This Loop Header: Depth=1
                                        ;     Child Loop BB37_118 Depth 2
	v_cmp_eq_u32_e32 vcc, s18, v0
	s_and_saveexec_b64 s[8:9], vcc
	s_cbranch_execz .LBB37_111
; %bb.110:                              ;   in Loop: Header=BB37_109 Depth=1
	ds_read_b64 v[2:3], v6
	ds_read_b64 v[4:5], v8
	s_waitcnt lgkmcnt(0)
	v_add_f64 v[2:3], v[2:3], -v[4:5]
	v_xor_b32_e32 v4, 0x80000000, v3
	v_cmp_gt_f64_e32 vcc, 0, v[2:3]
	v_cndmask_b32_e32 v3, v3, v4, vcc
	v_cndmask_b32_e32 v2, v2, v2, vcc
	v_cmp_gt_f64_e32 vcc, s[4:5], v[2:3]
	v_cndmask_b32_e64 v4, 0, 1, vcc
	v_lshlrev_b32_e32 v4, 8, v4
	v_ldexp_f64 v[2:3], v[2:3], v4
	v_rsq_f64_e32 v[4:5], v[2:3]
	v_cndmask_b32_e32 v20, 0, v15, vcc
	v_cmp_class_f64_e32 vcc, v[2:3], v11
	v_mul_f64 v[16:17], v[2:3], v[4:5]
	v_mul_f64 v[4:5], v[4:5], 0.5
	v_fma_f64 v[18:19], -v[4:5], v[16:17], 0.5
	v_fmac_f64_e32 v[16:17], v[16:17], v[18:19]
	v_fmac_f64_e32 v[4:5], v[4:5], v[18:19]
	v_fma_f64 v[18:19], -v[16:17], v[16:17], v[2:3]
	v_fmac_f64_e32 v[16:17], v[18:19], v[4:5]
	v_fma_f64 v[18:19], -v[16:17], v[16:17], v[2:3]
	v_fmac_f64_e32 v[16:17], v[18:19], v[4:5]
	v_ldexp_f64 v[4:5], v[16:17], v20
	v_cndmask_b32_e32 v3, v5, v3, vcc
	v_cndmask_b32_e32 v2, v4, v2, vcc
	ds_write_b64 v6, v[2:3]
.LBB37_111:                             ;   in Loop: Header=BB37_109 Depth=1
	s_or_b64 exec, exec, s[8:9]
	s_lshl_b32 s8, s18, 3
	s_mul_i32 s9, s18, 0x108
	s_add_i32 s9, s9, s8
	v_mov_b32_e32 v2, s9
	s_waitcnt lgkmcnt(0)
	ds_read_b64 v[4:5], v2 offset:8448
	v_mov_b32_e32 v2, s8
	v_mad_u32_u24 v16, v0, s22, v2
	ds_read_b64 v[2:3], v16 offset:8448
	s_waitcnt lgkmcnt(1)
	v_cmp_neq_f64_e32 vcc, 0, v[4:5]
	s_or_b64 s[8:9], vcc, s[2:3]
	v_cndmask_b32_e32 v5, v12, v5, vcc
	s_xor_b64 s[16:17], s[8:9], -1
	v_cndmask_b32_e32 v4, 0, v4, vcc
	s_and_saveexec_b64 s[8:9], s[16:17]
	s_cbranch_execz .LBB37_115
; %bb.112:                              ;   in Loop: Header=BB37_109 Depth=1
	v_mbcnt_lo_u32_b32 v4, exec_lo, 0
	v_mbcnt_hi_u32_b32 v4, exec_hi, v4
	v_cmp_eq_u32_e32 vcc, 0, v4
	s_and_saveexec_b64 s[16:17], vcc
	s_cbranch_execz .LBB37_114
; %bb.113:                              ;   in Loop: Header=BB37_109 Depth=1
	v_mov_b32_e32 v4, s19
	global_atomic_smin v13, v4, s[14:15]
.LBB37_114:                             ;   in Loop: Header=BB37_109 Depth=1
	s_or_b64 exec, exec, s[16:17]
	v_mov_b32_e32 v4, 0
	v_mov_b32_e32 v5, 0x3ff00000
.LBB37_115:                             ;   in Loop: Header=BB37_109 Depth=1
	s_or_b64 exec, exec, s[8:9]
	v_cmp_lt_u32_e32 vcc, s18, v0
	s_and_saveexec_b64 s[8:9], vcc
	s_cbranch_execz .LBB37_108
; %bb.116:                              ;   in Loop: Header=BB37_109 Depth=1
	v_lshl_add_u32 v17, s18, 3, v7
	ds_read_b64 v[18:19], v17 offset:16896
	v_add_u32_e32 v24, 0x2100, v16
	s_waitcnt lgkmcnt(0)
	v_add_f64 v[2:3], v[2:3], -v[18:19]
	v_div_scale_f64 v[18:19], s[16:17], v[4:5], v[4:5], v[2:3]
	v_rcp_f64_e32 v[20:21], v[18:19]
	v_div_scale_f64 v[16:17], vcc, v[2:3], v[4:5], v[2:3]
	v_fma_f64 v[22:23], -v[18:19], v[20:21], 1.0
	v_fmac_f64_e32 v[20:21], v[20:21], v[22:23]
	v_fma_f64 v[22:23], -v[18:19], v[20:21], 1.0
	v_fmac_f64_e32 v[20:21], v[20:21], v[22:23]
	v_mul_f64 v[22:23], v[16:17], v[20:21]
	v_fma_f64 v[16:17], -v[18:19], v[22:23], v[16:17]
	v_div_fmas_f64 v[16:17], v[16:17], v[20:21], v[22:23]
	v_div_fixup_f64 v[2:3], v[16:17], v[4:5], v[2:3]
	ds_write_b64 v24, v[2:3]
	s_waitcnt lgkmcnt(0)
	s_and_b64 exec, exec, s[0:1]
	s_cbranch_execz .LBB37_108
; %bb.117:                              ;   in Loop: Header=BB37_109 Depth=1
	s_mov_b64 s[16:17], 0
	v_mov_b32_e32 v4, v10
	v_mov_b32_e32 v5, v9
	;; [unrolled: 1-line block ×3, first 2 shown]
.LBB37_118:                             ;   Parent Loop BB37_109 Depth=1
                                        ; =>  This Inner Loop Header: Depth=2
	ds_read_b64 v[18:19], v5
	ds_read_b64 v[20:21], v4
	v_add_u32_e32 v16, 2, v16
	v_cmp_le_i32_e32 vcc, s47, v16
	v_add_u32_e32 v5, 0x210, v5
	s_or_b64 s[16:17], vcc, s[16:17]
	s_waitcnt lgkmcnt(0)
	v_fmac_f64_e32 v[20:21], v[2:3], v[18:19]
	ds_write_b64 v4, v[20:21]
	v_add_u32_e32 v4, 16, v4
	s_andn2_b64 exec, exec, s[16:17]
	s_cbranch_execnz .LBB37_118
	s_branch .LBB37_108
.LBB37_119:
	s_and_saveexec_b64 s[2:3], s[0:1]
	s_cbranch_execz .LBB37_128
; %bb.120:
	s_mul_i32 s33, s33, s47
	v_add_u32_e32 v2, s33, v0
	s_cmp_lg_u32 s48, 0
	v_mul_lo_u32 v6, v2, s47
	v_mul_u32_u24_e32 v2, 0x108, v0
	s_movk_i32 s8, 0x2100
	v_cmp_gt_i32_e64 s[0:1], s47, v0
	s_cselect_b64 s[4:5], -1, 0
	v_add3_u32 v7, v2, v14, s8
	s_mov_b64 s[8:9], 0
	v_mov_b32_e32 v8, v1
	s_branch .LBB37_123
.LBB37_121:                             ;   in Loop: Header=BB37_123 Depth=1
	v_ashrrev_i32_e32 v5, 31, v4
	v_lshlrev_b64 v[4:5], 3, v[4:5]
	v_mov_b32_e32 v9, s21
	v_add_co_u32_e32 v4, vcc, s20, v4
	v_addc_co_u32_e32 v5, vcc, v9, v5, vcc
	s_waitcnt lgkmcnt(0)
	global_store_dwordx2 v[4:5], v[2:3], off
.LBB37_122:                             ;   in Loop: Header=BB37_123 Depth=1
	s_or_b64 exec, exec, s[16:17]
	v_add_u32_e32 v8, 2, v8
	v_cmp_le_i32_e32 vcc, s47, v8
	s_or_b64 s[8:9], vcc, s[8:9]
	v_add_u32_e32 v7, 16, v7
	s_andn2_b64 exec, exec, s[8:9]
	s_cbranch_execz .LBB37_128
.LBB37_123:                             ; =>This Inner Loop Header: Depth=1
	s_and_saveexec_b64 s[16:17], s[0:1]
	s_cbranch_execz .LBB37_122
; %bb.124:                              ;   in Loop: Header=BB37_123 Depth=1
	ds_read_b64 v[2:3], v7
	s_and_b64 vcc, exec, s[4:5]
	s_cbranch_vccz .LBB37_126
; %bb.125:                              ;   in Loop: Header=BB37_123 Depth=1
	v_add_u32_e32 v4, s33, v8
	v_mad_u64_u32 v[4:5], s[18:19], v4, s47, v[0:1]
	s_cbranch_execnz .LBB37_121
	s_branch .LBB37_127
.LBB37_126:                             ;   in Loop: Header=BB37_123 Depth=1
                                        ; implicit-def: $vgpr4
.LBB37_127:                             ;   in Loop: Header=BB37_123 Depth=1
	v_add_u32_e32 v4, v6, v8
	s_branch .LBB37_121
.LBB37_128:
	s_or_b64 exec, exec, s[2:3]
	v_or_b32_e32 v2, v1, v0
	v_cmp_eq_u32_e64 s[0:1], 0, v2
.LBB37_129:
	s_and_saveexec_b64 s[2:3], s[0:1]
	s_cbranch_execnz .LBB37_137
.LBB37_130:
	s_endpgm
.LBB37_131:
	s_mov_b64 s[0:1], 0
	s_cbranch_execz .LBB37_129
; %bb.132:
	v_or_b32_e32 v0, v1, v0
	v_cmp_eq_u32_e32 vcc, 0, v0
	s_and_saveexec_b64 s[2:3], vcc
	s_cbranch_execz .LBB37_136
; %bb.133:
	v_mbcnt_lo_u32_b32 v0, exec_lo, 0
	v_mbcnt_hi_u32_b32 v0, exec_hi, v0
	v_cmp_eq_u32_e32 vcc, 0, v0
	s_and_saveexec_b64 s[4:5], vcc
	s_cbranch_execz .LBB37_135
; %bb.134:
	s_add_i32 s8, s12, s13
	v_mov_b32_e32 v0, 0
	v_mov_b32_e32 v1, s8
	global_atomic_smin v0, v1, s[14:15]
.LBB37_135:
	s_or_b64 exec, exec, s[4:5]
	s_or_b64 s[0:1], s[0:1], exec
.LBB37_136:
	s_or_b64 exec, exec, s[2:3]
	s_and_saveexec_b64 s[2:3], s[0:1]
	s_cbranch_execz .LBB37_130
.LBB37_137:
	s_add_u32 s0, s10, s6
	s_addc_u32 s1, s11, s7
	v_mov_b32_e32 v0, 0
	v_mov_b32_e32 v1, 1
	s_waitcnt vmcnt(0)
	global_store_dword v0, v1, s[0:1]
	s_endpgm
	.section	.rodata,"a",@progbits
	.p2align	6, 0x0
	.amdhsa_kernel _ZN9rocsparseL19bsric0_17_32_kernelILi64ELi128ELi32EdEEv20rocsparse_direction_iiPKiS3_PT2_S3_PiS3_S6_21rocsparse_index_base_
		.amdhsa_group_segment_fixed_size 26880
		.amdhsa_private_segment_fixed_size 0
		.amdhsa_kernarg_size 76
		.amdhsa_user_sgpr_count 6
		.amdhsa_user_sgpr_private_segment_buffer 1
		.amdhsa_user_sgpr_dispatch_ptr 0
		.amdhsa_user_sgpr_queue_ptr 0
		.amdhsa_user_sgpr_kernarg_segment_ptr 1
		.amdhsa_user_sgpr_dispatch_id 0
		.amdhsa_user_sgpr_flat_scratch_init 0
		.amdhsa_user_sgpr_kernarg_preload_length 0
		.amdhsa_user_sgpr_kernarg_preload_offset 0
		.amdhsa_user_sgpr_private_segment_size 0
		.amdhsa_uses_dynamic_stack 0
		.amdhsa_system_sgpr_private_segment_wavefront_offset 0
		.amdhsa_system_sgpr_workgroup_id_x 1
		.amdhsa_system_sgpr_workgroup_id_y 0
		.amdhsa_system_sgpr_workgroup_id_z 0
		.amdhsa_system_sgpr_workgroup_info 0
		.amdhsa_system_vgpr_workitem_id 1
		.amdhsa_next_free_vgpr 70
		.amdhsa_next_free_sgpr 56
		.amdhsa_accum_offset 72
		.amdhsa_reserve_vcc 1
		.amdhsa_reserve_flat_scratch 0
		.amdhsa_float_round_mode_32 0
		.amdhsa_float_round_mode_16_64 0
		.amdhsa_float_denorm_mode_32 3
		.amdhsa_float_denorm_mode_16_64 3
		.amdhsa_dx10_clamp 1
		.amdhsa_ieee_mode 1
		.amdhsa_fp16_overflow 0
		.amdhsa_tg_split 0
		.amdhsa_exception_fp_ieee_invalid_op 0
		.amdhsa_exception_fp_denorm_src 0
		.amdhsa_exception_fp_ieee_div_zero 0
		.amdhsa_exception_fp_ieee_overflow 0
		.amdhsa_exception_fp_ieee_underflow 0
		.amdhsa_exception_fp_ieee_inexact 0
		.amdhsa_exception_int_div_zero 0
	.end_amdhsa_kernel
	.section	.text._ZN9rocsparseL19bsric0_17_32_kernelILi64ELi128ELi32EdEEv20rocsparse_direction_iiPKiS3_PT2_S3_PiS3_S6_21rocsparse_index_base_,"axG",@progbits,_ZN9rocsparseL19bsric0_17_32_kernelILi64ELi128ELi32EdEEv20rocsparse_direction_iiPKiS3_PT2_S3_PiS3_S6_21rocsparse_index_base_,comdat
.Lfunc_end37:
	.size	_ZN9rocsparseL19bsric0_17_32_kernelILi64ELi128ELi32EdEEv20rocsparse_direction_iiPKiS3_PT2_S3_PiS3_S6_21rocsparse_index_base_, .Lfunc_end37-_ZN9rocsparseL19bsric0_17_32_kernelILi64ELi128ELi32EdEEv20rocsparse_direction_iiPKiS3_PT2_S3_PiS3_S6_21rocsparse_index_base_
                                        ; -- End function
	.section	.AMDGPU.csdata,"",@progbits
; Kernel info:
; codeLenInByte = 5204
; NumSgprs: 60
; NumVgprs: 70
; NumAgprs: 0
; TotalNumVgprs: 70
; ScratchSize: 0
; MemoryBound: 0
; FloatMode: 240
; IeeeMode: 1
; LDSByteSize: 26880 bytes/workgroup (compile time only)
; SGPRBlocks: 7
; VGPRBlocks: 8
; NumSGPRsForWavesPerEU: 60
; NumVGPRsForWavesPerEU: 70
; AccumOffset: 72
; Occupancy: 1
; WaveLimiterHint : 1
; COMPUTE_PGM_RSRC2:SCRATCH_EN: 0
; COMPUTE_PGM_RSRC2:USER_SGPR: 6
; COMPUTE_PGM_RSRC2:TRAP_HANDLER: 0
; COMPUTE_PGM_RSRC2:TGID_X_EN: 1
; COMPUTE_PGM_RSRC2:TGID_Y_EN: 0
; COMPUTE_PGM_RSRC2:TGID_Z_EN: 0
; COMPUTE_PGM_RSRC2:TIDIG_COMP_CNT: 1
; COMPUTE_PGM_RSRC3_GFX90A:ACCUM_OFFSET: 17
; COMPUTE_PGM_RSRC3_GFX90A:TG_SPLIT: 0
	.section	.text._ZN9rocsparseL23bsric0_binsearch_kernelILj32ELj32ELb0E21rocsparse_complex_numIfEEEv20rocsparse_direction_iiPKiS5_PT2_S5_PiS5_S8_21rocsparse_index_base_,"axG",@progbits,_ZN9rocsparseL23bsric0_binsearch_kernelILj32ELj32ELb0E21rocsparse_complex_numIfEEEv20rocsparse_direction_iiPKiS5_PT2_S5_PiS5_S8_21rocsparse_index_base_,comdat
	.globl	_ZN9rocsparseL23bsric0_binsearch_kernelILj32ELj32ELb0E21rocsparse_complex_numIfEEEv20rocsparse_direction_iiPKiS5_PT2_S5_PiS5_S8_21rocsparse_index_base_ ; -- Begin function _ZN9rocsparseL23bsric0_binsearch_kernelILj32ELj32ELb0E21rocsparse_complex_numIfEEEv20rocsparse_direction_iiPKiS5_PT2_S5_PiS5_S8_21rocsparse_index_base_
	.p2align	8
	.type	_ZN9rocsparseL23bsric0_binsearch_kernelILj32ELj32ELb0E21rocsparse_complex_numIfEEEv20rocsparse_direction_iiPKiS5_PT2_S5_PiS5_S8_21rocsparse_index_base_,@function
_ZN9rocsparseL23bsric0_binsearch_kernelILj32ELj32ELb0E21rocsparse_complex_numIfEEEv20rocsparse_direction_iiPKiS5_PT2_S5_PiS5_S8_21rocsparse_index_base_: ; @_ZN9rocsparseL23bsric0_binsearch_kernelILj32ELj32ELb0E21rocsparse_complex_numIfEEEv20rocsparse_direction_iiPKiS5_PT2_S5_PiS5_S8_21rocsparse_index_base_
; %bb.0:
	s_load_dwordx8 s[16:23], s[4:5], 0x28
	s_ashr_i32 s7, s6, 31
	s_lshl_b64 s[0:1], s[6:7], 2
	s_waitcnt lgkmcnt(0)
	s_add_u32 s0, s20, s0
	s_addc_u32 s1, s21, s1
	s_load_dword s14, s[0:1], 0x0
	s_waitcnt lgkmcnt(0)
	s_ashr_i32 s15, s14, 31
	s_lshl_b64 s[0:1], s[14:15], 2
	s_add_u32 s0, s16, s0
	s_addc_u32 s1, s17, s1
	s_load_dword s54, s[0:1], 0x0
	s_load_dword s33, s[4:5], 0x48
	v_pk_mov_b32 v[2:3], s[14:15], s[14:15] op_sel:[0,1]
	s_mov_b64 s[0:1], 0
	s_waitcnt lgkmcnt(0)
	s_cmp_lg_u32 s54, -1
	s_cselect_b64 s[2:3], -1, 0
	s_and_saveexec_b64 s[6:7], s[2:3]
	s_xor_b64 s[20:21], exec, s[6:7]
	s_cbranch_execnz .LBB38_4
; %bb.1:
	s_andn2_saveexec_b64 s[2:3], s[20:21]
	s_cbranch_execnz .LBB38_77
.LBB38_2:
	s_or_b64 exec, exec, s[2:3]
	s_and_saveexec_b64 s[2:3], s[0:1]
	s_cbranch_execnz .LBB38_84
.LBB38_3:
	s_endpgm
.LBB38_4:
	s_load_dword s55, s[4:5], 0x8
	s_waitcnt lgkmcnt(0)
	v_cmp_gt_i32_e32 vcc, s55, v0
	s_and_saveexec_b64 s[28:29], vcc
	s_cbranch_execz .LBB38_76
; %bb.5:
	s_load_dwordx4 s[24:27], s[4:5], 0x10
	s_load_dword s6, s[4:5], 0x0
	v_lshlrev_b64 v[4:5], 2, s[14:15]
	v_add_u32_e32 v26, s33, v2
	s_load_dwordx2 s[30:31], s[4:5], 0x20
	s_waitcnt lgkmcnt(0)
	v_mov_b32_e32 v1, s25
	v_add_co_u32_e32 v4, vcc, s24, v4
	v_addc_co_u32_e32 v5, vcc, v1, v5, vcc
	global_load_dwordx2 v[4:5], v[4:5], off
	v_mov_b32_e32 v6, s54
	s_mul_i32 s25, s55, s55
	v_mul_lo_u32 v28, v6, s25
	s_cmp_eq_u32 s6, 0
	v_mov_b32_e32 v29, s27
	s_cselect_b64 s[2:3], -1, 0
	s_cmp_lg_u32 s6, 0
	s_mov_b32 s34, 0
	v_cmp_ne_u32_e64 s[0:1], 0, v0
	s_mov_b64 s[36:37], 0
	v_mov_b32_e32 v3, 0
	s_mov_b32 s56, 0xf800000
	v_mov_b32_e32 v27, 0x260
	s_cselect_b64 s[38:39], -1, 0
	s_waitcnt vmcnt(0)
	v_subrev_u32_e32 v30, s33, v4
	v_xad_u32 v31, s33, -1, v5
	v_add_u32_e32 v2, v31, v30
	v_ashrrev_i32_e32 v4, 1, v2
	v_ashrrev_i32_e32 v5, 31, v4
	v_lshlrev_b64 v[6:7], 2, v[4:5]
	v_mul_lo_u32 v32, s25, v30
	v_add_co_u32_e32 v6, vcc, s26, v6
	v_cmp_gt_i32_e64 s[4:5], s54, v30
	v_cmp_le_i32_e64 s[6:7], s54, v30
	v_cmp_lt_i32_e64 s[8:9], v30, v31
	v_add_u32_e32 v33, v32, v0
	v_addc_co_u32_e32 v7, vcc, v29, v7, vcc
	v_mov_b32_e32 v5, v0
	s_branch .LBB38_7
.LBB38_6:                               ;   in Loop: Header=BB38_7 Depth=1
	v_add_u32_e32 v5, 32, v5
	v_cmp_le_i32_e32 vcc, s55, v5
	s_or_b64 s[36:37], vcc, s[36:37]
	v_add_u32_e32 v33, 32, v33
	s_andn2_b64 exec, exec, s[36:37]
	s_cbranch_execz .LBB38_76
.LBB38_7:                               ; =>This Loop Header: Depth=1
                                        ;     Child Loop BB38_13 Depth 2
                                        ;       Child Loop BB38_16 Depth 3
                                        ;       Child Loop BB38_20 Depth 3
                                        ;         Child Loop BB38_22 Depth 4
                                        ;         Child Loop BB38_29 Depth 4
                                        ;           Child Loop BB38_31 Depth 5
                                        ;           Child Loop BB38_37 Depth 5
                                        ;     Child Loop BB38_44 Depth 2
                                        ;       Child Loop BB38_54 Depth 3
                                        ;       Child Loop BB38_62 Depth 3
                                        ;         Child Loop BB38_64 Depth 4
                                        ;       Child Loop BB38_72 Depth 3
	v_mul_lo_u32 v34, v5, s55
	s_and_saveexec_b64 s[10:11], s[6:7]
	s_xor_b64 s[10:11], exec, s[10:11]
; %bb.8:                                ;   in Loop: Header=BB38_7 Depth=1
	v_mul_lo_u32 v34, v5, s55
	s_mov_b32 s35, s34
; %bb.9:                                ;   in Loop: Header=BB38_7 Depth=1
	s_or_saveexec_b64 s[40:41], s[10:11]
	v_pk_mov_b32 v[8:9], s[34:35], s[34:35] op_sel:[0,1]
	s_xor_b64 exec, exec, s[40:41]
	s_cbranch_execz .LBB38_41
; %bb.10:                               ;   in Loop: Header=BB38_7 Depth=1
	s_mov_b32 s35, s34
	s_mov_b64 s[42:43], 0
	v_pk_mov_b32 v[8:9], s[34:35], s[34:35] op_sel:[0,1]
	v_mov_b32_e32 v10, v30
                                        ; implicit-def: $sgpr44_sgpr45
	s_branch .LBB38_13
.LBB38_11:                              ;   in Loop: Header=BB38_13 Depth=2
	v_add_u32_e32 v10, 1, v10
	v_cmp_le_i32_e32 vcc, s54, v10
	s_andn2_b64 s[10:11], s[44:45], exec
	s_and_b64 s[12:13], vcc, exec
	s_or_b64 s[44:45], s[10:11], s[12:13]
.LBB38_12:                              ;   in Loop: Header=BB38_13 Depth=2
	s_or_b64 exec, exec, s[46:47]
	s_and_b64 s[10:11], exec, s[44:45]
	s_or_b64 s[42:43], s[10:11], s[42:43]
	s_andn2_b64 exec, exec, s[42:43]
	s_cbranch_execz .LBB38_40
.LBB38_13:                              ;   Parent Loop BB38_7 Depth=1
                                        ; =>  This Loop Header: Depth=2
                                        ;       Child Loop BB38_16 Depth 3
                                        ;       Child Loop BB38_20 Depth 3
                                        ;         Child Loop BB38_22 Depth 4
                                        ;         Child Loop BB38_29 Depth 4
                                        ;           Child Loop BB38_31 Depth 5
                                        ;           Child Loop BB38_37 Depth 5
	v_ashrrev_i32_e32 v11, 31, v10
	v_lshlrev_b64 v[12:13], 2, v[10:11]
	v_add_co_u32_e32 v12, vcc, s26, v12
	v_addc_co_u32_e32 v13, vcc, v29, v13, vcc
	global_load_dword v11, v[12:13], off
	v_mov_b32_e32 v2, s17
	s_or_b64 s[44:45], s[44:45], exec
	s_waitcnt vmcnt(0)
	v_subrev_u32_e32 v12, s33, v11
	v_ashrrev_i32_e32 v13, 31, v12
	v_lshlrev_b64 v[14:15], 2, v[12:13]
	v_add_co_u32_e32 v16, vcc, s16, v14
	v_addc_co_u32_e32 v17, vcc, v2, v15, vcc
	global_load_dword v13, v[16:17], off
	s_waitcnt vmcnt(0)
	v_cmp_ne_u32_e32 vcc, -1, v13
	s_and_saveexec_b64 s[46:47], vcc
	s_cbranch_execz .LBB38_12
; %bb.14:                               ;   in Loop: Header=BB38_13 Depth=2
	v_add_co_u32_e32 v16, vcc, s24, v14
	v_addc_co_u32_e32 v17, vcc, v1, v15, vcc
	global_load_dword v2, v[16:17], off
	v_mov_b32_e32 v16, s19
	v_add_co_u32_e32 v14, vcc, s18, v14
	v_addc_co_u32_e32 v15, vcc, v16, v15, vcc
	global_load_dword v16, v[14:15], off glc
	s_waitcnt vmcnt(0)
	v_cmp_eq_u32_e32 vcc, 0, v16
	s_and_saveexec_b64 s[10:11], vcc
	s_cbranch_execz .LBB38_17
; %bb.15:                               ;   in Loop: Header=BB38_13 Depth=2
	s_mov_b64 s[12:13], 0
.LBB38_16:                              ;   Parent Loop BB38_7 Depth=1
                                        ;     Parent Loop BB38_13 Depth=2
                                        ; =>    This Inner Loop Header: Depth=3
	global_load_dword v16, v[14:15], off glc
	s_waitcnt vmcnt(0)
	v_cmp_ne_u32_e32 vcc, 0, v16
	s_or_b64 s[12:13], vcc, s[12:13]
	s_andn2_b64 exec, exec, s[12:13]
	s_cbranch_execnz .LBB38_16
.LBB38_17:                              ;   in Loop: Header=BB38_13 Depth=2
	s_or_b64 exec, exec, s[10:11]
	v_subrev_u32_e32 v35, s33, v2
	v_mul_lo_u32 v2, v10, s25
	v_mul_lo_u32 v36, v12, s55
	;; [unrolled: 1-line block ×3, first 2 shown]
	v_add_u32_e32 v38, v2, v5
	v_add_u32_e32 v39, v2, v34
	v_cmp_le_i32_e64 s[10:11], v35, v13
	v_mul_lo_u32 v40, s25, v35
	s_mov_b32 s57, 0
	buffer_wbinvl1_vol
	s_branch .LBB38_20
.LBB38_18:                              ;   in Loop: Header=BB38_20 Depth=3
	s_or_b64 exec, exec, s[48:49]
.LBB38_19:                              ;   in Loop: Header=BB38_20 Depth=3
	s_or_b64 exec, exec, s[12:13]
	v_mul_f32_e32 v20, v12, v12
	v_fmac_f32_e32 v20, v2, v2
	v_div_scale_f32 v21, s[12:13], v20, v20, 1.0
	v_rcp_f32_e32 v22, v21
	s_waitcnt vmcnt(0)
	v_pk_add_f32 v[16:17], v[16:17], v[18:19] neg_lo:[0,1] neg_hi:[0,1]
	s_add_i32 s57, s57, 1
	s_cmp_eq_u32 s57, s55
	v_fma_f32 v18, -v21, v22, 1.0
	v_fmac_f32_e32 v22, v18, v22
	v_div_scale_f32 v18, vcc, 1.0, v20, 1.0
	v_mul_f32_e32 v19, v18, v22
	v_fma_f32 v23, -v21, v19, v18
	v_fmac_f32_e32 v19, v23, v22
	v_fma_f32 v18, -v21, v19, v18
	v_div_fmas_f32 v18, v18, v22, v19
	v_div_fixup_f32 v18, v18, v20, 1.0
	v_pk_mul_f32 v[20:21], v[12:13], v[16:17] op_sel:[0,1] op_sel_hi:[0,0] neg_hi:[0,1]
	v_pk_fma_f32 v[16:17], v[16:17], v[2:3], v[20:21] op_sel_hi:[1,0,1]
	v_pk_mul_f32 v[16:17], v[18:19], v[16:17] op_sel_hi:[0,1]
	v_xor_b32_e32 v18, 0x80000000, v17
	v_pk_fma_f32 v[8:9], v[16:17], v[16:17], v[8:9] op_sel:[1,0,0] op_sel_hi:[0,0,1]
	v_mov_b32_e32 v19, v17
	v_pk_fma_f32 v[8:9], v[16:17], v[18:19], v[8:9]
	v_add_u32_e32 v40, 1, v40
	global_store_dwordx2 v[14:15], v[16:17], off
	s_cbranch_scc1 .LBB38_11
.LBB38_20:                              ;   Parent Loop BB38_7 Depth=1
                                        ;     Parent Loop BB38_13 Depth=2
                                        ; =>    This Loop Header: Depth=3
                                        ;         Child Loop BB38_22 Depth 4
                                        ;         Child Loop BB38_29 Depth 4
                                        ;           Child Loop BB38_31 Depth 5
                                        ;           Child Loop BB38_37 Depth 5
	s_mul_i32 s58, s57, s55
	s_add_i32 s12, s58, s57
	v_add_u32_e32 v14, s12, v37
	v_ashrrev_i32_e32 v15, 31, v14
	v_lshlrev_b64 v[14:15], 3, v[14:15]
	v_mov_b32_e32 v2, s31
	v_add_co_u32_e32 v14, vcc, s30, v14
	v_addc_co_u32_e32 v15, vcc, v2, v15, vcc
	global_load_dwordx2 v[14:15], v[14:15], off
	s_waitcnt vmcnt(0)
	v_cmp_neq_f32_e32 vcc, 0, v14
	v_cmp_neq_f32_e64 s[12:13], 0, v15
	s_or_b64 vcc, vcc, s[12:13]
	s_or_b64 s[12:13], vcc, s[0:1]
	v_cndmask_b32_e32 v2, 1.0, v14, vcc
	s_xor_b64 s[48:49], s[12:13], -1
	v_cndmask_b32_e32 v12, 0, v15, vcc
	s_and_saveexec_b64 s[12:13], s[48:49]
	s_cbranch_execz .LBB38_26
; %bb.21:                               ;   in Loop: Header=BB38_20 Depth=3
	s_mov_b64 s[48:49], exec
	s_brev_b32 s35, -2
.LBB38_22:                              ;   Parent Loop BB38_7 Depth=1
                                        ;     Parent Loop BB38_13 Depth=2
                                        ;       Parent Loop BB38_20 Depth=3
                                        ; =>      This Inner Loop Header: Depth=4
	s_ff1_i32_b64 s50, s[48:49]
	v_readlane_b32 s52, v11, s50
	s_lshl_b64 s[50:51], 1, s50
	s_min_i32 s35, s35, s52
	s_andn2_b64 s[48:49], s[48:49], s[50:51]
	s_cmp_lg_u64 s[48:49], 0
	s_cbranch_scc1 .LBB38_22
; %bb.23:                               ;   in Loop: Header=BB38_20 Depth=3
	v_mbcnt_lo_u32_b32 v2, exec_lo, 0
	v_mbcnt_hi_u32_b32 v2, exec_hi, v2
	v_cmp_eq_u32_e32 vcc, 0, v2
	s_and_saveexec_b64 s[48:49], vcc
	s_xor_b64 s[48:49], exec, s[48:49]
	s_cbranch_execz .LBB38_25
; %bb.24:                               ;   in Loop: Header=BB38_20 Depth=3
	v_mov_b32_e32 v2, s35
	global_atomic_smin v3, v2, s[22:23]
.LBB38_25:                              ;   in Loop: Header=BB38_20 Depth=3
	s_or_b64 exec, exec, s[48:49]
	v_mov_b32_e32 v12, 0
	v_mov_b32_e32 v2, 1.0
.LBB38_26:                              ;   in Loop: Header=BB38_20 Depth=3
	s_or_b64 exec, exec, s[12:13]
	v_add_u32_e32 v14, s57, v39
	v_add_u32_e32 v15, s58, v38
	v_cndmask_b32_e64 v14, v15, v14, s[2:3]
	v_ashrrev_i32_e32 v15, 31, v14
	v_lshlrev_b64 v[14:15], 3, v[14:15]
	v_mov_b32_e32 v16, s31
	v_add_co_u32_e32 v14, vcc, s30, v14
	v_addc_co_u32_e32 v15, vcc, v16, v15, vcc
	global_load_dwordx2 v[16:17], v[14:15], off
	s_mov_b32 s35, s34
	v_pk_mov_b32 v[18:19], s[34:35], s[34:35] op_sel:[0,1]
	s_and_saveexec_b64 s[12:13], s[10:11]
	s_cbranch_execz .LBB38_19
; %bb.27:                               ;   in Loop: Header=BB38_20 Depth=3
	global_load_dword v41, v[6:7], off
	v_add_u32_e32 v42, s57, v36
	s_mov_b64 s[48:49], 0
	v_pk_mov_b32 v[18:19], s[34:35], s[34:35] op_sel:[0,1]
	v_mov_b32_e32 v43, v40
	v_mov_b32_e32 v20, v35
	s_branch .LBB38_29
.LBB38_28:                              ;   in Loop: Header=BB38_29 Depth=4
	s_or_b64 exec, exec, s[50:51]
	v_add_u32_e32 v21, 1, v20
	v_cmp_ge_i32_e32 vcc, v20, v13
	v_add_u32_e32 v43, s25, v43
	s_or_b64 s[48:49], vcc, s[48:49]
	v_mov_b32_e32 v20, v21
	s_andn2_b64 exec, exec, s[48:49]
	s_cbranch_execz .LBB38_18
.LBB38_29:                              ;   Parent Loop BB38_7 Depth=1
                                        ;     Parent Loop BB38_13 Depth=2
                                        ;       Parent Loop BB38_20 Depth=3
                                        ; =>      This Loop Header: Depth=4
                                        ;           Child Loop BB38_31 Depth 5
                                        ;           Child Loop BB38_37 Depth 5
	v_ashrrev_i32_e32 v21, 31, v20
	v_lshlrev_b64 v[22:23], 2, v[20:21]
	v_mov_b32_e32 v21, s27
	v_add_co_u32_e32 v22, vcc, s26, v22
	v_addc_co_u32_e32 v23, vcc, v21, v23, vcc
	global_load_dword v21, v[22:23], off
	s_waitcnt vmcnt(1)
	v_mov_b32_e32 v23, v41
	v_mov_b32_e32 v22, v4
	s_and_saveexec_b64 s[50:51], s[8:9]
	s_cbranch_execz .LBB38_33
; %bb.30:                               ;   in Loop: Header=BB38_29 Depth=4
	s_mov_b64 s[52:53], 0
	v_mov_b32_e32 v23, v41
	v_mov_b32_e32 v22, v4
	;; [unrolled: 1-line block ×4, first 2 shown]
.LBB38_31:                              ;   Parent Loop BB38_7 Depth=1
                                        ;     Parent Loop BB38_13 Depth=2
                                        ;       Parent Loop BB38_20 Depth=3
                                        ;         Parent Loop BB38_29 Depth=4
                                        ; =>        This Inner Loop Header: Depth=5
	v_add_u32_e32 v44, 1, v22
	s_waitcnt vmcnt(0)
	v_cmp_lt_i32_e32 vcc, v23, v21
	v_cndmask_b32_e32 v25, v22, v25, vcc
	v_cndmask_b32_e32 v24, v24, v44, vcc
	v_add_u32_e32 v22, v25, v24
	v_ashrrev_i32_e32 v22, 1, v22
	v_ashrrev_i32_e32 v23, 31, v22
	v_lshlrev_b64 v[44:45], 2, v[22:23]
	v_mov_b32_e32 v23, s27
	v_add_co_u32_e32 v44, vcc, s26, v44
	v_addc_co_u32_e32 v45, vcc, v23, v45, vcc
	global_load_dword v23, v[44:45], off
	v_cmp_ge_i32_e32 vcc, v24, v25
	s_or_b64 s[52:53], vcc, s[52:53]
	s_andn2_b64 exec, exec, s[52:53]
	s_cbranch_execnz .LBB38_31
; %bb.32:                               ;   in Loop: Header=BB38_29 Depth=4
	s_or_b64 exec, exec, s[52:53]
.LBB38_33:                              ;   in Loop: Header=BB38_29 Depth=4
	s_or_b64 exec, exec, s[50:51]
	s_waitcnt vmcnt(0)
	v_cmp_eq_u32_e32 vcc, v23, v21
	s_and_saveexec_b64 s[50:51], vcc
	s_cbranch_execz .LBB38_28
; %bb.34:                               ;   in Loop: Header=BB38_29 Depth=4
	v_subrev_u32_e32 v21, s33, v21
	v_mul_lo_u32 v23, v20, s25
	v_mul_lo_u32 v22, v22, s25
	;; [unrolled: 1-line block ×3, first 2 shown]
	v_add_u32_e32 v44, s58, v23
	v_add_u32_e32 v45, v22, v34
	;; [unrolled: 1-line block ×3, first 2 shown]
	s_mov_b32 s35, 0
	v_mov_b32_e32 v47, v43
	s_branch .LBB38_37
.LBB38_35:                              ;   in Loop: Header=BB38_37 Depth=5
	v_ashrrev_i32_e32 v25, 31, v24
	v_lshlrev_b64 v[24:25], 3, v[24:25]
	v_mov_b32_e32 v48, s31
	v_add_co_u32_e32 v24, vcc, s30, v24
	v_ashrrev_i32_e32 v23, 31, v22
	v_addc_co_u32_e32 v25, vcc, v48, v25, vcc
	v_lshlrev_b64 v[22:23], 3, v[22:23]
	v_add_co_u32_e32 v22, vcc, s30, v22
	v_addc_co_u32_e32 v23, vcc, v48, v23, vcc
	global_load_dwordx2 v[22:23], v[22:23], off
	s_nop 0
	global_load_dwordx2 v[24:25], v[24:25], off
	s_waitcnt vmcnt(0)
	v_pk_fma_f32 v[18:19], v[24:25], v[22:23], v[18:19] op_sel_hi:[1,0,1]
	v_pk_fma_f32 v[18:19], v[24:25], v[22:23], v[18:19] op_sel:[1,1,0] op_sel_hi:[0,1,1] neg_hi:[0,1,0]
.LBB38_36:                              ;   in Loop: Header=BB38_37 Depth=5
	s_or_b64 exec, exec, s[52:53]
	s_add_i32 s35, s35, 1
	v_add_u32_e32 v46, s55, v46
	s_cmp_lg_u32 s55, s35
	v_add_u32_e32 v47, s55, v47
	s_cbranch_scc0 .LBB38_28
.LBB38_37:                              ;   Parent Loop BB38_7 Depth=1
                                        ;     Parent Loop BB38_13 Depth=2
                                        ;       Parent Loop BB38_20 Depth=3
                                        ;         Parent Loop BB38_29 Depth=4
                                        ; =>        This Inner Loop Header: Depth=5
	v_add_u32_e32 v22, s35, v21
	v_cmp_lt_i32_e32 vcc, v22, v42
	s_and_saveexec_b64 s[52:53], vcc
	s_cbranch_execz .LBB38_36
; %bb.38:                               ;   in Loop: Header=BB38_37 Depth=5
	s_andn2_b64 vcc, exec, s[2:3]
	v_mov_b32_e32 v24, v47
	v_mov_b32_e32 v22, v46
	s_cbranch_vccnz .LBB38_35
; %bb.39:                               ;   in Loop: Header=BB38_37 Depth=5
	v_add_u32_e32 v24, s35, v44
	v_add_u32_e32 v22, s35, v45
	s_branch .LBB38_35
.LBB38_40:                              ;   in Loop: Header=BB38_7 Depth=1
	s_or_b64 exec, exec, s[42:43]
.LBB38_41:                              ;   in Loop: Header=BB38_7 Depth=1
	s_or_b64 exec, exec, s[40:41]
	v_add_u32_e32 v22, v34, v28
	s_mov_b32 s44, 0
	v_mov_b32_e32 v23, v32
	s_branch .LBB38_44
.LBB38_42:                              ;   in Loop: Header=BB38_44 Depth=2
	v_mul_f32_e32 v11, v2, v2
	v_fmac_f32_e32 v11, v10, v10
	v_div_scale_f32 v18, s[12:13], v11, v11, 1.0
	v_rcp_f32_e32 v19, v18
	s_waitcnt vmcnt(0)
	v_pk_add_f32 v[14:15], v[14:15], v[16:17] neg_lo:[0,1] neg_hi:[0,1]
	v_fma_f32 v16, -v18, v19, 1.0
	v_fmac_f32_e32 v19, v16, v19
	v_div_scale_f32 v16, vcc, 1.0, v11, 1.0
	v_mul_f32_e32 v17, v16, v19
	v_fma_f32 v20, -v18, v17, v16
	v_fmac_f32_e32 v17, v20, v19
	v_fma_f32 v16, -v18, v17, v16
	v_div_fmas_f32 v16, v16, v19, v17
	v_pk_mul_f32 v[18:19], v[2:3], v[14:15] op_sel:[0,1] op_sel_hi:[0,0] neg_hi:[0,1]
	v_div_fixup_f32 v16, v16, v11, 1.0
	v_pk_fma_f32 v[10:11], v[14:15], v[10:11], v[18:19] op_sel_hi:[1,0,1]
	v_pk_mul_f32 v[10:11], v[16:17], v[10:11] op_sel_hi:[0,1]
	v_xor_b32_e32 v14, 0x80000000, v11
	v_pk_fma_f32 v[8:9], v[10:11], v[10:11], v[8:9] op_sel:[1,0,0] op_sel_hi:[0,0,1]
	v_mov_b32_e32 v15, v11
	v_pk_fma_f32 v[8:9], v[10:11], v[14:15], v[8:9]
	global_store_dwordx2 v[12:13], v[10:11], off
.LBB38_43:                              ;   in Loop: Header=BB38_44 Depth=2
	s_or_b64 exec, exec, s[10:11]
	s_add_i32 s44, s44, 1
	s_cmp_eq_u32 s44, s55
	v_add_u32_e32 v23, 1, v23
	s_waitcnt vmcnt(0)
	buffer_wbinvl1_vol
	s_cbranch_scc1 .LBB38_6
.LBB38_44:                              ;   Parent Loop BB38_7 Depth=1
                                        ; =>  This Loop Header: Depth=2
                                        ;       Child Loop BB38_54 Depth 3
                                        ;       Child Loop BB38_62 Depth 3
                                        ;         Child Loop BB38_64 Depth 4
                                        ;       Child Loop BB38_72 Depth 3
	s_mul_i32 s45, s44, s55
	v_add_u32_e32 v24, s45, v28
	v_add_u32_e32 v10, s44, v24
	v_ashrrev_i32_e32 v11, 31, v10
	v_cmp_eq_u32_e32 vcc, s44, v5
	v_lshlrev_b64 v[10:11], 3, v[10:11]
	s_and_saveexec_b64 s[12:13], vcc
	s_cbranch_execz .LBB38_52
; %bb.45:                               ;   in Loop: Header=BB38_44 Depth=2
	v_mov_b32_e32 v2, s31
	v_add_co_u32_e32 v12, vcc, s30, v10
	v_addc_co_u32_e32 v13, vcc, v2, v11, vcc
	global_load_dwordx2 v[14:15], v[12:13], off
	s_waitcnt vmcnt(0)
	v_sub_f32_e32 v2, v14, v9
	v_sub_f32_e32 v16, v15, v8
	v_cmp_gt_f32_e32 vcc, 0, v2
	v_cndmask_b32_e64 v2, v2, -v2, vcc
	v_cmp_gt_f32_e32 vcc, 0, v16
	v_cndmask_b32_e64 v14, v16, -v16, vcc
	v_cmp_ngt_f32_e32 vcc, v2, v14
                                        ; implicit-def: $vgpr15
	s_and_saveexec_b64 s[10:11], vcc
	s_xor_b64 s[40:41], exec, s[10:11]
	s_cbranch_execz .LBB38_49
; %bb.46:                               ;   in Loop: Header=BB38_44 Depth=2
	v_cmp_neq_f32_e32 vcc, 0, v16
	v_mov_b32_e32 v15, 0
	s_and_saveexec_b64 s[42:43], vcc
	s_cbranch_execz .LBB38_48
; %bb.47:                               ;   in Loop: Header=BB38_44 Depth=2
	v_div_scale_f32 v15, s[10:11], v14, v14, v2
	v_rcp_f32_e32 v16, v15
	v_div_scale_f32 v17, vcc, v2, v14, v2
	v_fma_f32 v18, -v15, v16, 1.0
	v_fmac_f32_e32 v16, v18, v16
	v_mul_f32_e32 v18, v17, v16
	v_fma_f32 v19, -v15, v18, v17
	v_fmac_f32_e32 v18, v19, v16
	v_fma_f32 v15, -v15, v18, v17
	v_div_fmas_f32 v15, v15, v16, v18
	v_div_fixup_f32 v2, v15, v14, v2
	v_fma_f32 v2, v2, v2, 1.0
	v_mul_f32_e32 v15, 0x4f800000, v2
	v_cmp_gt_f32_e32 vcc, s56, v2
	v_cndmask_b32_e32 v2, v2, v15, vcc
	v_sqrt_f32_e32 v15, v2
	v_add_u32_e32 v16, -1, v15
	v_fma_f32 v17, -v16, v15, v2
	v_cmp_ge_f32_e64 s[10:11], 0, v17
	v_add_u32_e32 v17, 1, v15
	v_cndmask_b32_e64 v16, v15, v16, s[10:11]
	v_fma_f32 v15, -v17, v15, v2
	v_cmp_lt_f32_e64 s[10:11], 0, v15
	v_cndmask_b32_e64 v15, v16, v17, s[10:11]
	v_mul_f32_e32 v16, 0x37800000, v15
	v_cndmask_b32_e32 v15, v15, v16, vcc
	v_cmp_class_f32_e32 vcc, v2, v27
	v_cndmask_b32_e32 v2, v15, v2, vcc
	v_mul_f32_e32 v15, v14, v2
.LBB38_48:                              ;   in Loop: Header=BB38_44 Depth=2
	s_or_b64 exec, exec, s[42:43]
                                        ; implicit-def: $vgpr2
                                        ; implicit-def: $vgpr14
.LBB38_49:                              ;   in Loop: Header=BB38_44 Depth=2
	s_andn2_saveexec_b64 s[40:41], s[40:41]
	s_cbranch_execz .LBB38_51
; %bb.50:                               ;   in Loop: Header=BB38_44 Depth=2
	v_div_scale_f32 v15, s[10:11], v2, v2, v14
	v_rcp_f32_e32 v16, v15
	v_div_scale_f32 v17, vcc, v14, v2, v14
	v_fma_f32 v18, -v15, v16, 1.0
	v_fmac_f32_e32 v16, v18, v16
	v_mul_f32_e32 v18, v17, v16
	v_fma_f32 v19, -v15, v18, v17
	v_fmac_f32_e32 v18, v19, v16
	v_fma_f32 v15, -v15, v18, v17
	v_div_fmas_f32 v15, v15, v16, v18
	v_div_fixup_f32 v14, v15, v2, v14
	v_fma_f32 v14, v14, v14, 1.0
	v_mul_f32_e32 v15, 0x4f800000, v14
	v_cmp_gt_f32_e32 vcc, s56, v14
	v_cndmask_b32_e32 v14, v14, v15, vcc
	v_sqrt_f32_e32 v15, v14
	v_add_u32_e32 v16, -1, v15
	v_fma_f32 v17, -v16, v15, v14
	v_cmp_ge_f32_e64 s[10:11], 0, v17
	v_add_u32_e32 v17, 1, v15
	v_cndmask_b32_e64 v16, v15, v16, s[10:11]
	v_fma_f32 v15, -v17, v15, v14
	v_cmp_lt_f32_e64 s[10:11], 0, v15
	v_cndmask_b32_e64 v15, v16, v17, s[10:11]
	v_mul_f32_e32 v16, 0x37800000, v15
	v_cndmask_b32_e32 v15, v15, v16, vcc
	v_cmp_class_f32_e32 vcc, v14, v27
	v_cndmask_b32_e32 v14, v15, v14, vcc
	v_mul_f32_e32 v15, v2, v14
.LBB38_51:                              ;   in Loop: Header=BB38_44 Depth=2
	s_or_b64 exec, exec, s[40:41]
	v_mul_f32_e32 v2, 0x4f800000, v15
	v_cmp_gt_f32_e32 vcc, s56, v15
	v_cndmask_b32_e32 v2, v15, v2, vcc
	v_sqrt_f32_e32 v14, v2
	v_add_u32_e32 v15, -1, v14
	v_fma_f32 v17, -v15, v14, v2
	v_add_u32_e32 v16, 1, v14
	v_cmp_ge_f32_e64 s[10:11], 0, v17
	v_cndmask_b32_e64 v15, v14, v15, s[10:11]
	v_fma_f32 v14, -v16, v14, v2
	v_cmp_lt_f32_e64 s[10:11], 0, v14
	v_cndmask_b32_e64 v14, v15, v16, s[10:11]
	v_mul_f32_e32 v15, 0x37800000, v14
	v_cndmask_b32_e32 v14, v14, v15, vcc
	v_cmp_class_f32_e32 vcc, v2, v27
	v_cndmask_b32_e32 v2, v14, v2, vcc
	global_store_dwordx2 v[12:13], v[2:3], off
.LBB38_52:                              ;   in Loop: Header=BB38_44 Depth=2
	s_or_b64 exec, exec, s[12:13]
	v_mov_b32_e32 v2, s31
	v_add_co_u32_e32 v10, vcc, s30, v10
	v_addc_co_u32_e32 v11, vcc, v2, v11, vcc
	s_waitcnt vmcnt(0)
	buffer_wbinvl1_vol
	global_load_dwordx2 v[10:11], v[10:11], off
	s_waitcnt vmcnt(0)
	v_cmp_neq_f32_e32 vcc, 0, v10
	v_cmp_neq_f32_e64 s[10:11], 0, v11
	s_or_b64 vcc, vcc, s[10:11]
	s_or_b64 s[10:11], vcc, s[0:1]
	v_cndmask_b32_e32 v2, 0, v11, vcc
	s_xor_b64 s[12:13], s[10:11], -1
	v_cndmask_b32_e32 v10, 1.0, v10, vcc
	s_and_saveexec_b64 s[10:11], s[12:13]
	s_cbranch_execz .LBB38_58
; %bb.53:                               ;   in Loop: Header=BB38_44 Depth=2
	s_mov_b64 s[12:13], exec
	s_brev_b32 s35, -2
.LBB38_54:                              ;   Parent Loop BB38_7 Depth=1
                                        ;     Parent Loop BB38_44 Depth=2
                                        ; =>    This Inner Loop Header: Depth=3
	s_ff1_i32_b64 s40, s[12:13]
	v_readlane_b32 s42, v26, s40
	s_lshl_b64 s[40:41], 1, s40
	s_min_i32 s35, s35, s42
	s_andn2_b64 s[12:13], s[12:13], s[40:41]
	s_cmp_lg_u64 s[12:13], 0
	s_cbranch_scc1 .LBB38_54
; %bb.55:                               ;   in Loop: Header=BB38_44 Depth=2
	v_mbcnt_lo_u32_b32 v2, exec_lo, 0
	v_mbcnt_hi_u32_b32 v2, exec_hi, v2
	v_cmp_eq_u32_e32 vcc, 0, v2
	s_and_saveexec_b64 s[12:13], vcc
	s_xor_b64 s[12:13], exec, s[12:13]
	s_cbranch_execz .LBB38_57
; %bb.56:                               ;   in Loop: Header=BB38_44 Depth=2
	v_mov_b32_e32 v2, s35
	global_atomic_smin v3, v2, s[22:23]
.LBB38_57:                              ;   in Loop: Header=BB38_44 Depth=2
	s_or_b64 exec, exec, s[12:13]
	v_mov_b32_e32 v10, 1.0
	v_mov_b32_e32 v2, 0
.LBB38_58:                              ;   in Loop: Header=BB38_44 Depth=2
	s_or_b64 exec, exec, s[10:11]
	v_cmp_lt_i32_e32 vcc, s44, v5
	s_and_saveexec_b64 s[10:11], vcc
	s_cbranch_execz .LBB38_43
; %bb.59:                               ;   in Loop: Header=BB38_44 Depth=2
	v_add_u32_e32 v11, s44, v22
	v_add_u32_e32 v12, v24, v5
	v_cndmask_b32_e64 v12, v12, v11, s[2:3]
	v_ashrrev_i32_e32 v13, 31, v12
	v_lshlrev_b64 v[12:13], 3, v[12:13]
	v_mov_b32_e32 v11, s31
	v_add_co_u32_e32 v12, vcc, s30, v12
	v_addc_co_u32_e32 v13, vcc, v11, v13, vcc
	global_load_dwordx2 v[14:15], v[12:13], off
	s_mov_b32 s35, s34
	v_pk_mov_b32 v[16:17], s[34:35], s[34:35] op_sel:[0,1]
	s_and_saveexec_b64 s[12:13], s[4:5]
	s_cbranch_execz .LBB38_69
; %bb.60:                               ;   in Loop: Header=BB38_44 Depth=2
	s_mov_b64 s[40:41], 0
	v_pk_mov_b32 v[16:17], s[34:35], s[34:35] op_sel:[0,1]
	v_mov_b32_e32 v11, v23
	v_mov_b32_e32 v25, v33
	;; [unrolled: 1-line block ×3, first 2 shown]
	s_branch .LBB38_62
.LBB38_61:                              ;   in Loop: Header=BB38_62 Depth=3
	v_add_u32_e32 v35, 1, v35
	v_cmp_le_i32_e32 vcc, s54, v35
	v_add_u32_e32 v25, s25, v25
	s_or_b64 s[40:41], vcc, s[40:41]
	v_add_u32_e32 v11, s25, v11
	s_andn2_b64 exec, exec, s[40:41]
	s_cbranch_execz .LBB38_68
.LBB38_62:                              ;   Parent Loop BB38_7 Depth=1
                                        ;     Parent Loop BB38_44 Depth=2
                                        ; =>    This Loop Header: Depth=3
                                        ;         Child Loop BB38_64 Depth 4
	v_mul_lo_u32 v18, v35, s25
	v_add_u32_e32 v36, s45, v18
	v_add_u32_e32 v37, v18, v34
	s_mov_b32 s35, 0
	s_mov_b32 s46, s55
	s_mov_b32 s47, 0
	s_branch .LBB38_64
.LBB38_63:                              ;   in Loop: Header=BB38_64 Depth=4
	v_ashrrev_i32_e32 v21, 31, v20
	v_lshlrev_b64 v[20:21], 3, v[20:21]
	v_mov_b32_e32 v38, s31
	v_add_co_u32_e32 v20, vcc, s30, v20
	v_ashrrev_i32_e32 v19, 31, v18
	v_addc_co_u32_e32 v21, vcc, v38, v21, vcc
	v_lshlrev_b64 v[18:19], 3, v[18:19]
	v_add_co_u32_e32 v18, vcc, s30, v18
	v_addc_co_u32_e32 v19, vcc, v38, v19, vcc
	global_load_dwordx2 v[18:19], v[18:19], off
	s_nop 0
	global_load_dwordx2 v[20:21], v[20:21], off
	s_add_i32 s47, s47, 1
	s_add_i32 s35, s35, s55
	s_add_i32 s46, s46, -1
	s_cmp_eq_u32 s46, 0
	s_waitcnt vmcnt(0)
	v_pk_fma_f32 v[16:17], v[20:21], v[18:19], v[16:17] op_sel_hi:[1,0,1]
	v_pk_fma_f32 v[16:17], v[20:21], v[18:19], v[16:17] op_sel:[1,1,0] op_sel_hi:[0,1,1] neg_hi:[0,1,0]
	s_cbranch_scc1 .LBB38_61
.LBB38_64:                              ;   Parent Loop BB38_7 Depth=1
                                        ;     Parent Loop BB38_44 Depth=2
                                        ;       Parent Loop BB38_62 Depth=3
                                        ; =>      This Inner Loop Header: Depth=4
	s_and_b64 vcc, exec, s[38:39]
	s_cbranch_vccz .LBB38_66
; %bb.65:                               ;   in Loop: Header=BB38_64 Depth=4
	v_add_u32_e32 v20, s35, v11
	v_add_u32_e32 v18, s35, v25
	s_cbranch_execnz .LBB38_63
	s_branch .LBB38_67
.LBB38_66:                              ;   in Loop: Header=BB38_64 Depth=4
                                        ; implicit-def: $vgpr18
                                        ; implicit-def: $vgpr20
.LBB38_67:                              ;   in Loop: Header=BB38_64 Depth=4
	v_add_u32_e32 v20, s47, v36
	v_add_u32_e32 v18, s47, v37
	s_branch .LBB38_63
.LBB38_68:                              ;   in Loop: Header=BB38_44 Depth=2
	s_or_b64 exec, exec, s[40:41]
.LBB38_69:                              ;   in Loop: Header=BB38_44 Depth=2
	s_or_b64 exec, exec, s[12:13]
	s_cmp_eq_u32 s44, 0
	s_cbranch_scc1 .LBB38_42
; %bb.70:                               ;   in Loop: Header=BB38_44 Depth=2
	s_mov_b32 s35, 0
	v_mov_b32_e32 v11, v28
	s_branch .LBB38_72
.LBB38_71:                              ;   in Loop: Header=BB38_72 Depth=3
	v_ashrrev_i32_e32 v21, 31, v20
	v_lshlrev_b64 v[20:21], 3, v[20:21]
	v_mov_b32_e32 v25, s31
	v_add_co_u32_e32 v20, vcc, s30, v20
	v_ashrrev_i32_e32 v19, 31, v18
	v_addc_co_u32_e32 v21, vcc, v25, v21, vcc
	v_lshlrev_b64 v[18:19], 3, v[18:19]
	v_add_co_u32_e32 v18, vcc, s30, v18
	v_addc_co_u32_e32 v19, vcc, v25, v19, vcc
	global_load_dwordx2 v[36:37], v[18:19], off
	global_load_dwordx2 v[38:39], v[20:21], off
	s_add_i32 s35, s35, 1
	s_cmp_ge_u32 s35, s44
	v_add_u32_e32 v11, s55, v11
	s_waitcnt vmcnt(0)
	v_pk_fma_f32 v[16:17], v[38:39], v[36:37], v[16:17] op_sel_hi:[1,0,1]
	v_pk_fma_f32 v[16:17], v[38:39], v[36:37], v[16:17] op_sel:[1,1,0] op_sel_hi:[0,1,1] neg_hi:[0,1,0]
	s_cbranch_scc1 .LBB38_42
.LBB38_72:                              ;   Parent Loop BB38_7 Depth=1
                                        ;     Parent Loop BB38_44 Depth=2
                                        ; =>    This Inner Loop Header: Depth=3
	s_and_b64 vcc, exec, s[38:39]
	s_cbranch_vccz .LBB38_74
; %bb.73:                               ;   in Loop: Header=BB38_72 Depth=3
	v_add_u32_e32 v20, s44, v11
	v_add_u32_e32 v18, v5, v11
	s_cbranch_execnz .LBB38_71
	s_branch .LBB38_75
.LBB38_74:                              ;   in Loop: Header=BB38_72 Depth=3
                                        ; implicit-def: $vgpr18
                                        ; implicit-def: $vgpr20
.LBB38_75:                              ;   in Loop: Header=BB38_72 Depth=3
	v_add_u32_e32 v20, s35, v24
	v_add_u32_e32 v18, s35, v22
	s_branch .LBB38_71
.LBB38_76:
	s_or_b64 exec, exec, s[28:29]
	v_cmp_eq_u32_e32 vcc, 31, v0
	s_and_b64 s[0:1], vcc, exec
                                        ; implicit-def: $vgpr0
                                        ; implicit-def: $vgpr2_vgpr3
	s_andn2_saveexec_b64 s[2:3], s[20:21]
	s_cbranch_execz .LBB38_2
.LBB38_77:
	v_cmp_eq_u32_e32 vcc, 31, v0
	s_mov_b64 s[6:7], s[0:1]
	s_and_saveexec_b64 s[4:5], vcc
	s_cbranch_execz .LBB38_83
; %bb.78:
	s_mov_b64 s[6:7], exec
	v_add_u32_e32 v0, s33, v2
	s_brev_b32 s8, -2
.LBB38_79:                              ; =>This Inner Loop Header: Depth=1
	s_ff1_i32_b64 s9, s[6:7]
	v_readlane_b32 s12, v0, s9
	s_lshl_b64 s[10:11], 1, s9
	s_min_i32 s8, s8, s12
	s_andn2_b64 s[6:7], s[6:7], s[10:11]
	s_cmp_lg_u64 s[6:7], 0
	s_cbranch_scc1 .LBB38_79
; %bb.80:
	v_mbcnt_lo_u32_b32 v0, exec_lo, 0
	v_mbcnt_hi_u32_b32 v0, exec_hi, v0
	v_cmp_eq_u32_e32 vcc, 0, v0
	s_and_saveexec_b64 s[6:7], vcc
	s_xor_b64 s[6:7], exec, s[6:7]
	s_cbranch_execz .LBB38_82
; %bb.81:
	v_mov_b32_e32 v0, 0
	v_mov_b32_e32 v1, s8
	global_atomic_smin v0, v1, s[22:23]
.LBB38_82:
	s_or_b64 exec, exec, s[6:7]
	s_or_b64 s[6:7], s[0:1], exec
.LBB38_83:
	s_or_b64 exec, exec, s[4:5]
	s_andn2_b64 s[0:1], s[0:1], exec
	s_and_b64 s[4:5], s[6:7], exec
	s_or_b64 s[0:1], s[0:1], s[4:5]
	s_or_b64 exec, exec, s[2:3]
	s_and_saveexec_b64 s[2:3], s[0:1]
	s_cbranch_execz .LBB38_3
.LBB38_84:
	v_lshlrev_b64 v[0:1], 2, s[14:15]
	v_mov_b32_e32 v2, s19
	v_add_co_u32_e32 v0, vcc, s18, v0
	v_addc_co_u32_e32 v1, vcc, v2, v1, vcc
	v_mov_b32_e32 v2, 1
	s_waitcnt vmcnt(0)
	global_store_dword v[0:1], v2, off
	s_endpgm
	.section	.rodata,"a",@progbits
	.p2align	6, 0x0
	.amdhsa_kernel _ZN9rocsparseL23bsric0_binsearch_kernelILj32ELj32ELb0E21rocsparse_complex_numIfEEEv20rocsparse_direction_iiPKiS5_PT2_S5_PiS5_S8_21rocsparse_index_base_
		.amdhsa_group_segment_fixed_size 0
		.amdhsa_private_segment_fixed_size 0
		.amdhsa_kernarg_size 76
		.amdhsa_user_sgpr_count 6
		.amdhsa_user_sgpr_private_segment_buffer 1
		.amdhsa_user_sgpr_dispatch_ptr 0
		.amdhsa_user_sgpr_queue_ptr 0
		.amdhsa_user_sgpr_kernarg_segment_ptr 1
		.amdhsa_user_sgpr_dispatch_id 0
		.amdhsa_user_sgpr_flat_scratch_init 0
		.amdhsa_user_sgpr_kernarg_preload_length 0
		.amdhsa_user_sgpr_kernarg_preload_offset 0
		.amdhsa_user_sgpr_private_segment_size 0
		.amdhsa_uses_dynamic_stack 0
		.amdhsa_system_sgpr_private_segment_wavefront_offset 0
		.amdhsa_system_sgpr_workgroup_id_x 1
		.amdhsa_system_sgpr_workgroup_id_y 0
		.amdhsa_system_sgpr_workgroup_id_z 0
		.amdhsa_system_sgpr_workgroup_info 0
		.amdhsa_system_vgpr_workitem_id 0
		.amdhsa_next_free_vgpr 49
		.amdhsa_next_free_sgpr 59
		.amdhsa_accum_offset 52
		.amdhsa_reserve_vcc 1
		.amdhsa_reserve_flat_scratch 0
		.amdhsa_float_round_mode_32 0
		.amdhsa_float_round_mode_16_64 0
		.amdhsa_float_denorm_mode_32 3
		.amdhsa_float_denorm_mode_16_64 3
		.amdhsa_dx10_clamp 1
		.amdhsa_ieee_mode 1
		.amdhsa_fp16_overflow 0
		.amdhsa_tg_split 0
		.amdhsa_exception_fp_ieee_invalid_op 0
		.amdhsa_exception_fp_denorm_src 0
		.amdhsa_exception_fp_ieee_div_zero 0
		.amdhsa_exception_fp_ieee_overflow 0
		.amdhsa_exception_fp_ieee_underflow 0
		.amdhsa_exception_fp_ieee_inexact 0
		.amdhsa_exception_int_div_zero 0
	.end_amdhsa_kernel
	.section	.text._ZN9rocsparseL23bsric0_binsearch_kernelILj32ELj32ELb0E21rocsparse_complex_numIfEEEv20rocsparse_direction_iiPKiS5_PT2_S5_PiS5_S8_21rocsparse_index_base_,"axG",@progbits,_ZN9rocsparseL23bsric0_binsearch_kernelILj32ELj32ELb0E21rocsparse_complex_numIfEEEv20rocsparse_direction_iiPKiS5_PT2_S5_PiS5_S8_21rocsparse_index_base_,comdat
.Lfunc_end38:
	.size	_ZN9rocsparseL23bsric0_binsearch_kernelILj32ELj32ELb0E21rocsparse_complex_numIfEEEv20rocsparse_direction_iiPKiS5_PT2_S5_PiS5_S8_21rocsparse_index_base_, .Lfunc_end38-_ZN9rocsparseL23bsric0_binsearch_kernelILj32ELj32ELb0E21rocsparse_complex_numIfEEEv20rocsparse_direction_iiPKiS5_PT2_S5_PiS5_S8_21rocsparse_index_base_
                                        ; -- End function
	.section	.AMDGPU.csdata,"",@progbits
; Kernel info:
; codeLenInByte = 3296
; NumSgprs: 63
; NumVgprs: 49
; NumAgprs: 0
; TotalNumVgprs: 49
; ScratchSize: 0
; MemoryBound: 0
; FloatMode: 240
; IeeeMode: 1
; LDSByteSize: 0 bytes/workgroup (compile time only)
; SGPRBlocks: 7
; VGPRBlocks: 6
; NumSGPRsForWavesPerEU: 63
; NumVGPRsForWavesPerEU: 49
; AccumOffset: 52
; Occupancy: 8
; WaveLimiterHint : 1
; COMPUTE_PGM_RSRC2:SCRATCH_EN: 0
; COMPUTE_PGM_RSRC2:USER_SGPR: 6
; COMPUTE_PGM_RSRC2:TRAP_HANDLER: 0
; COMPUTE_PGM_RSRC2:TGID_X_EN: 1
; COMPUTE_PGM_RSRC2:TGID_Y_EN: 0
; COMPUTE_PGM_RSRC2:TGID_Z_EN: 0
; COMPUTE_PGM_RSRC2:TIDIG_COMP_CNT: 0
; COMPUTE_PGM_RSRC3_GFX90A:ACCUM_OFFSET: 12
; COMPUTE_PGM_RSRC3_GFX90A:TG_SPLIT: 0
	.section	.text._ZN9rocsparseL23bsric0_binsearch_kernelILj64ELj64ELb1E21rocsparse_complex_numIfEEEv20rocsparse_direction_iiPKiS5_PT2_S5_PiS5_S8_21rocsparse_index_base_,"axG",@progbits,_ZN9rocsparseL23bsric0_binsearch_kernelILj64ELj64ELb1E21rocsparse_complex_numIfEEEv20rocsparse_direction_iiPKiS5_PT2_S5_PiS5_S8_21rocsparse_index_base_,comdat
	.globl	_ZN9rocsparseL23bsric0_binsearch_kernelILj64ELj64ELb1E21rocsparse_complex_numIfEEEv20rocsparse_direction_iiPKiS5_PT2_S5_PiS5_S8_21rocsparse_index_base_ ; -- Begin function _ZN9rocsparseL23bsric0_binsearch_kernelILj64ELj64ELb1E21rocsparse_complex_numIfEEEv20rocsparse_direction_iiPKiS5_PT2_S5_PiS5_S8_21rocsparse_index_base_
	.p2align	8
	.type	_ZN9rocsparseL23bsric0_binsearch_kernelILj64ELj64ELb1E21rocsparse_complex_numIfEEEv20rocsparse_direction_iiPKiS5_PT2_S5_PiS5_S8_21rocsparse_index_base_,@function
_ZN9rocsparseL23bsric0_binsearch_kernelILj64ELj64ELb1E21rocsparse_complex_numIfEEEv20rocsparse_direction_iiPKiS5_PT2_S5_PiS5_S8_21rocsparse_index_base_: ; @_ZN9rocsparseL23bsric0_binsearch_kernelILj64ELj64ELb1E21rocsparse_complex_numIfEEEv20rocsparse_direction_iiPKiS5_PT2_S5_PiS5_S8_21rocsparse_index_base_
; %bb.0:
	s_load_dwordx8 s[16:23], s[4:5], 0x28
	s_ashr_i32 s7, s6, 31
	s_lshl_b64 s[0:1], s[6:7], 2
	s_waitcnt lgkmcnt(0)
	s_add_u32 s0, s20, s0
	s_addc_u32 s1, s21, s1
	s_load_dword s14, s[0:1], 0x0
	s_waitcnt lgkmcnt(0)
	s_ashr_i32 s15, s14, 31
	s_lshl_b64 s[0:1], s[14:15], 2
	s_add_u32 s0, s16, s0
	s_addc_u32 s1, s17, s1
	s_load_dword s54, s[0:1], 0x0
	s_load_dword s33, s[4:5], 0x48
	v_pk_mov_b32 v[2:3], s[14:15], s[14:15] op_sel:[0,1]
	s_mov_b64 s[0:1], 0
	s_waitcnt lgkmcnt(0)
	s_cmp_lg_u32 s54, -1
	s_cselect_b64 s[2:3], -1, 0
	s_and_saveexec_b64 s[6:7], s[2:3]
	s_xor_b64 s[20:21], exec, s[6:7]
	s_cbranch_execnz .LBB39_4
; %bb.1:
	s_andn2_saveexec_b64 s[2:3], s[20:21]
	s_cbranch_execnz .LBB39_79
.LBB39_2:
	s_or_b64 exec, exec, s[2:3]
	s_and_saveexec_b64 s[2:3], s[0:1]
	s_cbranch_execnz .LBB39_86
.LBB39_3:
	s_endpgm
.LBB39_4:
	s_load_dword s55, s[4:5], 0x8
	s_waitcnt lgkmcnt(0)
	v_cmp_gt_i32_e32 vcc, s55, v0
	s_and_saveexec_b64 s[28:29], vcc
	s_cbranch_execz .LBB39_78
; %bb.5:
	s_load_dwordx4 s[24:27], s[4:5], 0x10
	s_load_dword s6, s[4:5], 0x0
	v_lshlrev_b64 v[4:5], 2, s[14:15]
	v_add_u32_e32 v26, s33, v2
	s_load_dwordx2 s[30:31], s[4:5], 0x20
	s_waitcnt lgkmcnt(0)
	v_mov_b32_e32 v1, s25
	v_add_co_u32_e32 v4, vcc, s24, v4
	v_addc_co_u32_e32 v5, vcc, v1, v5, vcc
	global_load_dwordx2 v[4:5], v[4:5], off
	v_mov_b32_e32 v6, s54
	s_mul_i32 s25, s55, s55
	v_mul_lo_u32 v28, v6, s25
	s_cmp_eq_u32 s6, 0
	v_mov_b32_e32 v29, s27
	s_cselect_b64 s[2:3], -1, 0
	s_cmp_lg_u32 s6, 0
	s_mov_b32 s34, 0
	v_cmp_ne_u32_e64 s[0:1], 0, v0
	s_mov_b64 s[36:37], 0
	v_mov_b32_e32 v3, 0
	s_mov_b32 s56, 0xf800000
	v_mov_b32_e32 v27, 0x260
	s_cselect_b64 s[38:39], -1, 0
	s_waitcnt vmcnt(0)
	v_subrev_u32_e32 v30, s33, v4
	v_xad_u32 v31, s33, -1, v5
	v_add_u32_e32 v2, v31, v30
	v_ashrrev_i32_e32 v4, 1, v2
	v_ashrrev_i32_e32 v5, 31, v4
	v_lshlrev_b64 v[6:7], 2, v[4:5]
	v_mul_lo_u32 v32, s25, v30
	v_add_co_u32_e32 v6, vcc, s26, v6
	v_cmp_gt_i32_e64 s[4:5], s54, v30
	v_cmp_le_i32_e64 s[6:7], s54, v30
	v_cmp_lt_i32_e64 s[8:9], v30, v31
	v_add_u32_e32 v33, v32, v0
	v_addc_co_u32_e32 v7, vcc, v29, v7, vcc
	v_mov_b32_e32 v5, v0
	s_branch .LBB39_7
.LBB39_6:                               ;   in Loop: Header=BB39_7 Depth=1
	v_add_u32_e32 v5, 64, v5
	v_cmp_le_i32_e32 vcc, s55, v5
	s_or_b64 s[36:37], vcc, s[36:37]
	v_add_u32_e32 v33, 64, v33
	s_andn2_b64 exec, exec, s[36:37]
	s_cbranch_execz .LBB39_78
.LBB39_7:                               ; =>This Loop Header: Depth=1
                                        ;     Child Loop BB39_13 Depth 2
                                        ;       Child Loop BB39_17 Depth 3
                                        ;         Child Loop BB39_18 Depth 4
                                        ;       Child Loop BB39_22 Depth 3
                                        ;         Child Loop BB39_24 Depth 4
                                        ;         Child Loop BB39_31 Depth 4
                                        ;           Child Loop BB39_33 Depth 5
                                        ;           Child Loop BB39_39 Depth 5
                                        ;     Child Loop BB39_46 Depth 2
                                        ;       Child Loop BB39_56 Depth 3
                                        ;       Child Loop BB39_64 Depth 3
                                        ;         Child Loop BB39_66 Depth 4
                                        ;       Child Loop BB39_74 Depth 3
	v_mul_lo_u32 v34, v5, s55
	s_and_saveexec_b64 s[10:11], s[6:7]
	s_xor_b64 s[10:11], exec, s[10:11]
; %bb.8:                                ;   in Loop: Header=BB39_7 Depth=1
	v_mul_lo_u32 v34, v5, s55
	s_mov_b32 s35, s34
; %bb.9:                                ;   in Loop: Header=BB39_7 Depth=1
	s_or_saveexec_b64 s[40:41], s[10:11]
	v_pk_mov_b32 v[8:9], s[34:35], s[34:35] op_sel:[0,1]
	s_xor_b64 exec, exec, s[40:41]
	s_cbranch_execz .LBB39_43
; %bb.10:                               ;   in Loop: Header=BB39_7 Depth=1
	s_mov_b32 s35, s34
	s_mov_b64 s[42:43], 0
	v_pk_mov_b32 v[8:9], s[34:35], s[34:35] op_sel:[0,1]
	v_mov_b32_e32 v10, v30
                                        ; implicit-def: $sgpr44_sgpr45
	s_branch .LBB39_13
.LBB39_11:                              ;   in Loop: Header=BB39_13 Depth=2
	v_add_u32_e32 v10, 1, v10
	v_cmp_le_i32_e32 vcc, s54, v10
	s_andn2_b64 s[10:11], s[44:45], exec
	s_and_b64 s[12:13], vcc, exec
	s_or_b64 s[44:45], s[10:11], s[12:13]
.LBB39_12:                              ;   in Loop: Header=BB39_13 Depth=2
	s_or_b64 exec, exec, s[46:47]
	s_and_b64 s[10:11], exec, s[44:45]
	s_or_b64 s[42:43], s[10:11], s[42:43]
	s_andn2_b64 exec, exec, s[42:43]
	s_cbranch_execz .LBB39_42
.LBB39_13:                              ;   Parent Loop BB39_7 Depth=1
                                        ; =>  This Loop Header: Depth=2
                                        ;       Child Loop BB39_17 Depth 3
                                        ;         Child Loop BB39_18 Depth 4
                                        ;       Child Loop BB39_22 Depth 3
                                        ;         Child Loop BB39_24 Depth 4
                                        ;         Child Loop BB39_31 Depth 4
                                        ;           Child Loop BB39_33 Depth 5
                                        ;           Child Loop BB39_39 Depth 5
	v_ashrrev_i32_e32 v11, 31, v10
	v_lshlrev_b64 v[12:13], 2, v[10:11]
	v_add_co_u32_e32 v12, vcc, s26, v12
	v_addc_co_u32_e32 v13, vcc, v29, v13, vcc
	global_load_dword v11, v[12:13], off
	v_mov_b32_e32 v2, s17
	s_or_b64 s[44:45], s[44:45], exec
	s_waitcnt vmcnt(0)
	v_subrev_u32_e32 v12, s33, v11
	v_ashrrev_i32_e32 v13, 31, v12
	v_lshlrev_b64 v[14:15], 2, v[12:13]
	v_add_co_u32_e32 v16, vcc, s16, v14
	v_addc_co_u32_e32 v17, vcc, v2, v15, vcc
	global_load_dword v13, v[16:17], off
	s_waitcnt vmcnt(0)
	v_cmp_ne_u32_e32 vcc, -1, v13
	s_and_saveexec_b64 s[46:47], vcc
	s_cbranch_execz .LBB39_12
; %bb.14:                               ;   in Loop: Header=BB39_13 Depth=2
	v_add_co_u32_e32 v16, vcc, s24, v14
	v_addc_co_u32_e32 v17, vcc, v1, v15, vcc
	global_load_dword v2, v[16:17], off
	v_mov_b32_e32 v16, s19
	v_add_co_u32_e32 v14, vcc, s18, v14
	v_addc_co_u32_e32 v15, vcc, v16, v15, vcc
	global_load_dword v16, v[14:15], off glc
	s_waitcnt vmcnt(0)
	v_cmp_eq_u32_e32 vcc, 0, v16
	s_and_saveexec_b64 s[10:11], vcc
	s_cbranch_execz .LBB39_19
; %bb.15:                               ;   in Loop: Header=BB39_13 Depth=2
	s_mov_b32 s35, 0
	s_mov_b64 s[12:13], 0
	s_branch .LBB39_17
.LBB39_16:                              ;   in Loop: Header=BB39_17 Depth=3
	global_load_dword v16, v[14:15], off glc
	s_cmpk_lt_u32 s35, 0xf43
	s_cselect_b64 s[48:49], -1, 0
	s_cmp_lg_u64 s[48:49], 0
	s_addc_u32 s35, s35, 0
	s_waitcnt vmcnt(0)
	v_cmp_ne_u32_e32 vcc, 0, v16
	s_or_b64 s[12:13], vcc, s[12:13]
	s_andn2_b64 exec, exec, s[12:13]
	s_cbranch_execz .LBB39_19
.LBB39_17:                              ;   Parent Loop BB39_7 Depth=1
                                        ;     Parent Loop BB39_13 Depth=2
                                        ; =>    This Loop Header: Depth=3
                                        ;         Child Loop BB39_18 Depth 4
	s_cmp_eq_u32 s35, 0
	s_mov_b32 s48, s35
	s_cbranch_scc1 .LBB39_16
.LBB39_18:                              ;   Parent Loop BB39_7 Depth=1
                                        ;     Parent Loop BB39_13 Depth=2
                                        ;       Parent Loop BB39_17 Depth=3
                                        ; =>      This Inner Loop Header: Depth=4
	s_add_i32 s48, s48, -1
	s_cmp_eq_u32 s48, 0
	s_sleep 1
	s_cbranch_scc0 .LBB39_18
	s_branch .LBB39_16
.LBB39_19:                              ;   in Loop: Header=BB39_13 Depth=2
	s_or_b64 exec, exec, s[10:11]
	v_subrev_u32_e32 v35, s33, v2
	v_mul_lo_u32 v2, v10, s25
	v_mul_lo_u32 v36, v12, s55
	;; [unrolled: 1-line block ×3, first 2 shown]
	v_add_u32_e32 v38, v2, v5
	v_add_u32_e32 v39, v2, v34
	v_cmp_le_i32_e64 s[10:11], v35, v13
	v_mul_lo_u32 v40, s25, v35
	s_mov_b32 s57, 0
	buffer_wbinvl1_vol
	s_branch .LBB39_22
.LBB39_20:                              ;   in Loop: Header=BB39_22 Depth=3
	s_or_b64 exec, exec, s[48:49]
.LBB39_21:                              ;   in Loop: Header=BB39_22 Depth=3
	s_or_b64 exec, exec, s[12:13]
	v_mul_f32_e32 v20, v12, v12
	v_fmac_f32_e32 v20, v2, v2
	v_div_scale_f32 v21, s[12:13], v20, v20, 1.0
	v_rcp_f32_e32 v22, v21
	s_waitcnt vmcnt(0)
	v_pk_add_f32 v[16:17], v[16:17], v[18:19] neg_lo:[0,1] neg_hi:[0,1]
	s_add_i32 s57, s57, 1
	s_cmp_eq_u32 s57, s55
	v_fma_f32 v18, -v21, v22, 1.0
	v_fmac_f32_e32 v22, v18, v22
	v_div_scale_f32 v18, vcc, 1.0, v20, 1.0
	v_mul_f32_e32 v19, v18, v22
	v_fma_f32 v23, -v21, v19, v18
	v_fmac_f32_e32 v19, v23, v22
	v_fma_f32 v18, -v21, v19, v18
	v_div_fmas_f32 v18, v18, v22, v19
	v_div_fixup_f32 v18, v18, v20, 1.0
	v_pk_mul_f32 v[20:21], v[12:13], v[16:17] op_sel:[0,1] op_sel_hi:[0,0] neg_hi:[0,1]
	v_pk_fma_f32 v[16:17], v[16:17], v[2:3], v[20:21] op_sel_hi:[1,0,1]
	v_pk_mul_f32 v[16:17], v[18:19], v[16:17] op_sel_hi:[0,1]
	v_xor_b32_e32 v18, 0x80000000, v17
	v_pk_fma_f32 v[8:9], v[16:17], v[16:17], v[8:9] op_sel:[1,0,0] op_sel_hi:[0,0,1]
	v_mov_b32_e32 v19, v17
	v_pk_fma_f32 v[8:9], v[16:17], v[18:19], v[8:9]
	v_add_u32_e32 v40, 1, v40
	global_store_dwordx2 v[14:15], v[16:17], off
	s_cbranch_scc1 .LBB39_11
.LBB39_22:                              ;   Parent Loop BB39_7 Depth=1
                                        ;     Parent Loop BB39_13 Depth=2
                                        ; =>    This Loop Header: Depth=3
                                        ;         Child Loop BB39_24 Depth 4
                                        ;         Child Loop BB39_31 Depth 4
                                        ;           Child Loop BB39_33 Depth 5
                                        ;           Child Loop BB39_39 Depth 5
	s_mul_i32 s58, s57, s55
	s_add_i32 s12, s58, s57
	v_add_u32_e32 v14, s12, v37
	v_ashrrev_i32_e32 v15, 31, v14
	v_lshlrev_b64 v[14:15], 3, v[14:15]
	v_mov_b32_e32 v2, s31
	v_add_co_u32_e32 v14, vcc, s30, v14
	v_addc_co_u32_e32 v15, vcc, v2, v15, vcc
	global_load_dwordx2 v[14:15], v[14:15], off
	s_waitcnt vmcnt(0)
	v_cmp_neq_f32_e32 vcc, 0, v14
	v_cmp_neq_f32_e64 s[12:13], 0, v15
	s_or_b64 vcc, vcc, s[12:13]
	s_or_b64 s[12:13], vcc, s[0:1]
	v_cndmask_b32_e32 v2, 1.0, v14, vcc
	s_xor_b64 s[48:49], s[12:13], -1
	v_cndmask_b32_e32 v12, 0, v15, vcc
	s_and_saveexec_b64 s[12:13], s[48:49]
	s_cbranch_execz .LBB39_28
; %bb.23:                               ;   in Loop: Header=BB39_22 Depth=3
	s_mov_b64 s[48:49], exec
	s_brev_b32 s35, -2
.LBB39_24:                              ;   Parent Loop BB39_7 Depth=1
                                        ;     Parent Loop BB39_13 Depth=2
                                        ;       Parent Loop BB39_22 Depth=3
                                        ; =>      This Inner Loop Header: Depth=4
	s_ff1_i32_b64 s50, s[48:49]
	v_readlane_b32 s52, v11, s50
	s_lshl_b64 s[50:51], 1, s50
	s_min_i32 s35, s35, s52
	s_andn2_b64 s[48:49], s[48:49], s[50:51]
	s_cmp_lg_u64 s[48:49], 0
	s_cbranch_scc1 .LBB39_24
; %bb.25:                               ;   in Loop: Header=BB39_22 Depth=3
	v_mbcnt_lo_u32_b32 v2, exec_lo, 0
	v_mbcnt_hi_u32_b32 v2, exec_hi, v2
	v_cmp_eq_u32_e32 vcc, 0, v2
	s_and_saveexec_b64 s[48:49], vcc
	s_xor_b64 s[48:49], exec, s[48:49]
	s_cbranch_execz .LBB39_27
; %bb.26:                               ;   in Loop: Header=BB39_22 Depth=3
	v_mov_b32_e32 v2, s35
	global_atomic_smin v3, v2, s[22:23]
.LBB39_27:                              ;   in Loop: Header=BB39_22 Depth=3
	s_or_b64 exec, exec, s[48:49]
	v_mov_b32_e32 v12, 0
	v_mov_b32_e32 v2, 1.0
.LBB39_28:                              ;   in Loop: Header=BB39_22 Depth=3
	s_or_b64 exec, exec, s[12:13]
	v_add_u32_e32 v14, s57, v39
	v_add_u32_e32 v15, s58, v38
	v_cndmask_b32_e64 v14, v15, v14, s[2:3]
	v_ashrrev_i32_e32 v15, 31, v14
	v_lshlrev_b64 v[14:15], 3, v[14:15]
	v_mov_b32_e32 v16, s31
	v_add_co_u32_e32 v14, vcc, s30, v14
	v_addc_co_u32_e32 v15, vcc, v16, v15, vcc
	global_load_dwordx2 v[16:17], v[14:15], off
	s_mov_b32 s35, s34
	v_pk_mov_b32 v[18:19], s[34:35], s[34:35] op_sel:[0,1]
	s_and_saveexec_b64 s[12:13], s[10:11]
	s_cbranch_execz .LBB39_21
; %bb.29:                               ;   in Loop: Header=BB39_22 Depth=3
	global_load_dword v41, v[6:7], off
	v_add_u32_e32 v42, s57, v36
	s_mov_b64 s[48:49], 0
	v_pk_mov_b32 v[18:19], s[34:35], s[34:35] op_sel:[0,1]
	v_mov_b32_e32 v43, v40
	v_mov_b32_e32 v20, v35
	s_branch .LBB39_31
.LBB39_30:                              ;   in Loop: Header=BB39_31 Depth=4
	s_or_b64 exec, exec, s[50:51]
	v_add_u32_e32 v21, 1, v20
	v_cmp_ge_i32_e32 vcc, v20, v13
	v_add_u32_e32 v43, s25, v43
	s_or_b64 s[48:49], vcc, s[48:49]
	v_mov_b32_e32 v20, v21
	s_andn2_b64 exec, exec, s[48:49]
	s_cbranch_execz .LBB39_20
.LBB39_31:                              ;   Parent Loop BB39_7 Depth=1
                                        ;     Parent Loop BB39_13 Depth=2
                                        ;       Parent Loop BB39_22 Depth=3
                                        ; =>      This Loop Header: Depth=4
                                        ;           Child Loop BB39_33 Depth 5
                                        ;           Child Loop BB39_39 Depth 5
	v_ashrrev_i32_e32 v21, 31, v20
	v_lshlrev_b64 v[22:23], 2, v[20:21]
	v_mov_b32_e32 v21, s27
	v_add_co_u32_e32 v22, vcc, s26, v22
	v_addc_co_u32_e32 v23, vcc, v21, v23, vcc
	global_load_dword v21, v[22:23], off
	s_waitcnt vmcnt(1)
	v_mov_b32_e32 v23, v41
	v_mov_b32_e32 v22, v4
	s_and_saveexec_b64 s[50:51], s[8:9]
	s_cbranch_execz .LBB39_35
; %bb.32:                               ;   in Loop: Header=BB39_31 Depth=4
	s_mov_b64 s[52:53], 0
	v_mov_b32_e32 v23, v41
	v_mov_b32_e32 v22, v4
	;; [unrolled: 1-line block ×4, first 2 shown]
.LBB39_33:                              ;   Parent Loop BB39_7 Depth=1
                                        ;     Parent Loop BB39_13 Depth=2
                                        ;       Parent Loop BB39_22 Depth=3
                                        ;         Parent Loop BB39_31 Depth=4
                                        ; =>        This Inner Loop Header: Depth=5
	v_add_u32_e32 v44, 1, v22
	s_waitcnt vmcnt(0)
	v_cmp_lt_i32_e32 vcc, v23, v21
	v_cndmask_b32_e32 v25, v22, v25, vcc
	v_cndmask_b32_e32 v24, v24, v44, vcc
	v_add_u32_e32 v22, v25, v24
	v_ashrrev_i32_e32 v22, 1, v22
	v_ashrrev_i32_e32 v23, 31, v22
	v_lshlrev_b64 v[44:45], 2, v[22:23]
	v_mov_b32_e32 v23, s27
	v_add_co_u32_e32 v44, vcc, s26, v44
	v_addc_co_u32_e32 v45, vcc, v23, v45, vcc
	global_load_dword v23, v[44:45], off
	v_cmp_ge_i32_e32 vcc, v24, v25
	s_or_b64 s[52:53], vcc, s[52:53]
	s_andn2_b64 exec, exec, s[52:53]
	s_cbranch_execnz .LBB39_33
; %bb.34:                               ;   in Loop: Header=BB39_31 Depth=4
	s_or_b64 exec, exec, s[52:53]
.LBB39_35:                              ;   in Loop: Header=BB39_31 Depth=4
	s_or_b64 exec, exec, s[50:51]
	s_waitcnt vmcnt(0)
	v_cmp_eq_u32_e32 vcc, v23, v21
	s_and_saveexec_b64 s[50:51], vcc
	s_cbranch_execz .LBB39_30
; %bb.36:                               ;   in Loop: Header=BB39_31 Depth=4
	v_subrev_u32_e32 v21, s33, v21
	v_mul_lo_u32 v23, v20, s25
	v_mul_lo_u32 v22, v22, s25
	v_mul_lo_u32 v21, v21, s55
	v_add_u32_e32 v44, s58, v23
	v_add_u32_e32 v45, v22, v34
	;; [unrolled: 1-line block ×3, first 2 shown]
	s_mov_b32 s35, 0
	v_mov_b32_e32 v47, v43
	s_branch .LBB39_39
.LBB39_37:                              ;   in Loop: Header=BB39_39 Depth=5
	v_ashrrev_i32_e32 v25, 31, v24
	v_lshlrev_b64 v[24:25], 3, v[24:25]
	v_mov_b32_e32 v48, s31
	v_add_co_u32_e32 v24, vcc, s30, v24
	v_ashrrev_i32_e32 v23, 31, v22
	v_addc_co_u32_e32 v25, vcc, v48, v25, vcc
	v_lshlrev_b64 v[22:23], 3, v[22:23]
	v_add_co_u32_e32 v22, vcc, s30, v22
	v_addc_co_u32_e32 v23, vcc, v48, v23, vcc
	global_load_dwordx2 v[22:23], v[22:23], off
	s_nop 0
	global_load_dwordx2 v[24:25], v[24:25], off
	s_waitcnt vmcnt(0)
	v_pk_fma_f32 v[18:19], v[24:25], v[22:23], v[18:19] op_sel_hi:[1,0,1]
	v_pk_fma_f32 v[18:19], v[24:25], v[22:23], v[18:19] op_sel:[1,1,0] op_sel_hi:[0,1,1] neg_hi:[0,1,0]
.LBB39_38:                              ;   in Loop: Header=BB39_39 Depth=5
	s_or_b64 exec, exec, s[52:53]
	s_add_i32 s35, s35, 1
	v_add_u32_e32 v46, s55, v46
	s_cmp_lg_u32 s55, s35
	v_add_u32_e32 v47, s55, v47
	s_cbranch_scc0 .LBB39_30
.LBB39_39:                              ;   Parent Loop BB39_7 Depth=1
                                        ;     Parent Loop BB39_13 Depth=2
                                        ;       Parent Loop BB39_22 Depth=3
                                        ;         Parent Loop BB39_31 Depth=4
                                        ; =>        This Inner Loop Header: Depth=5
	v_add_u32_e32 v22, s35, v21
	v_cmp_lt_i32_e32 vcc, v22, v42
	s_and_saveexec_b64 s[52:53], vcc
	s_cbranch_execz .LBB39_38
; %bb.40:                               ;   in Loop: Header=BB39_39 Depth=5
	s_andn2_b64 vcc, exec, s[2:3]
	v_mov_b32_e32 v24, v47
	v_mov_b32_e32 v22, v46
	s_cbranch_vccnz .LBB39_37
; %bb.41:                               ;   in Loop: Header=BB39_39 Depth=5
	v_add_u32_e32 v24, s35, v44
	v_add_u32_e32 v22, s35, v45
	s_branch .LBB39_37
.LBB39_42:                              ;   in Loop: Header=BB39_7 Depth=1
	s_or_b64 exec, exec, s[42:43]
.LBB39_43:                              ;   in Loop: Header=BB39_7 Depth=1
	s_or_b64 exec, exec, s[40:41]
	v_add_u32_e32 v22, v34, v28
	s_mov_b32 s44, 0
	v_mov_b32_e32 v23, v32
	s_branch .LBB39_46
.LBB39_44:                              ;   in Loop: Header=BB39_46 Depth=2
	v_mul_f32_e32 v11, v2, v2
	v_fmac_f32_e32 v11, v10, v10
	v_div_scale_f32 v18, s[12:13], v11, v11, 1.0
	v_rcp_f32_e32 v19, v18
	s_waitcnt vmcnt(0)
	v_pk_add_f32 v[14:15], v[14:15], v[16:17] neg_lo:[0,1] neg_hi:[0,1]
	v_fma_f32 v16, -v18, v19, 1.0
	v_fmac_f32_e32 v19, v16, v19
	v_div_scale_f32 v16, vcc, 1.0, v11, 1.0
	v_mul_f32_e32 v17, v16, v19
	v_fma_f32 v20, -v18, v17, v16
	v_fmac_f32_e32 v17, v20, v19
	v_fma_f32 v16, -v18, v17, v16
	v_div_fmas_f32 v16, v16, v19, v17
	v_pk_mul_f32 v[18:19], v[2:3], v[14:15] op_sel:[0,1] op_sel_hi:[0,0] neg_hi:[0,1]
	v_div_fixup_f32 v16, v16, v11, 1.0
	v_pk_fma_f32 v[10:11], v[14:15], v[10:11], v[18:19] op_sel_hi:[1,0,1]
	v_pk_mul_f32 v[10:11], v[16:17], v[10:11] op_sel_hi:[0,1]
	v_xor_b32_e32 v14, 0x80000000, v11
	v_pk_fma_f32 v[8:9], v[10:11], v[10:11], v[8:9] op_sel:[1,0,0] op_sel_hi:[0,0,1]
	v_mov_b32_e32 v15, v11
	v_pk_fma_f32 v[8:9], v[10:11], v[14:15], v[8:9]
	global_store_dwordx2 v[12:13], v[10:11], off
.LBB39_45:                              ;   in Loop: Header=BB39_46 Depth=2
	s_or_b64 exec, exec, s[10:11]
	s_add_i32 s44, s44, 1
	s_cmp_eq_u32 s44, s55
	v_add_u32_e32 v23, 1, v23
	s_waitcnt vmcnt(0)
	buffer_wbinvl1_vol
	s_cbranch_scc1 .LBB39_6
.LBB39_46:                              ;   Parent Loop BB39_7 Depth=1
                                        ; =>  This Loop Header: Depth=2
                                        ;       Child Loop BB39_56 Depth 3
                                        ;       Child Loop BB39_64 Depth 3
                                        ;         Child Loop BB39_66 Depth 4
                                        ;       Child Loop BB39_74 Depth 3
	s_mul_i32 s45, s44, s55
	v_add_u32_e32 v24, s45, v28
	v_add_u32_e32 v10, s44, v24
	v_ashrrev_i32_e32 v11, 31, v10
	v_cmp_eq_u32_e32 vcc, s44, v5
	v_lshlrev_b64 v[10:11], 3, v[10:11]
	s_and_saveexec_b64 s[12:13], vcc
	s_cbranch_execz .LBB39_54
; %bb.47:                               ;   in Loop: Header=BB39_46 Depth=2
	v_mov_b32_e32 v2, s31
	v_add_co_u32_e32 v12, vcc, s30, v10
	v_addc_co_u32_e32 v13, vcc, v2, v11, vcc
	global_load_dwordx2 v[14:15], v[12:13], off
	s_waitcnt vmcnt(0)
	v_sub_f32_e32 v2, v14, v9
	v_sub_f32_e32 v16, v15, v8
	v_cmp_gt_f32_e32 vcc, 0, v2
	v_cndmask_b32_e64 v2, v2, -v2, vcc
	v_cmp_gt_f32_e32 vcc, 0, v16
	v_cndmask_b32_e64 v14, v16, -v16, vcc
	v_cmp_ngt_f32_e32 vcc, v2, v14
                                        ; implicit-def: $vgpr15
	s_and_saveexec_b64 s[10:11], vcc
	s_xor_b64 s[40:41], exec, s[10:11]
	s_cbranch_execz .LBB39_51
; %bb.48:                               ;   in Loop: Header=BB39_46 Depth=2
	v_cmp_neq_f32_e32 vcc, 0, v16
	v_mov_b32_e32 v15, 0
	s_and_saveexec_b64 s[42:43], vcc
	s_cbranch_execz .LBB39_50
; %bb.49:                               ;   in Loop: Header=BB39_46 Depth=2
	v_div_scale_f32 v15, s[10:11], v14, v14, v2
	v_rcp_f32_e32 v16, v15
	v_div_scale_f32 v17, vcc, v2, v14, v2
	v_fma_f32 v18, -v15, v16, 1.0
	v_fmac_f32_e32 v16, v18, v16
	v_mul_f32_e32 v18, v17, v16
	v_fma_f32 v19, -v15, v18, v17
	v_fmac_f32_e32 v18, v19, v16
	v_fma_f32 v15, -v15, v18, v17
	v_div_fmas_f32 v15, v15, v16, v18
	v_div_fixup_f32 v2, v15, v14, v2
	v_fma_f32 v2, v2, v2, 1.0
	v_mul_f32_e32 v15, 0x4f800000, v2
	v_cmp_gt_f32_e32 vcc, s56, v2
	v_cndmask_b32_e32 v2, v2, v15, vcc
	v_sqrt_f32_e32 v15, v2
	v_add_u32_e32 v16, -1, v15
	v_fma_f32 v17, -v16, v15, v2
	v_cmp_ge_f32_e64 s[10:11], 0, v17
	v_add_u32_e32 v17, 1, v15
	v_cndmask_b32_e64 v16, v15, v16, s[10:11]
	v_fma_f32 v15, -v17, v15, v2
	v_cmp_lt_f32_e64 s[10:11], 0, v15
	v_cndmask_b32_e64 v15, v16, v17, s[10:11]
	v_mul_f32_e32 v16, 0x37800000, v15
	v_cndmask_b32_e32 v15, v15, v16, vcc
	v_cmp_class_f32_e32 vcc, v2, v27
	v_cndmask_b32_e32 v2, v15, v2, vcc
	v_mul_f32_e32 v15, v14, v2
.LBB39_50:                              ;   in Loop: Header=BB39_46 Depth=2
	s_or_b64 exec, exec, s[42:43]
                                        ; implicit-def: $vgpr2
                                        ; implicit-def: $vgpr14
.LBB39_51:                              ;   in Loop: Header=BB39_46 Depth=2
	s_andn2_saveexec_b64 s[40:41], s[40:41]
	s_cbranch_execz .LBB39_53
; %bb.52:                               ;   in Loop: Header=BB39_46 Depth=2
	v_div_scale_f32 v15, s[10:11], v2, v2, v14
	v_rcp_f32_e32 v16, v15
	v_div_scale_f32 v17, vcc, v14, v2, v14
	v_fma_f32 v18, -v15, v16, 1.0
	v_fmac_f32_e32 v16, v18, v16
	v_mul_f32_e32 v18, v17, v16
	v_fma_f32 v19, -v15, v18, v17
	v_fmac_f32_e32 v18, v19, v16
	v_fma_f32 v15, -v15, v18, v17
	v_div_fmas_f32 v15, v15, v16, v18
	v_div_fixup_f32 v14, v15, v2, v14
	v_fma_f32 v14, v14, v14, 1.0
	v_mul_f32_e32 v15, 0x4f800000, v14
	v_cmp_gt_f32_e32 vcc, s56, v14
	v_cndmask_b32_e32 v14, v14, v15, vcc
	v_sqrt_f32_e32 v15, v14
	v_add_u32_e32 v16, -1, v15
	v_fma_f32 v17, -v16, v15, v14
	v_cmp_ge_f32_e64 s[10:11], 0, v17
	v_add_u32_e32 v17, 1, v15
	v_cndmask_b32_e64 v16, v15, v16, s[10:11]
	v_fma_f32 v15, -v17, v15, v14
	v_cmp_lt_f32_e64 s[10:11], 0, v15
	v_cndmask_b32_e64 v15, v16, v17, s[10:11]
	v_mul_f32_e32 v16, 0x37800000, v15
	v_cndmask_b32_e32 v15, v15, v16, vcc
	v_cmp_class_f32_e32 vcc, v14, v27
	v_cndmask_b32_e32 v14, v15, v14, vcc
	v_mul_f32_e32 v15, v2, v14
.LBB39_53:                              ;   in Loop: Header=BB39_46 Depth=2
	s_or_b64 exec, exec, s[40:41]
	v_mul_f32_e32 v2, 0x4f800000, v15
	v_cmp_gt_f32_e32 vcc, s56, v15
	v_cndmask_b32_e32 v2, v15, v2, vcc
	v_sqrt_f32_e32 v14, v2
	v_add_u32_e32 v15, -1, v14
	v_fma_f32 v17, -v15, v14, v2
	v_add_u32_e32 v16, 1, v14
	v_cmp_ge_f32_e64 s[10:11], 0, v17
	v_cndmask_b32_e64 v15, v14, v15, s[10:11]
	v_fma_f32 v14, -v16, v14, v2
	v_cmp_lt_f32_e64 s[10:11], 0, v14
	v_cndmask_b32_e64 v14, v15, v16, s[10:11]
	v_mul_f32_e32 v15, 0x37800000, v14
	v_cndmask_b32_e32 v14, v14, v15, vcc
	v_cmp_class_f32_e32 vcc, v2, v27
	v_cndmask_b32_e32 v2, v14, v2, vcc
	global_store_dwordx2 v[12:13], v[2:3], off
.LBB39_54:                              ;   in Loop: Header=BB39_46 Depth=2
	s_or_b64 exec, exec, s[12:13]
	v_mov_b32_e32 v2, s31
	v_add_co_u32_e32 v10, vcc, s30, v10
	v_addc_co_u32_e32 v11, vcc, v2, v11, vcc
	s_waitcnt vmcnt(0)
	buffer_wbinvl1_vol
	global_load_dwordx2 v[10:11], v[10:11], off
	s_waitcnt vmcnt(0)
	v_cmp_neq_f32_e32 vcc, 0, v10
	v_cmp_neq_f32_e64 s[10:11], 0, v11
	s_or_b64 vcc, vcc, s[10:11]
	s_or_b64 s[10:11], vcc, s[0:1]
	v_cndmask_b32_e32 v2, 0, v11, vcc
	s_xor_b64 s[12:13], s[10:11], -1
	v_cndmask_b32_e32 v10, 1.0, v10, vcc
	s_and_saveexec_b64 s[10:11], s[12:13]
	s_cbranch_execz .LBB39_60
; %bb.55:                               ;   in Loop: Header=BB39_46 Depth=2
	s_mov_b64 s[12:13], exec
	s_brev_b32 s35, -2
.LBB39_56:                              ;   Parent Loop BB39_7 Depth=1
                                        ;     Parent Loop BB39_46 Depth=2
                                        ; =>    This Inner Loop Header: Depth=3
	s_ff1_i32_b64 s40, s[12:13]
	v_readlane_b32 s42, v26, s40
	s_lshl_b64 s[40:41], 1, s40
	s_min_i32 s35, s35, s42
	s_andn2_b64 s[12:13], s[12:13], s[40:41]
	s_cmp_lg_u64 s[12:13], 0
	s_cbranch_scc1 .LBB39_56
; %bb.57:                               ;   in Loop: Header=BB39_46 Depth=2
	v_mbcnt_lo_u32_b32 v2, exec_lo, 0
	v_mbcnt_hi_u32_b32 v2, exec_hi, v2
	v_cmp_eq_u32_e32 vcc, 0, v2
	s_and_saveexec_b64 s[12:13], vcc
	s_xor_b64 s[12:13], exec, s[12:13]
	s_cbranch_execz .LBB39_59
; %bb.58:                               ;   in Loop: Header=BB39_46 Depth=2
	v_mov_b32_e32 v2, s35
	global_atomic_smin v3, v2, s[22:23]
.LBB39_59:                              ;   in Loop: Header=BB39_46 Depth=2
	s_or_b64 exec, exec, s[12:13]
	v_mov_b32_e32 v10, 1.0
	v_mov_b32_e32 v2, 0
.LBB39_60:                              ;   in Loop: Header=BB39_46 Depth=2
	s_or_b64 exec, exec, s[10:11]
	v_cmp_lt_i32_e32 vcc, s44, v5
	s_and_saveexec_b64 s[10:11], vcc
	s_cbranch_execz .LBB39_45
; %bb.61:                               ;   in Loop: Header=BB39_46 Depth=2
	v_add_u32_e32 v11, s44, v22
	v_add_u32_e32 v12, v24, v5
	v_cndmask_b32_e64 v12, v12, v11, s[2:3]
	v_ashrrev_i32_e32 v13, 31, v12
	v_lshlrev_b64 v[12:13], 3, v[12:13]
	v_mov_b32_e32 v11, s31
	v_add_co_u32_e32 v12, vcc, s30, v12
	v_addc_co_u32_e32 v13, vcc, v11, v13, vcc
	global_load_dwordx2 v[14:15], v[12:13], off
	s_mov_b32 s35, s34
	v_pk_mov_b32 v[16:17], s[34:35], s[34:35] op_sel:[0,1]
	s_and_saveexec_b64 s[12:13], s[4:5]
	s_cbranch_execz .LBB39_71
; %bb.62:                               ;   in Loop: Header=BB39_46 Depth=2
	s_mov_b64 s[40:41], 0
	v_pk_mov_b32 v[16:17], s[34:35], s[34:35] op_sel:[0,1]
	v_mov_b32_e32 v11, v23
	v_mov_b32_e32 v25, v33
	;; [unrolled: 1-line block ×3, first 2 shown]
	s_branch .LBB39_64
.LBB39_63:                              ;   in Loop: Header=BB39_64 Depth=3
	v_add_u32_e32 v35, 1, v35
	v_cmp_le_i32_e32 vcc, s54, v35
	v_add_u32_e32 v25, s25, v25
	s_or_b64 s[40:41], vcc, s[40:41]
	v_add_u32_e32 v11, s25, v11
	s_andn2_b64 exec, exec, s[40:41]
	s_cbranch_execz .LBB39_70
.LBB39_64:                              ;   Parent Loop BB39_7 Depth=1
                                        ;     Parent Loop BB39_46 Depth=2
                                        ; =>    This Loop Header: Depth=3
                                        ;         Child Loop BB39_66 Depth 4
	v_mul_lo_u32 v18, v35, s25
	v_add_u32_e32 v36, s45, v18
	v_add_u32_e32 v37, v18, v34
	s_mov_b32 s35, 0
	s_mov_b32 s46, s55
	;; [unrolled: 1-line block ×3, first 2 shown]
	s_branch .LBB39_66
.LBB39_65:                              ;   in Loop: Header=BB39_66 Depth=4
	v_ashrrev_i32_e32 v21, 31, v20
	v_lshlrev_b64 v[20:21], 3, v[20:21]
	v_mov_b32_e32 v38, s31
	v_add_co_u32_e32 v20, vcc, s30, v20
	v_ashrrev_i32_e32 v19, 31, v18
	v_addc_co_u32_e32 v21, vcc, v38, v21, vcc
	v_lshlrev_b64 v[18:19], 3, v[18:19]
	v_add_co_u32_e32 v18, vcc, s30, v18
	v_addc_co_u32_e32 v19, vcc, v38, v19, vcc
	global_load_dwordx2 v[18:19], v[18:19], off
	s_nop 0
	global_load_dwordx2 v[20:21], v[20:21], off
	s_add_i32 s47, s47, 1
	s_add_i32 s35, s35, s55
	s_add_i32 s46, s46, -1
	s_cmp_eq_u32 s46, 0
	s_waitcnt vmcnt(0)
	v_pk_fma_f32 v[16:17], v[20:21], v[18:19], v[16:17] op_sel_hi:[1,0,1]
	v_pk_fma_f32 v[16:17], v[20:21], v[18:19], v[16:17] op_sel:[1,1,0] op_sel_hi:[0,1,1] neg_hi:[0,1,0]
	s_cbranch_scc1 .LBB39_63
.LBB39_66:                              ;   Parent Loop BB39_7 Depth=1
                                        ;     Parent Loop BB39_46 Depth=2
                                        ;       Parent Loop BB39_64 Depth=3
                                        ; =>      This Inner Loop Header: Depth=4
	s_and_b64 vcc, exec, s[38:39]
	s_cbranch_vccz .LBB39_68
; %bb.67:                               ;   in Loop: Header=BB39_66 Depth=4
	v_add_u32_e32 v20, s35, v11
	v_add_u32_e32 v18, s35, v25
	s_cbranch_execnz .LBB39_65
	s_branch .LBB39_69
.LBB39_68:                              ;   in Loop: Header=BB39_66 Depth=4
                                        ; implicit-def: $vgpr18
                                        ; implicit-def: $vgpr20
.LBB39_69:                              ;   in Loop: Header=BB39_66 Depth=4
	v_add_u32_e32 v20, s47, v36
	v_add_u32_e32 v18, s47, v37
	s_branch .LBB39_65
.LBB39_70:                              ;   in Loop: Header=BB39_46 Depth=2
	s_or_b64 exec, exec, s[40:41]
.LBB39_71:                              ;   in Loop: Header=BB39_46 Depth=2
	s_or_b64 exec, exec, s[12:13]
	s_cmp_eq_u32 s44, 0
	s_cbranch_scc1 .LBB39_44
; %bb.72:                               ;   in Loop: Header=BB39_46 Depth=2
	s_mov_b32 s35, 0
	v_mov_b32_e32 v11, v28
	s_branch .LBB39_74
.LBB39_73:                              ;   in Loop: Header=BB39_74 Depth=3
	v_ashrrev_i32_e32 v21, 31, v20
	v_lshlrev_b64 v[20:21], 3, v[20:21]
	v_mov_b32_e32 v25, s31
	v_add_co_u32_e32 v20, vcc, s30, v20
	v_ashrrev_i32_e32 v19, 31, v18
	v_addc_co_u32_e32 v21, vcc, v25, v21, vcc
	v_lshlrev_b64 v[18:19], 3, v[18:19]
	v_add_co_u32_e32 v18, vcc, s30, v18
	v_addc_co_u32_e32 v19, vcc, v25, v19, vcc
	global_load_dwordx2 v[36:37], v[18:19], off
	global_load_dwordx2 v[38:39], v[20:21], off
	s_add_i32 s35, s35, 1
	s_cmp_ge_u32 s35, s44
	v_add_u32_e32 v11, s55, v11
	s_waitcnt vmcnt(0)
	v_pk_fma_f32 v[16:17], v[38:39], v[36:37], v[16:17] op_sel_hi:[1,0,1]
	v_pk_fma_f32 v[16:17], v[38:39], v[36:37], v[16:17] op_sel:[1,1,0] op_sel_hi:[0,1,1] neg_hi:[0,1,0]
	s_cbranch_scc1 .LBB39_44
.LBB39_74:                              ;   Parent Loop BB39_7 Depth=1
                                        ;     Parent Loop BB39_46 Depth=2
                                        ; =>    This Inner Loop Header: Depth=3
	s_and_b64 vcc, exec, s[38:39]
	s_cbranch_vccz .LBB39_76
; %bb.75:                               ;   in Loop: Header=BB39_74 Depth=3
	v_add_u32_e32 v20, s44, v11
	v_add_u32_e32 v18, v5, v11
	s_cbranch_execnz .LBB39_73
	s_branch .LBB39_77
.LBB39_76:                              ;   in Loop: Header=BB39_74 Depth=3
                                        ; implicit-def: $vgpr18
                                        ; implicit-def: $vgpr20
.LBB39_77:                              ;   in Loop: Header=BB39_74 Depth=3
	v_add_u32_e32 v20, s35, v24
	v_add_u32_e32 v18, s35, v22
	s_branch .LBB39_73
.LBB39_78:
	s_or_b64 exec, exec, s[28:29]
	v_cmp_eq_u32_e32 vcc, 63, v0
	s_and_b64 s[0:1], vcc, exec
                                        ; implicit-def: $vgpr0
                                        ; implicit-def: $vgpr2_vgpr3
	s_andn2_saveexec_b64 s[2:3], s[20:21]
	s_cbranch_execz .LBB39_2
.LBB39_79:
	v_cmp_eq_u32_e32 vcc, 63, v0
	s_mov_b64 s[6:7], s[0:1]
	s_and_saveexec_b64 s[4:5], vcc
	s_cbranch_execz .LBB39_85
; %bb.80:
	s_mov_b64 s[6:7], exec
	v_add_u32_e32 v0, s33, v2
	s_brev_b32 s8, -2
.LBB39_81:                              ; =>This Inner Loop Header: Depth=1
	s_ff1_i32_b64 s9, s[6:7]
	v_readlane_b32 s12, v0, s9
	s_lshl_b64 s[10:11], 1, s9
	s_min_i32 s8, s8, s12
	s_andn2_b64 s[6:7], s[6:7], s[10:11]
	s_cmp_lg_u64 s[6:7], 0
	s_cbranch_scc1 .LBB39_81
; %bb.82:
	v_mbcnt_lo_u32_b32 v0, exec_lo, 0
	v_mbcnt_hi_u32_b32 v0, exec_hi, v0
	v_cmp_eq_u32_e32 vcc, 0, v0
	s_and_saveexec_b64 s[6:7], vcc
	s_xor_b64 s[6:7], exec, s[6:7]
	s_cbranch_execz .LBB39_84
; %bb.83:
	v_mov_b32_e32 v0, 0
	v_mov_b32_e32 v1, s8
	global_atomic_smin v0, v1, s[22:23]
.LBB39_84:
	s_or_b64 exec, exec, s[6:7]
	s_or_b64 s[6:7], s[0:1], exec
.LBB39_85:
	s_or_b64 exec, exec, s[4:5]
	s_andn2_b64 s[0:1], s[0:1], exec
	s_and_b64 s[4:5], s[6:7], exec
	s_or_b64 s[0:1], s[0:1], s[4:5]
	s_or_b64 exec, exec, s[2:3]
	s_and_saveexec_b64 s[2:3], s[0:1]
	s_cbranch_execz .LBB39_3
.LBB39_86:
	v_lshlrev_b64 v[0:1], 2, s[14:15]
	v_mov_b32_e32 v2, s19
	v_add_co_u32_e32 v0, vcc, s18, v0
	v_addc_co_u32_e32 v1, vcc, v2, v1, vcc
	v_mov_b32_e32 v2, 1
	s_waitcnt vmcnt(0)
	global_store_dword v[0:1], v2, off
	s_endpgm
	.section	.rodata,"a",@progbits
	.p2align	6, 0x0
	.amdhsa_kernel _ZN9rocsparseL23bsric0_binsearch_kernelILj64ELj64ELb1E21rocsparse_complex_numIfEEEv20rocsparse_direction_iiPKiS5_PT2_S5_PiS5_S8_21rocsparse_index_base_
		.amdhsa_group_segment_fixed_size 0
		.amdhsa_private_segment_fixed_size 0
		.amdhsa_kernarg_size 76
		.amdhsa_user_sgpr_count 6
		.amdhsa_user_sgpr_private_segment_buffer 1
		.amdhsa_user_sgpr_dispatch_ptr 0
		.amdhsa_user_sgpr_queue_ptr 0
		.amdhsa_user_sgpr_kernarg_segment_ptr 1
		.amdhsa_user_sgpr_dispatch_id 0
		.amdhsa_user_sgpr_flat_scratch_init 0
		.amdhsa_user_sgpr_kernarg_preload_length 0
		.amdhsa_user_sgpr_kernarg_preload_offset 0
		.amdhsa_user_sgpr_private_segment_size 0
		.amdhsa_uses_dynamic_stack 0
		.amdhsa_system_sgpr_private_segment_wavefront_offset 0
		.amdhsa_system_sgpr_workgroup_id_x 1
		.amdhsa_system_sgpr_workgroup_id_y 0
		.amdhsa_system_sgpr_workgroup_id_z 0
		.amdhsa_system_sgpr_workgroup_info 0
		.amdhsa_system_vgpr_workitem_id 0
		.amdhsa_next_free_vgpr 49
		.amdhsa_next_free_sgpr 59
		.amdhsa_accum_offset 52
		.amdhsa_reserve_vcc 1
		.amdhsa_reserve_flat_scratch 0
		.amdhsa_float_round_mode_32 0
		.amdhsa_float_round_mode_16_64 0
		.amdhsa_float_denorm_mode_32 3
		.amdhsa_float_denorm_mode_16_64 3
		.amdhsa_dx10_clamp 1
		.amdhsa_ieee_mode 1
		.amdhsa_fp16_overflow 0
		.amdhsa_tg_split 0
		.amdhsa_exception_fp_ieee_invalid_op 0
		.amdhsa_exception_fp_denorm_src 0
		.amdhsa_exception_fp_ieee_div_zero 0
		.amdhsa_exception_fp_ieee_overflow 0
		.amdhsa_exception_fp_ieee_underflow 0
		.amdhsa_exception_fp_ieee_inexact 0
		.amdhsa_exception_int_div_zero 0
	.end_amdhsa_kernel
	.section	.text._ZN9rocsparseL23bsric0_binsearch_kernelILj64ELj64ELb1E21rocsparse_complex_numIfEEEv20rocsparse_direction_iiPKiS5_PT2_S5_PiS5_S8_21rocsparse_index_base_,"axG",@progbits,_ZN9rocsparseL23bsric0_binsearch_kernelILj64ELj64ELb1E21rocsparse_complex_numIfEEEv20rocsparse_direction_iiPKiS5_PT2_S5_PiS5_S8_21rocsparse_index_base_,comdat
.Lfunc_end39:
	.size	_ZN9rocsparseL23bsric0_binsearch_kernelILj64ELj64ELb1E21rocsparse_complex_numIfEEEv20rocsparse_direction_iiPKiS5_PT2_S5_PiS5_S8_21rocsparse_index_base_, .Lfunc_end39-_ZN9rocsparseL23bsric0_binsearch_kernelILj64ELj64ELb1E21rocsparse_complex_numIfEEEv20rocsparse_direction_iiPKiS5_PT2_S5_PiS5_S8_21rocsparse_index_base_
                                        ; -- End function
	.section	.AMDGPU.csdata,"",@progbits
; Kernel info:
; codeLenInByte = 3352
; NumSgprs: 63
; NumVgprs: 49
; NumAgprs: 0
; TotalNumVgprs: 49
; ScratchSize: 0
; MemoryBound: 0
; FloatMode: 240
; IeeeMode: 1
; LDSByteSize: 0 bytes/workgroup (compile time only)
; SGPRBlocks: 7
; VGPRBlocks: 6
; NumSGPRsForWavesPerEU: 63
; NumVGPRsForWavesPerEU: 49
; AccumOffset: 52
; Occupancy: 8
; WaveLimiterHint : 1
; COMPUTE_PGM_RSRC2:SCRATCH_EN: 0
; COMPUTE_PGM_RSRC2:USER_SGPR: 6
; COMPUTE_PGM_RSRC2:TRAP_HANDLER: 0
; COMPUTE_PGM_RSRC2:TGID_X_EN: 1
; COMPUTE_PGM_RSRC2:TGID_Y_EN: 0
; COMPUTE_PGM_RSRC2:TGID_Z_EN: 0
; COMPUTE_PGM_RSRC2:TIDIG_COMP_CNT: 0
; COMPUTE_PGM_RSRC3_GFX90A:ACCUM_OFFSET: 12
; COMPUTE_PGM_RSRC3_GFX90A:TG_SPLIT: 0
	.section	.text._ZN9rocsparseL26bsric0_2_8_unrolled_kernelILi1ELi32ELi1E21rocsparse_complex_numIfEEEv20rocsparse_direction_iiPKiS5_PT2_S5_PiS5_S8_21rocsparse_index_base_,"axG",@progbits,_ZN9rocsparseL26bsric0_2_8_unrolled_kernelILi1ELi32ELi1E21rocsparse_complex_numIfEEEv20rocsparse_direction_iiPKiS5_PT2_S5_PiS5_S8_21rocsparse_index_base_,comdat
	.globl	_ZN9rocsparseL26bsric0_2_8_unrolled_kernelILi1ELi32ELi1E21rocsparse_complex_numIfEEEv20rocsparse_direction_iiPKiS5_PT2_S5_PiS5_S8_21rocsparse_index_base_ ; -- Begin function _ZN9rocsparseL26bsric0_2_8_unrolled_kernelILi1ELi32ELi1E21rocsparse_complex_numIfEEEv20rocsparse_direction_iiPKiS5_PT2_S5_PiS5_S8_21rocsparse_index_base_
	.p2align	8
	.type	_ZN9rocsparseL26bsric0_2_8_unrolled_kernelILi1ELi32ELi1E21rocsparse_complex_numIfEEEv20rocsparse_direction_iiPKiS5_PT2_S5_PiS5_S8_21rocsparse_index_base_,@function
_ZN9rocsparseL26bsric0_2_8_unrolled_kernelILi1ELi32ELi1E21rocsparse_complex_numIfEEEv20rocsparse_direction_iiPKiS5_PT2_S5_PiS5_S8_21rocsparse_index_base_: ; @_ZN9rocsparseL26bsric0_2_8_unrolled_kernelILi1ELi32ELi1E21rocsparse_complex_numIfEEEv20rocsparse_direction_iiPKiS5_PT2_S5_PiS5_S8_21rocsparse_index_base_
; %bb.0:
	s_load_dwordx8 s[8:15], s[4:5], 0x28
	s_mov_b32 s7, 0
	s_lshl_b64 s[0:1], s[6:7], 2
	s_waitcnt lgkmcnt(0)
	s_add_u32 s0, s12, s0
	s_addc_u32 s1, s13, s1
	s_load_dword s6, s[0:1], 0x0
	s_waitcnt lgkmcnt(0)
	s_ashr_i32 s7, s6, 31
	s_lshl_b64 s[2:3], s[6:7], 2
	s_add_u32 s0, s8, s2
	s_addc_u32 s1, s9, s3
	s_load_dword s12, s[0:1], 0x0
	s_load_dword s7, s[4:5], 0x48
	s_waitcnt lgkmcnt(0)
	s_cmp_lg_u32 s12, -1
	s_cbranch_scc0 .LBB40_60
; %bb.1:
	s_load_dwordx4 s[16:19], s[4:5], 0x10
	s_load_dwordx2 s[20:21], s[4:5], 0x20
	s_waitcnt lgkmcnt(0)
	s_add_u32 s0, s16, s2
	s_addc_u32 s1, s17, s3
	s_load_dword s24, s[0:1], 0x0
	s_waitcnt lgkmcnt(0)
	s_sub_i32 s13, s24, s7
	s_cmp_gt_i32 s13, s12
	s_cbranch_scc1 .LBB40_13
; %bb.2:
	s_add_i32 s0, s12, s7
	s_sub_i32 s25, s0, s24
	s_add_i32 s25, s25, 1
	s_mov_b64 s[22:23], -1
	s_cmp_gt_u32 s25, 1
	s_mov_b32 s0, s13
	s_cbranch_scc0 .LBB40_10
; %bb.3:
	s_add_i32 s0, s25, -2
	s_lshr_b32 s23, s0, 1
	s_add_i32 s23, s23, 1
	s_cmp_lt_u32 s0, 14
	s_mov_b32 s22, 0
	s_cbranch_scc1 .LBB40_6
; %bb.4:
	s_and_b32 s26, s23, -8
	s_movk_i32 s27, 0x100
.LBB40_5:                               ; =>This Inner Loop Header: Depth=1
	s_add_i32 s0, s13, s22
	s_ashr_i32 s1, s0, 31
	s_lshl_b64 s[28:29], s[0:1], 2
	s_add_u32 s28, s18, s28
	s_addc_u32 s29, s19, s29
	s_load_dwordx2 s[28:29], s[28:29], 0x0
	s_add_i32 s30, s0, 2
	s_ashr_i32 s31, s30, 31
	s_lshl_b64 s[30:31], s[30:31], 2
	v_mov_b32_e32 v0, s27
	s_waitcnt lgkmcnt(0)
	s_sub_i32 s1, s29, s7
	s_sub_i32 s28, s28, s7
	v_mov_b32_e32 v1, s28
	s_add_u32 s28, s18, s30
	s_addc_u32 s29, s19, s31
	s_load_dwordx2 s[28:29], s[28:29], 0x0
	s_add_i32 s30, s0, 4
	s_ashr_i32 s31, s30, 31
	v_mov_b32_e32 v2, s1
	s_lshl_b64 s[30:31], s[30:31], 2
	s_waitcnt lgkmcnt(0)
	s_sub_i32 s1, s29, s7
	s_sub_i32 s28, s28, s7
	ds_write2_b32 v0, v1, v2 offset1:1
	v_mov_b32_e32 v1, s28
	s_add_u32 s28, s18, s30
	s_addc_u32 s29, s19, s31
	s_load_dwordx2 s[28:29], s[28:29], 0x0
	s_add_i32 s30, s0, 6
	s_ashr_i32 s31, s30, 31
	v_mov_b32_e32 v2, s1
	s_lshl_b64 s[30:31], s[30:31], 2
	s_waitcnt lgkmcnt(0)
	s_sub_i32 s1, s29, s7
	s_sub_i32 s28, s28, s7
	ds_write2_b32 v0, v1, v2 offset0:2 offset1:3
	v_mov_b32_e32 v1, s28
	s_add_u32 s28, s18, s30
	s_addc_u32 s29, s19, s31
	s_load_dwordx2 s[28:29], s[28:29], 0x0
	s_add_i32 s30, s0, 8
	s_ashr_i32 s31, s30, 31
	v_mov_b32_e32 v2, s1
	s_lshl_b64 s[30:31], s[30:31], 2
	s_waitcnt lgkmcnt(0)
	s_sub_i32 s1, s29, s7
	s_sub_i32 s28, s28, s7
	ds_write2_b32 v0, v1, v2 offset0:4 offset1:5
	;; [unrolled: 12-line block ×4, first 2 shown]
	v_mov_b32_e32 v1, s28
	s_add_u32 s28, s18, s30
	s_addc_u32 s29, s19, s31
	s_load_dwordx2 s[28:29], s[28:29], 0x0
	s_add_i32 s0, s0, 14
	v_mov_b32_e32 v2, s1
	s_ashr_i32 s1, s0, 31
	s_lshl_b64 s[0:1], s[0:1], 2
	s_waitcnt lgkmcnt(0)
	s_sub_i32 s29, s29, s7
	s_sub_i32 s28, s28, s7
	s_add_u32 s0, s18, s0
	s_addc_u32 s1, s19, s1
	s_load_dwordx2 s[0:1], s[0:1], 0x0
	ds_write2_b32 v0, v1, v2 offset0:10 offset1:11
	v_mov_b32_e32 v1, s28
	v_mov_b32_e32 v2, s29
	s_add_i32 s22, s22, 16
	s_add_i32 s27, s27, 64
	s_add_i32 s26, s26, -8
	s_waitcnt lgkmcnt(0)
	s_sub_i32 s1, s1, s7
	s_sub_i32 s0, s0, s7
	ds_write2_b32 v0, v1, v2 offset0:12 offset1:13
	v_mov_b32_e32 v1, s0
	v_mov_b32_e32 v2, s1
	s_cmp_lg_u32 s26, 0
	ds_write2_b32 v0, v1, v2 offset0:14 offset1:15
	s_cbranch_scc1 .LBB40_5
.LBB40_6:
	s_and_b32 s23, s23, 7
	s_cmp_eq_u32 s23, 0
	s_cbranch_scc1 .LBB40_9
; %bb.7:
	s_lshl_b32 s0, s22, 2
	s_add_i32 s26, s0, 0x100
	s_add_i32 s0, s22, s24
	s_sub_i32 s0, s0, s7
.LBB40_8:                               ; =>This Inner Loop Header: Depth=1
	s_ashr_i32 s1, s0, 31
	s_lshl_b64 s[28:29], s[0:1], 2
	s_add_u32 s28, s18, s28
	s_addc_u32 s29, s19, s29
	s_load_dwordx2 s[28:29], s[28:29], 0x0
	v_mov_b32_e32 v0, s26
	s_add_i32 s26, s26, 8
	s_add_i32 s0, s0, 2
	s_add_i32 s23, s23, -1
	s_waitcnt lgkmcnt(0)
	s_sub_i32 s1, s29, s7
	s_sub_i32 s22, s28, s7
	v_mov_b32_e32 v1, s22
	v_mov_b32_e32 v2, s1
	s_cmp_lg_u32 s23, 0
	ds_write2_b32 v0, v1, v2 offset1:1
	s_cbranch_scc1 .LBB40_8
.LBB40_9:
	s_and_b32 s1, s25, -2
	s_add_i32 s0, s13, s1
	s_cmp_lg_u32 s25, s1
	s_cselect_b64 s[22:23], -1, 0
.LBB40_10:
	s_and_b64 vcc, exec, s[22:23]
	s_cbranch_vccz .LBB40_13
; %bb.11:
	s_add_i32 s1, s0, s7
	s_sub_i32 s1, s1, s24
	s_lshl_b32 s1, s1, 2
	s_add_i32 s23, s1, 0x100
	s_ashr_i32 s1, s0, 31
	s_add_i32 s22, s0, -1
	s_lshl_b64 s[0:1], s[0:1], 2
	s_add_u32 s0, s18, s0
	s_addc_u32 s1, s19, s1
.LBB40_12:                              ; =>This Inner Loop Header: Depth=1
	s_load_dword s24, s[0:1], 0x0
	v_mov_b32_e32 v0, s23
	s_add_i32 s22, s22, 1
	s_add_i32 s23, s23, 4
	s_waitcnt lgkmcnt(0)
	s_sub_i32 s24, s24, s7
	s_add_u32 s0, s0, 4
	s_addc_u32 s1, s1, 0
	v_mov_b32_e32 v1, s24
	s_cmp_ge_i32 s22, s12
	ds_write_b32 v0, v1
	s_cbranch_scc0 .LBB40_12
.LBB40_13:
	v_mov_b32_e32 v0, 0
	s_mov_b32 s22, 0
	v_mov_b32_e32 v1, v0
	s_cmp_ge_i32 s13, s12
	ds_write_b64 v0, v[0:1] offset:432
	s_waitcnt lgkmcnt(0)
	s_cbranch_scc1 .LBB40_56
; %bb.14:
	s_load_dword s0, s[4:5], 0x0
	v_mov_b32_e32 v1, 0x1a0
	v_mov_b32_e32 v7, s21
	;; [unrolled: 1-line block ×4, first 2 shown]
	s_waitcnt lgkmcnt(0)
	s_cmp_lg_u32 s0, 0
	s_cselect_b64 s[4:5], -1, 0
	v_mov_b32_e32 v10, 0x1b0
	s_mov_b32 s24, s13
	s_branch .LBB40_16
.LBB40_15:                              ;   in Loop: Header=BB40_16 Depth=1
                                        ; implicit-def: $sgpr24
	s_cbranch_execnz .LBB40_56
.LBB40_16:                              ; =>This Loop Header: Depth=1
                                        ;     Child Loop BB40_19 Depth 2
                                        ;     Child Loop BB40_30 Depth 2
	;; [unrolled: 1-line block ×6, first 2 shown]
	s_ashr_i32 s25, s24, 31
	s_lshl_b64 s[0:1], s[24:25], 2
	s_add_u32 s0, s18, s0
	s_addc_u32 s1, s19, s1
	s_load_dword s33, s[0:1], 0x0
	s_waitcnt lgkmcnt(0)
	s_sub_i32 s30, s33, s7
	s_ashr_i32 s31, s30, 31
	s_lshl_b64 s[28:29], s[30:31], 2
	s_add_u32 s0, s8, s28
	s_addc_u32 s1, s9, s29
	s_load_dword s0, s[0:1], 0x0
	s_waitcnt lgkmcnt(0)
	s_cmp_eq_u32 s0, -1
	s_cbranch_scc1 .LBB40_15
; %bb.17:                               ;   in Loop: Header=BB40_16 Depth=1
	s_add_u32 s26, s16, s28
	s_addc_u32 s27, s17, s29
	s_load_dword s1, s[26:27], 0x0
	s_lshl_b64 s[26:27], s[24:25], 3
	s_mov_b32 s31, 0
	ds_read_b32 v4, v0 offset:256
	s_waitcnt lgkmcnt(0)
	s_sub_i32 s34, s1, s7
	s_add_u32 s26, s20, s26
	s_addc_u32 s27, s21, s27
	global_load_dwordx2 v[2:3], v0, s[26:27]
	s_cmp_le_i32 s34, s0
	s_cselect_b64 s[36:37], -1, 0
	v_cmp_ge_i32_e32 vcc, s30, v4
	s_and_b64 s[36:37], s[36:37], vcc
	s_andn2_b64 vcc, exec, s[36:37]
	s_waitcnt vmcnt(0)
	ds_write_b64 v1, v[2:3]
	s_cbranch_vccnz .LBB40_29
; %bb.18:                               ;   in Loop: Header=BB40_16 Depth=1
	s_mov_b32 s1, 0
	s_mov_b32 s23, 0
.LBB40_19:                              ;   Parent Loop BB40_16 Depth=1
                                        ; =>  This Inner Loop Header: Depth=2
	s_ashr_i32 s35, s34, 31
	s_lshl_b64 s[36:37], s[34:35], 2
	s_add_u32 s36, s18, s36
	s_addc_u32 s37, s19, s37
	s_lshl_b32 s31, s23, 2
	s_load_dword s25, s[36:37], 0x0
	v_mov_b32_e32 v2, s31
	ds_read_b32 v2, v2 offset:256
	s_mov_b64 s[36:37], -1
                                        ; implicit-def: $sgpr31
                                        ; implicit-def: $sgpr38
                                        ; implicit-def: $sgpr35
	s_waitcnt lgkmcnt(0)
	s_sub_i32 s39, s25, s7
	v_cmp_ge_i32_e32 vcc, s39, v2
	v_readfirstlane_b32 s25, v2
	s_cbranch_vccz .LBB40_25
; %bb.20:                               ;   in Loop: Header=BB40_19 Depth=2
	s_cmp_le_i32 s39, s25
                                        ; implicit-def: $sgpr31
                                        ; implicit-def: $sgpr38
                                        ; implicit-def: $sgpr35
	s_cbranch_scc0 .LBB40_22
; %bb.21:                               ;   in Loop: Header=BB40_19 Depth=2
	s_add_i32 s31, s23, s13
	s_lshl_b32 s35, s1, 2
	v_mov_b32_e32 v2, s35
	v_mov_b32_e32 v3, s31
	;; [unrolled: 1-line block ×3, first 2 shown]
	ds_write2_b32 v2, v4, v3 offset1:32
	s_add_i32 s35, s23, 1
	s_add_i32 s38, s34, 1
	;; [unrolled: 1-line block ×3, first 2 shown]
	s_mov_b64 s[36:37], 0
.LBB40_22:                              ;   in Loop: Header=BB40_19 Depth=2
	s_andn2_b64 vcc, exec, s[36:37]
	s_cbranch_vccnz .LBB40_24
; %bb.23:                               ;   in Loop: Header=BB40_19 Depth=2
	s_add_i32 s35, s23, 1
	s_mov_b32 s31, s1
	s_mov_b32 s38, s34
.LBB40_24:                              ;   in Loop: Header=BB40_19 Depth=2
	s_mov_b64 s[36:37], 0
.LBB40_25:                              ;   in Loop: Header=BB40_19 Depth=2
	s_andn2_b64 vcc, exec, s[36:37]
	s_cbranch_vccnz .LBB40_27
; %bb.26:                               ;   in Loop: Header=BB40_19 Depth=2
	s_add_i32 s38, s34, 1
	s_mov_b32 s35, s23
	s_mov_b32 s31, s1
.LBB40_27:                              ;   in Loop: Header=BB40_19 Depth=2
	s_cmp_le_i32 s38, s0
	s_cselect_b64 s[36:37], -1, 0
	s_cmp_le_i32 s25, s30
	s_cselect_b64 s[40:41], -1, 0
	s_and_b64 s[36:37], s[36:37], s[40:41]
	s_and_b64 vcc, exec, s[36:37]
	s_cbranch_vccz .LBB40_29
; %bb.28:                               ;   in Loop: Header=BB40_19 Depth=2
	s_mov_b32 s1, s31
	s_mov_b32 s34, s38
	;; [unrolled: 1-line block ×3, first 2 shown]
	s_branch .LBB40_19
.LBB40_29:                              ;   in Loop: Header=BB40_16 Depth=1
	s_add_u32 s28, s10, s28
	s_addc_u32 s29, s11, s29
	s_waitcnt lgkmcnt(0)
.LBB40_30:                              ;   Parent Loop BB40_16 Depth=1
                                        ; =>  This Inner Loop Header: Depth=2
	global_load_dword v2, v0, s[28:29] glc
	s_waitcnt vmcnt(0)
	v_cmp_eq_u32_e32 vcc, 0, v2
	s_cbranch_vccnz .LBB40_30
; %bb.31:                               ;   in Loop: Header=BB40_16 Depth=1
	s_ashr_i32 s1, s0, 31
	s_lshl_b64 s[0:1], s[0:1], 3
	s_add_u32 s0, s20, s0
	s_addc_u32 s1, s21, s1
	buffer_wbinvl1_vol
	global_load_dwordx2 v[2:3], v0, s[0:1]
	s_cmp_lt_i32 s31, 2
	s_waitcnt vmcnt(0)
	ds_write_b64 v9, v[2:3]
	s_waitcnt lgkmcnt(0)
	s_cbranch_scc1 .LBB40_37
; %bb.32:                               ;   in Loop: Header=BB40_16 Depth=1
	s_andn2_b64 vcc, exec, s[4:5]
	s_add_i32 s25, s31, -1
	s_cbranch_vccnz .LBB40_38
; %bb.33:                               ;   in Loop: Header=BB40_16 Depth=1
	s_add_i32 s0, s31, -2
	s_cmp_lt_u32 s0, 3
	s_cbranch_scc1 .LBB40_39
; %bb.34:                               ;   in Loop: Header=BB40_16 Depth=1
	s_and_b32 s0, s25, -4
	s_mov_b32 s1, 0
	s_mov_b32 s23, 0
	v_mov_b32_e32 v3, 0
	v_mov_b32_e32 v2, 0
.LBB40_35:                              ;   Parent Loop BB40_16 Depth=1
                                        ; =>  This Inner Loop Header: Depth=2
	v_mov_b32_e32 v4, s1
	ds_read_b128 v[12:15], v4
	ds_read_b128 v[16:19], v4 offset:128
	s_add_i32 s23, s23, 4
	s_add_i32 s1, s1, 16
	s_cmp_eq_u32 s0, s23
	s_waitcnt lgkmcnt(1)
	v_ashrrev_i32_e32 v5, 31, v12
	v_mov_b32_e32 v4, v12
	v_lshlrev_b64 v[4:5], 3, v[4:5]
	s_waitcnt lgkmcnt(0)
	v_ashrrev_i32_e32 v21, 31, v16
	v_mov_b32_e32 v20, v16
	v_add_co_u32_e32 v4, vcc, s20, v4
	v_ashrrev_i32_e32 v23, 31, v13
	v_mov_b32_e32 v22, v13
	v_ashrrev_i32_e32 v13, 31, v17
	v_mov_b32_e32 v12, v17
	;; [unrolled: 2-line block ×6, first 2 shown]
	v_lshlrev_b64 v[18:19], 3, v[20:21]
	v_addc_co_u32_e32 v5, vcc, v7, v5, vcc
	v_add_co_u32_e32 v18, vcc, s20, v18
	v_lshlrev_b64 v[20:21], 3, v[22:23]
	v_addc_co_u32_e32 v19, vcc, v7, v19, vcc
	v_add_co_u32_e32 v20, vcc, s20, v20
	;; [unrolled: 3-line block ×7, first 2 shown]
	v_addc_co_u32_e32 v15, vcc, v7, v15, vcc
	global_load_dwordx2 v[26:27], v[4:5], off
	global_load_dwordx2 v[28:29], v[18:19], off
	global_load_dwordx2 v[30:31], v[12:13], off
	global_load_dwordx2 v[32:33], v[20:21], off
	global_load_dwordx2 v[34:35], v[16:17], off
	global_load_dwordx2 v[36:37], v[22:23], off
	global_load_dwordx2 v[38:39], v[14:15], off
	global_load_dwordx2 v[40:41], v[24:25], off
	s_waitcnt vmcnt(6)
	v_pk_fma_f32 v[2:3], v[26:27], v[28:29], v[2:3] op_sel_hi:[1,0,1]
	v_pk_fma_f32 v[2:3], v[26:27], v[28:29], v[2:3] op_sel:[1,1,0] op_sel_hi:[0,1,1] neg_hi:[0,1,0]
	s_waitcnt vmcnt(4)
	v_pk_fma_f32 v[2:3], v[32:33], v[30:31], v[2:3] op_sel_hi:[1,0,1]
	v_pk_fma_f32 v[2:3], v[32:33], v[30:31], v[2:3] op_sel:[1,1,0] op_sel_hi:[0,1,1] neg_hi:[0,1,0]
	;; [unrolled: 3-line block ×4, first 2 shown]
	s_cbranch_scc0 .LBB40_35
; %bb.36:                               ;   in Loop: Header=BB40_16 Depth=1
	s_and_b32 s1, s25, 3
	s_cmp_eq_u32 s1, 0
	s_cbranch_scc0 .LBB40_40
	s_branch .LBB40_42
.LBB40_37:                              ;   in Loop: Header=BB40_16 Depth=1
	v_mov_b32_e32 v2, 0
	v_mov_b32_e32 v3, v2
	s_branch .LBB40_50
.LBB40_38:                              ;   in Loop: Header=BB40_16 Depth=1
                                        ; implicit-def: $vgpr3
	s_cbranch_execnz .LBB40_43
	s_branch .LBB40_50
.LBB40_39:                              ;   in Loop: Header=BB40_16 Depth=1
	s_mov_b32 s23, s22
	s_mov_b32 s0, 0
	v_pk_mov_b32 v[2:3], s[22:23], s[22:23] op_sel:[0,1]
	s_and_b32 s1, s25, 3
	s_cmp_eq_u32 s1, 0
	s_cbranch_scc1 .LBB40_42
.LBB40_40:                              ;   in Loop: Header=BB40_16 Depth=1
	s_lshl_b32 s0, s0, 2
.LBB40_41:                              ;   Parent Loop BB40_16 Depth=1
                                        ; =>  This Inner Loop Header: Depth=2
	v_mov_b32_e32 v4, s0
	ds_read2_b32 v[4:5], v4 offset1:32
	v_mov_b32_e32 v6, s21
	s_add_i32 s0, s0, 4
	s_add_i32 s1, s1, -1
	s_cmp_eq_u32 s1, 0
	s_waitcnt lgkmcnt(0)
	v_ashrrev_i32_e32 v13, 31, v4
	v_mov_b32_e32 v12, v4
	v_ashrrev_i32_e32 v15, 31, v5
	v_mov_b32_e32 v14, v5
	v_lshlrev_b64 v[4:5], 3, v[12:13]
	v_add_co_u32_e32 v4, vcc, s20, v4
	v_lshlrev_b64 v[12:13], 3, v[14:15]
	v_addc_co_u32_e32 v5, vcc, v6, v5, vcc
	v_add_co_u32_e32 v12, vcc, s20, v12
	v_addc_co_u32_e32 v13, vcc, v6, v13, vcc
	global_load_dwordx2 v[14:15], v[12:13], off
	global_load_dwordx2 v[16:17], v[4:5], off
	s_waitcnt vmcnt(0)
	v_pk_fma_f32 v[2:3], v[16:17], v[14:15], v[2:3] op_sel_hi:[1,0,1]
	v_pk_fma_f32 v[2:3], v[16:17], v[14:15], v[2:3] op_sel:[1,1,0] op_sel_hi:[0,1,1] neg_hi:[0,1,0]
	s_cbranch_scc0 .LBB40_41
.LBB40_42:                              ;   in Loop: Header=BB40_16 Depth=1
	s_branch .LBB40_50
.LBB40_43:                              ;   in Loop: Header=BB40_16 Depth=1
	s_add_i32 s0, s31, -2
	s_cmp_lt_u32 s0, 3
	s_cbranch_scc1 .LBB40_47
; %bb.44:                               ;   in Loop: Header=BB40_16 Depth=1
	s_and_b32 s0, s25, -4
	s_mov_b32 s1, 0
	s_mov_b32 s23, 0
	v_mov_b32_e32 v3, 0
	v_mov_b32_e32 v2, 0
.LBB40_45:                              ;   Parent Loop BB40_16 Depth=1
                                        ; =>  This Inner Loop Header: Depth=2
	v_mov_b32_e32 v4, s1
	ds_read_b128 v[12:15], v4
	ds_read_b128 v[16:19], v4 offset:128
	v_mov_b32_e32 v6, s21
	s_add_i32 s23, s23, 4
	s_add_i32 s1, s1, 16
	s_waitcnt lgkmcnt(1)
	v_ashrrev_i32_e32 v5, 31, v12
	v_mov_b32_e32 v4, v12
	v_lshlrev_b64 v[4:5], 3, v[4:5]
	s_waitcnt lgkmcnt(0)
	v_ashrrev_i32_e32 v21, 31, v16
	v_mov_b32_e32 v20, v16
	v_add_co_u32_e32 v4, vcc, s20, v4
	v_ashrrev_i32_e32 v23, 31, v13
	v_mov_b32_e32 v22, v13
	v_ashrrev_i32_e32 v13, 31, v17
	v_mov_b32_e32 v12, v17
	;; [unrolled: 2-line block ×6, first 2 shown]
	v_lshlrev_b64 v[18:19], 3, v[20:21]
	v_addc_co_u32_e32 v5, vcc, v6, v5, vcc
	v_add_co_u32_e32 v18, vcc, s20, v18
	v_lshlrev_b64 v[20:21], 3, v[22:23]
	v_addc_co_u32_e32 v19, vcc, v6, v19, vcc
	v_add_co_u32_e32 v20, vcc, s20, v20
	;; [unrolled: 3-line block ×7, first 2 shown]
	v_addc_co_u32_e32 v15, vcc, v6, v15, vcc
	global_load_dwordx2 v[26:27], v[4:5], off
	global_load_dwordx2 v[28:29], v[18:19], off
	;; [unrolled: 1-line block ×8, first 2 shown]
	s_cmp_lg_u32 s0, s23
	s_waitcnt vmcnt(6)
	v_pk_fma_f32 v[2:3], v[26:27], v[28:29], v[2:3] op_sel_hi:[1,0,1]
	v_pk_fma_f32 v[2:3], v[26:27], v[28:29], v[2:3] op_sel:[1,1,0] op_sel_hi:[0,1,1] neg_hi:[0,1,0]
	s_waitcnt vmcnt(4)
	v_pk_fma_f32 v[2:3], v[32:33], v[30:31], v[2:3] op_sel_hi:[1,0,1]
	v_pk_fma_f32 v[2:3], v[32:33], v[30:31], v[2:3] op_sel:[1,1,0] op_sel_hi:[0,1,1] neg_hi:[0,1,0]
	;; [unrolled: 3-line block ×4, first 2 shown]
	s_cbranch_scc1 .LBB40_45
; %bb.46:                               ;   in Loop: Header=BB40_16 Depth=1
	s_and_b32 s1, s25, 3
	s_cmp_eq_u32 s1, 0
	s_cbranch_scc0 .LBB40_48
	s_branch .LBB40_50
.LBB40_47:                              ;   in Loop: Header=BB40_16 Depth=1
	s_mov_b32 s23, s22
	s_mov_b32 s0, 0
	v_pk_mov_b32 v[2:3], s[22:23], s[22:23] op_sel:[0,1]
	s_and_b32 s1, s25, 3
	s_cmp_eq_u32 s1, 0
	s_cbranch_scc1 .LBB40_50
.LBB40_48:                              ;   in Loop: Header=BB40_16 Depth=1
	s_lshl_b32 s0, s0, 2
.LBB40_49:                              ;   Parent Loop BB40_16 Depth=1
                                        ; =>  This Inner Loop Header: Depth=2
	v_mov_b32_e32 v4, s0
	ds_read2_b32 v[4:5], v4 offset1:32
	v_mov_b32_e32 v6, s21
	s_add_i32 s0, s0, 4
	s_add_i32 s1, s1, -1
	s_cmp_eq_u32 s1, 0
	s_waitcnt lgkmcnt(0)
	v_ashrrev_i32_e32 v13, 31, v4
	v_mov_b32_e32 v12, v4
	v_ashrrev_i32_e32 v15, 31, v5
	v_mov_b32_e32 v14, v5
	v_lshlrev_b64 v[4:5], 3, v[12:13]
	v_add_co_u32_e32 v4, vcc, s20, v4
	v_lshlrev_b64 v[12:13], 3, v[14:15]
	v_addc_co_u32_e32 v5, vcc, v6, v5, vcc
	v_add_co_u32_e32 v12, vcc, s20, v12
	v_addc_co_u32_e32 v13, vcc, v6, v13, vcc
	global_load_dwordx2 v[14:15], v[12:13], off
	global_load_dwordx2 v[16:17], v[4:5], off
	s_waitcnt vmcnt(0)
	v_pk_fma_f32 v[2:3], v[16:17], v[14:15], v[2:3] op_sel_hi:[1,0,1]
	v_pk_fma_f32 v[2:3], v[16:17], v[14:15], v[2:3] op_sel:[1,1,0] op_sel_hi:[0,1,1] neg_hi:[0,1,0]
	s_cbranch_scc0 .LBB40_49
.LBB40_50:                              ;   in Loop: Header=BB40_16 Depth=1
	ds_write_b64 v8, v[2:3]
	s_waitcnt lgkmcnt(0)
	ds_read_b64 v[4:5], v0 offset:384
	ds_read_b64 v[2:3], v1
	s_waitcnt lgkmcnt(1)
	v_cmp_neq_f32_e32 vcc, 0, v4
	v_cmp_neq_f32_e64 s[0:1], 0, v5
	s_or_b64 s[0:1], vcc, s[0:1]
	s_andn2_b64 vcc, exec, s[0:1]
	s_cbranch_vccz .LBB40_54
; %bb.51:                               ;   in Loop: Header=BB40_16 Depth=1
	v_mbcnt_lo_u32_b32 v4, exec_lo, 0
	v_mbcnt_hi_u32_b32 v4, exec_hi, v4
	v_cmp_ne_u32_e32 vcc, 0, v4
	s_and_b64 s[0:1], vcc, exec
	s_cbranch_scc1 .LBB40_53
; %bb.52:                               ;   in Loop: Header=BB40_16 Depth=1
	v_mov_b32_e32 v4, s33
	global_atomic_smin v0, v4, s[14:15]
.LBB40_53:                              ;   in Loop: Header=BB40_16 Depth=1
	v_mov_b32_e32 v6, 0
	v_mov_b32_e32 v4, 1.0
	s_branch .LBB40_55
.LBB40_54:                              ;   in Loop: Header=BB40_16 Depth=1
	v_cndmask_b32_e64 v4, 1.0, v4, s[0:1]
	v_cndmask_b32_e64 v6, 0, v5, s[0:1]
.LBB40_55:                              ;   in Loop: Header=BB40_16 Depth=1
	v_mul_f32_e32 v5, v6, v6
	v_fmac_f32_e32 v5, v4, v4
	v_div_scale_f32 v11, s[0:1], v5, v5, 1.0
	v_rcp_f32_e32 v14, v11
	v_div_scale_f32 v12, vcc, 1.0, v5, 1.0
	s_waitcnt lgkmcnt(0)
	v_mov_b32_e32 v16, v3
	v_fma_f32 v13, -v11, v14, 1.0
	v_fmac_f32_e32 v14, v13, v14
	v_mul_f32_e32 v15, v12, v14
	v_fma_f32 v13, -v11, v15, v12
	v_fmac_f32_e32 v15, v13, v14
	v_fma_f32 v11, -v11, v15, v12
	ds_read_b64 v[12:13], v8
	v_mov_b32_e32 v17, v2
	v_div_fmas_f32 v11, v11, v14, v15
	v_div_fixup_f32 v14, v11, v5, 1.0
	s_add_i32 s24, s24, 1
	s_waitcnt lgkmcnt(0)
	v_pk_add_f32 v[2:3], v[16:17], v[12:13] op_sel:[0,1] op_sel_hi:[1,0] neg_lo:[0,1] neg_hi:[0,1]
	v_pk_mul_f32 v[12:13], v[6:7], v[2:3] op_sel:[0,1] op_sel_hi:[0,0] neg_lo:[0,1]
	v_pk_fma_f32 v[2:3], v[2:3], v[4:5], v[12:13] op_sel_hi:[1,0,1]
	v_pk_mul_f32 v[2:3], v[14:15], v[2:3] op_sel_hi:[0,1]
	v_mov_b32_e32 v4, v3
	v_mov_b32_e32 v5, v2
	ds_write_b64 v1, v[4:5]
	s_waitcnt lgkmcnt(0)
	ds_read_b64 v[4:5], v1
	ds_read_b64 v[12:13], v10
	s_cmp_ge_i32 s24, s12
	s_cselect_b64 s[0:1], -1, 0
	s_waitcnt lgkmcnt(0)
	v_pk_fma_f32 v[12:13], v[2:3], v[4:5], v[12:13] op_sel:[1,0,0] op_sel_hi:[0,0,1]
	v_pk_fma_f32 v[2:3], v[2:3], v[4:5], v[12:13] op_sel:[0,1,0] neg_hi:[0,1,0]
	ds_write_b64 v10, v[2:3]
	s_waitcnt lgkmcnt(0)
	ds_read_b64 v[2:3], v1
	s_waitcnt lgkmcnt(0)
	global_store_dwordx2 v0, v[2:3], s[26:27]
	s_waitcnt vmcnt(0)
	buffer_wbinvl1_vol
	s_and_b64 vcc, exec, s[0:1]
	s_cbranch_vccz .LBB40_16
.LBB40_56:
	s_ashr_i32 s13, s12, 31
	s_lshl_b64 s[0:1], s[12:13], 3
	s_add_u32 s4, s20, s0
	s_addc_u32 s5, s21, s1
	global_load_dwordx2 v[2:3], v0, s[4:5]
	s_waitcnt vmcnt(0)
	ds_write_b64 v0, v[2:3] offset:416
	s_waitcnt lgkmcnt(0)
; %bb.57:
	v_mov_b32_e32 v0, 0
	ds_read2_b64 v[0:3], v0 offset0:52 offset1:54
	s_waitcnt lgkmcnt(0)
	v_sub_f32_e32 v0, v0, v2
	v_sub_f32_e32 v2, v1, v3
	v_cmp_gt_f32_e32 vcc, 0, v0
	v_cndmask_b32_e64 v0, v0, -v0, vcc
	v_cmp_gt_f32_e32 vcc, 0, v2
	v_cndmask_b32_e64 v1, v2, -v2, vcc
	v_cmp_ngt_f32_e32 vcc, v0, v1
	s_cbranch_vccz .LBB40_61
; %bb.58:
	v_cmp_eq_f32_e32 vcc, 0, v2
	s_cbranch_vccnz .LBB40_79
; %bb.59:
	v_div_scale_f32 v2, s[0:1], v1, v1, v0
	v_rcp_f32_e32 v3, v2
	v_div_scale_f32 v4, vcc, v0, v1, v0
	s_mov_b32 s0, 0xf800000
	v_fma_f32 v5, -v2, v3, 1.0
	v_fmac_f32_e32 v3, v5, v3
	v_mul_f32_e32 v5, v4, v3
	v_fma_f32 v6, -v2, v5, v4
	v_fmac_f32_e32 v5, v6, v3
	v_fma_f32 v2, -v2, v5, v4
	v_div_fmas_f32 v2, v2, v3, v5
	v_div_fixup_f32 v2, v2, v1, v0
	v_fma_f32 v2, v2, v2, 1.0
	v_mul_f32_e32 v3, 0x4f800000, v2
	v_cmp_gt_f32_e32 vcc, s0, v2
	v_cndmask_b32_e32 v2, v2, v3, vcc
	v_sqrt_f32_e32 v3, v2
	v_add_u32_e32 v4, -1, v3
	v_fma_f32 v5, -v4, v3, v2
	v_cmp_ge_f32_e64 s[0:1], 0, v5
	v_add_u32_e32 v5, 1, v3
	v_cndmask_b32_e64 v4, v3, v4, s[0:1]
	v_fma_f32 v3, -v5, v3, v2
	v_cmp_lt_f32_e64 s[0:1], 0, v3
	v_cndmask_b32_e64 v3, v4, v5, s[0:1]
	v_mul_f32_e32 v4, 0x37800000, v3
	v_cndmask_b32_e32 v3, v3, v4, vcc
	v_mov_b32_e32 v4, 0x260
	v_cmp_class_f32_e32 vcc, v2, v4
	v_cndmask_b32_e32 v2, v3, v2, vcc
	v_mul_f32_e32 v2, v1, v2
	s_cbranch_execz .LBB40_62
	s_branch .LBB40_63
.LBB40_60:
	s_mov_b64 s[0:1], 0
	s_cbranch_execnz .LBB40_72
	s_branch .LBB40_73
.LBB40_61:
                                        ; implicit-def: $vgpr2
.LBB40_62:
	v_div_scale_f32 v2, s[0:1], v0, v0, v1
	v_rcp_f32_e32 v3, v2
	v_div_scale_f32 v4, vcc, v1, v0, v1
	s_mov_b32 s0, 0xf800000
	v_fma_f32 v5, -v2, v3, 1.0
	v_fmac_f32_e32 v3, v5, v3
	v_mul_f32_e32 v5, v4, v3
	v_fma_f32 v6, -v2, v5, v4
	v_fmac_f32_e32 v5, v6, v3
	v_fma_f32 v2, -v2, v5, v4
	v_div_fmas_f32 v2, v2, v3, v5
	v_div_fixup_f32 v1, v2, v0, v1
	v_fma_f32 v1, v1, v1, 1.0
	v_mul_f32_e32 v2, 0x4f800000, v1
	v_cmp_gt_f32_e32 vcc, s0, v1
	v_cndmask_b32_e32 v1, v1, v2, vcc
	v_sqrt_f32_e32 v2, v1
	v_add_u32_e32 v3, -1, v2
	v_fma_f32 v4, -v3, v2, v1
	v_cmp_ge_f32_e64 s[0:1], 0, v4
	v_add_u32_e32 v4, 1, v2
	v_cndmask_b32_e64 v3, v2, v3, s[0:1]
	v_fma_f32 v2, -v4, v2, v1
	v_cmp_lt_f32_e64 s[0:1], 0, v2
	v_cndmask_b32_e64 v2, v3, v4, s[0:1]
	v_mul_f32_e32 v3, 0x37800000, v2
	v_cndmask_b32_e32 v2, v2, v3, vcc
	v_mov_b32_e32 v3, 0x260
	v_cmp_class_f32_e32 vcc, v1, v3
	v_cndmask_b32_e32 v1, v2, v1, vcc
	v_mul_f32_e32 v2, v0, v1
.LBB40_63:
	s_mov_b32 s0, 0xf800000
	v_mul_f32_e32 v0, 0x4f800000, v2
	v_cmp_gt_f32_e32 vcc, s0, v2
	v_cndmask_b32_e32 v0, v2, v0, vcc
	v_sqrt_f32_e32 v1, v0
	v_add_u32_e32 v2, -1, v1
	v_fma_f32 v3, -v2, v1, v0
	v_cmp_ge_f32_e64 s[0:1], 0, v3
	v_add_u32_e32 v3, 1, v1
	v_cndmask_b32_e64 v2, v1, v2, s[0:1]
	v_fma_f32 v1, -v3, v1, v0
	v_cmp_lt_f32_e64 s[0:1], 0, v1
	v_cndmask_b32_e64 v1, v2, v3, s[0:1]
	v_mul_f32_e32 v2, 0x37800000, v1
	v_cndmask_b32_e32 v1, v1, v2, vcc
	v_mov_b32_e32 v2, 0x260
	v_cmp_class_f32_e32 vcc, v0, v2
	v_cndmask_b32_e32 v0, v1, v0, vcc
	v_mov_b32_e32 v1, 0
	ds_write_b64 v1, v[0:1] offset:416
; %bb.64:
	v_mov_b32_e32 v0, 0
	s_waitcnt lgkmcnt(0)
	ds_read_b64 v[0:1], v0 offset:416
	s_waitcnt lgkmcnt(0)
	v_cmp_eq_f32_e32 vcc, 0, v0
	v_cmp_eq_f32_e64 s[0:1], 0, v1
	s_and_b64 s[0:1], vcc, s[0:1]
	s_andn2_b64 vcc, exec, s[0:1]
	s_cbranch_vccnz .LBB40_69
; %bb.65:
; %bb.66:
	v_mbcnt_lo_u32_b32 v0, exec_lo, 0
	v_mbcnt_hi_u32_b32 v0, exec_hi, v0
	v_cmp_ne_u32_e32 vcc, 0, v0
	s_and_b64 s[0:1], vcc, exec
	s_cbranch_scc1 .LBB40_68
; %bb.67:
	s_add_i32 s0, s6, s7
	v_mov_b32_e32 v0, 0
	v_mov_b32_e32 v1, s0
	global_atomic_smin v0, v1, s[14:15]
.LBB40_68:
	v_mov_b32_e32 v0, 1.0
	v_mov_b32_e32 v1, 0
.LBB40_69:
	s_mov_b64 s[0:1], -1
	s_cbranch_execnz .LBB40_71
; %bb.70:
	v_mul_f32_e32 v6, v1, v1
	v_fmac_f32_e32 v6, v0, v0
	v_div_scale_f32 v7, s[8:9], v6, v6, 1.0
	v_rcp_f32_e32 v8, v7
	v_div_scale_f32 v9, vcc, 1.0, v6, 1.0
	v_mov_b32_e32 v11, 0
	v_fma_f32 v2, -v7, v8, 1.0
	v_fmac_f32_e32 v8, v2, v8
	v_mul_f32_e32 v10, v9, v8
	v_fma_f32 v2, -v7, v10, v9
	v_fmac_f32_e32 v10, v2, v8
	ds_read2_b64 v[2:5], v11 offset0:52 offset1:54
	v_fma_f32 v7, -v7, v10, v9
	v_div_fmas_f32 v7, v7, v8, v10
	v_div_fixup_f32 v6, v7, v6, 1.0
	s_waitcnt lgkmcnt(0)
	v_pk_add_f32 v[2:3], v[2:3], v[4:5] op_sel:[1,1] op_sel_hi:[0,0] neg_lo:[0,1] neg_hi:[0,1]
	v_mov_b32_e32 v4, v1
	v_pk_mul_f32 v[4:5], v[4:5], v[2:3] op_sel:[0,1] op_sel_hi:[0,0] neg_lo:[0,1]
	v_pk_fma_f32 v[0:1], v[2:3], v[0:1], v[4:5] op_sel_hi:[1,0,1]
	v_pk_mul_f32 v[0:1], v[6:7], v[0:1] op_sel_hi:[0,1]
	v_mov_b32_e32 v2, v1
	v_mov_b32_e32 v3, v0
	ds_write_b64 v11, v[2:3] offset:416
	s_waitcnt lgkmcnt(0)
	v_mov_b32_e32 v6, 0x1b0
	ds_read_b64 v[2:3], v11 offset:416
	ds_read_b64 v[4:5], v6
	s_waitcnt lgkmcnt(0)
	v_pk_fma_f32 v[4:5], v[0:1], v[2:3], v[4:5] op_sel:[1,0,0] op_sel_hi:[0,0,1]
	v_pk_fma_f32 v[0:1], v[0:1], v[2:3], v[4:5] op_sel:[0,1,0] neg_hi:[0,1,0]
	ds_write_b64 v6, v[0:1]
.LBB40_71:
	v_mov_b32_e32 v0, 0x1a0
	s_waitcnt lgkmcnt(0)
	ds_read_b64 v[0:1], v0
	v_mov_b32_e32 v2, 0
	s_waitcnt lgkmcnt(0)
	global_store_dwordx2 v2, v[0:1], s[4:5]
	s_branch .LBB40_73
.LBB40_72:
	s_cbranch_execnz .LBB40_76
.LBB40_73:
	s_and_b64 vcc, exec, s[0:1]
	s_cbranch_vccz .LBB40_75
.LBB40_74:
	s_add_u32 s0, s10, s2
	s_addc_u32 s1, s11, s3
	v_mov_b32_e32 v0, 0
	v_mov_b32_e32 v1, 1
	s_waitcnt vmcnt(0)
	global_store_dword v0, v1, s[0:1]
.LBB40_75:
	s_endpgm
.LBB40_76:
	v_mbcnt_lo_u32_b32 v0, exec_lo, 0
	v_mbcnt_hi_u32_b32 v0, exec_hi, v0
	v_cmp_ne_u32_e32 vcc, 0, v0
	s_and_b64 s[0:1], vcc, exec
	s_cbranch_scc0 .LBB40_78
; %bb.77:
	s_cbranch_execnz .LBB40_74
	s_branch .LBB40_75
.LBB40_78:
	s_add_i32 s0, s6, s7
	v_mov_b32_e32 v0, 0
	v_mov_b32_e32 v1, s0
	global_atomic_smin v0, v1, s[14:15]
	s_cbranch_execnz .LBB40_74
	s_branch .LBB40_75
.LBB40_79:
	v_mov_b32_e32 v2, 0
	s_cbranch_execz .LBB40_62
	s_branch .LBB40_63
	.section	.rodata,"a",@progbits
	.p2align	6, 0x0
	.amdhsa_kernel _ZN9rocsparseL26bsric0_2_8_unrolled_kernelILi1ELi32ELi1E21rocsparse_complex_numIfEEEv20rocsparse_direction_iiPKiS5_PT2_S5_PiS5_S8_21rocsparse_index_base_
		.amdhsa_group_segment_fixed_size 448
		.amdhsa_private_segment_fixed_size 0
		.amdhsa_kernarg_size 76
		.amdhsa_user_sgpr_count 6
		.amdhsa_user_sgpr_private_segment_buffer 1
		.amdhsa_user_sgpr_dispatch_ptr 0
		.amdhsa_user_sgpr_queue_ptr 0
		.amdhsa_user_sgpr_kernarg_segment_ptr 1
		.amdhsa_user_sgpr_dispatch_id 0
		.amdhsa_user_sgpr_flat_scratch_init 0
		.amdhsa_user_sgpr_kernarg_preload_length 0
		.amdhsa_user_sgpr_kernarg_preload_offset 0
		.amdhsa_user_sgpr_private_segment_size 0
		.amdhsa_uses_dynamic_stack 0
		.amdhsa_system_sgpr_private_segment_wavefront_offset 0
		.amdhsa_system_sgpr_workgroup_id_x 1
		.amdhsa_system_sgpr_workgroup_id_y 0
		.amdhsa_system_sgpr_workgroup_id_z 0
		.amdhsa_system_sgpr_workgroup_info 0
		.amdhsa_system_vgpr_workitem_id 0
		.amdhsa_next_free_vgpr 42
		.amdhsa_next_free_sgpr 42
		.amdhsa_accum_offset 44
		.amdhsa_reserve_vcc 1
		.amdhsa_reserve_flat_scratch 0
		.amdhsa_float_round_mode_32 0
		.amdhsa_float_round_mode_16_64 0
		.amdhsa_float_denorm_mode_32 3
		.amdhsa_float_denorm_mode_16_64 3
		.amdhsa_dx10_clamp 1
		.amdhsa_ieee_mode 1
		.amdhsa_fp16_overflow 0
		.amdhsa_tg_split 0
		.amdhsa_exception_fp_ieee_invalid_op 0
		.amdhsa_exception_fp_denorm_src 0
		.amdhsa_exception_fp_ieee_div_zero 0
		.amdhsa_exception_fp_ieee_overflow 0
		.amdhsa_exception_fp_ieee_underflow 0
		.amdhsa_exception_fp_ieee_inexact 0
		.amdhsa_exception_int_div_zero 0
	.end_amdhsa_kernel
	.section	.text._ZN9rocsparseL26bsric0_2_8_unrolled_kernelILi1ELi32ELi1E21rocsparse_complex_numIfEEEv20rocsparse_direction_iiPKiS5_PT2_S5_PiS5_S8_21rocsparse_index_base_,"axG",@progbits,_ZN9rocsparseL26bsric0_2_8_unrolled_kernelILi1ELi32ELi1E21rocsparse_complex_numIfEEEv20rocsparse_direction_iiPKiS5_PT2_S5_PiS5_S8_21rocsparse_index_base_,comdat
.Lfunc_end40:
	.size	_ZN9rocsparseL26bsric0_2_8_unrolled_kernelILi1ELi32ELi1E21rocsparse_complex_numIfEEEv20rocsparse_direction_iiPKiS5_PT2_S5_PiS5_S8_21rocsparse_index_base_, .Lfunc_end40-_ZN9rocsparseL26bsric0_2_8_unrolled_kernelILi1ELi32ELi1E21rocsparse_complex_numIfEEEv20rocsparse_direction_iiPKiS5_PT2_S5_PiS5_S8_21rocsparse_index_base_
                                        ; -- End function
	.section	.AMDGPU.csdata,"",@progbits
; Kernel info:
; codeLenInByte = 4148
; NumSgprs: 46
; NumVgprs: 42
; NumAgprs: 0
; TotalNumVgprs: 42
; ScratchSize: 0
; MemoryBound: 0
; FloatMode: 240
; IeeeMode: 1
; LDSByteSize: 448 bytes/workgroup (compile time only)
; SGPRBlocks: 5
; VGPRBlocks: 5
; NumSGPRsForWavesPerEU: 46
; NumVGPRsForWavesPerEU: 42
; AccumOffset: 44
; Occupancy: 8
; WaveLimiterHint : 1
; COMPUTE_PGM_RSRC2:SCRATCH_EN: 0
; COMPUTE_PGM_RSRC2:USER_SGPR: 6
; COMPUTE_PGM_RSRC2:TRAP_HANDLER: 0
; COMPUTE_PGM_RSRC2:TGID_X_EN: 1
; COMPUTE_PGM_RSRC2:TGID_Y_EN: 0
; COMPUTE_PGM_RSRC2:TGID_Z_EN: 0
; COMPUTE_PGM_RSRC2:TIDIG_COMP_CNT: 0
; COMPUTE_PGM_RSRC3_GFX90A:ACCUM_OFFSET: 10
; COMPUTE_PGM_RSRC3_GFX90A:TG_SPLIT: 0
	.section	.text._ZN9rocsparseL26bsric0_2_8_unrolled_kernelILi4ELi32ELi2E21rocsparse_complex_numIfEEEv20rocsparse_direction_iiPKiS5_PT2_S5_PiS5_S8_21rocsparse_index_base_,"axG",@progbits,_ZN9rocsparseL26bsric0_2_8_unrolled_kernelILi4ELi32ELi2E21rocsparse_complex_numIfEEEv20rocsparse_direction_iiPKiS5_PT2_S5_PiS5_S8_21rocsparse_index_base_,comdat
	.globl	_ZN9rocsparseL26bsric0_2_8_unrolled_kernelILi4ELi32ELi2E21rocsparse_complex_numIfEEEv20rocsparse_direction_iiPKiS5_PT2_S5_PiS5_S8_21rocsparse_index_base_ ; -- Begin function _ZN9rocsparseL26bsric0_2_8_unrolled_kernelILi4ELi32ELi2E21rocsparse_complex_numIfEEEv20rocsparse_direction_iiPKiS5_PT2_S5_PiS5_S8_21rocsparse_index_base_
	.p2align	8
	.type	_ZN9rocsparseL26bsric0_2_8_unrolled_kernelILi4ELi32ELi2E21rocsparse_complex_numIfEEEv20rocsparse_direction_iiPKiS5_PT2_S5_PiS5_S8_21rocsparse_index_base_,@function
_ZN9rocsparseL26bsric0_2_8_unrolled_kernelILi4ELi32ELi2E21rocsparse_complex_numIfEEEv20rocsparse_direction_iiPKiS5_PT2_S5_PiS5_S8_21rocsparse_index_base_: ; @_ZN9rocsparseL26bsric0_2_8_unrolled_kernelILi4ELi32ELi2E21rocsparse_complex_numIfEEEv20rocsparse_direction_iiPKiS5_PT2_S5_PiS5_S8_21rocsparse_index_base_
; %bb.0:
	s_load_dwordx8 s[8:15], s[4:5], 0x28
	s_mov_b32 s7, 0
	s_lshl_b64 s[0:1], s[6:7], 2
	v_and_b32_e32 v12, 0x3ff, v0
	v_bfe_u32 v13, v0, 10, 10
	s_waitcnt lgkmcnt(0)
	s_add_u32 s0, s12, s0
	s_addc_u32 s1, s13, s1
	s_load_dword s12, s[0:1], 0x0
	s_waitcnt lgkmcnt(0)
	s_ashr_i32 s13, s12, 31
	s_lshl_b64 s[6:7], s[12:13], 2
	s_add_u32 s0, s8, s6
	s_addc_u32 s1, s9, s7
	s_load_dword s30, s[0:1], 0x0
	s_load_dword s13, s[4:5], 0x48
	s_waitcnt lgkmcnt(0)
	s_cmp_lg_u32 s30, -1
	s_cbranch_scc0 .LBB41_16
; %bb.1:
	s_load_dwordx4 s[16:19], s[4:5], 0x10
	v_lshlrev_b32_e32 v15, 1, v13
	v_add_u32_e32 v14, v15, v12
	s_waitcnt lgkmcnt(0)
	s_add_u32 s0, s16, s6
	s_addc_u32 s1, s17, s7
	s_load_dword s24, s[0:1], 0x0
	s_waitcnt lgkmcnt(0)
	s_sub_i32 s31, s24, s13
	v_add_u32_e32 v0, s31, v14
	v_cmp_ge_i32_e32 vcc, s30, v0
	s_and_saveexec_b64 s[0:1], vcc
	s_cbranch_execz .LBB41_14
; %bb.2:
	v_add_u32_e32 v1, s24, v14
	v_subrev_u32_e32 v1, s13, v1
	v_add_u32_e32 v1, 4, v1
	s_add_i32 s2, s30, 1
	v_max_i32_e32 v1, s2, v1
	v_not_b32_e32 v2, v12
	v_add3_u32 v1, v1, s13, v2
	v_add_u32_e32 v2, s24, v15
	v_sub_u32_e32 v1, v1, v2
	v_cmp_lt_u32_e32 vcc, 3, v1
	s_mov_b64 s[20:21], -1
	s_and_saveexec_b64 s[2:3], vcc
	s_cbranch_execz .LBB41_11
; %bb.3:
	v_lshrrev_b32_e32 v16, 2, v1
	v_add_u32_e32 v2, -1, v16
	v_add_u32_e32 v1, 4, v0
	v_lshrrev_b32_e32 v3, 1, v2
	v_add_u32_e32 v17, 1, v3
	v_cmp_lt_u32_e32 vcc, 13, v2
	v_pk_mov_b32 v[2:3], v[0:1], v[0:1] op_sel:[0,1]
	s_and_saveexec_b64 s[20:21], vcc
	s_cbranch_execz .LBB41_7
; %bb.4:
	v_and_b32_e32 v18, -8, v17
	s_mov_b64 s[22:23], 0
	v_mov_b32_e32 v19, s19
	v_pk_mov_b32 v[2:3], v[0:1], v[0:1] op_sel:[0,1]
.LBB41_5:                               ; =>This Inner Loop Header: Depth=1
	v_ashrrev_i32_e32 v23, 31, v2
	v_mov_b32_e32 v22, v2
	v_lshlrev_b64 v[22:23], 2, v[22:23]
	v_ashrrev_i32_e32 v21, 31, v3
	v_mov_b32_e32 v20, v3
	v_add_co_u32_e32 v22, vcc, s18, v22
	v_add_u32_e32 v4, 8, v2
	v_lshlrev_b64 v[20:21], 2, v[20:21]
	v_addc_co_u32_e32 v23, vcc, v19, v23, vcc
	v_ashrrev_i32_e32 v5, 31, v4
	v_add_co_u32_e32 v20, vcc, s18, v20
	v_add_u32_e32 v6, 8, v3
	v_addc_co_u32_e32 v21, vcc, v19, v21, vcc
	v_lshlrev_b64 v[42:43], 2, v[4:5]
	v_ashrrev_i32_e32 v7, 31, v6
	v_add_co_u32_e32 v42, vcc, s18, v42
	v_add_u32_e32 v8, 16, v2
	v_lshlrev_b64 v[44:45], 2, v[6:7]
	v_addc_co_u32_e32 v43, vcc, v19, v43, vcc
	v_ashrrev_i32_e32 v9, 31, v8
	v_add_co_u32_e32 v44, vcc, s18, v44
	v_add_u32_e32 v10, 16, v3
	v_lshlrev_b64 v[46:47], 2, v[8:9]
	v_addc_co_u32_e32 v45, vcc, v19, v45, vcc
	;; [unrolled: 5-line block ×11, first 2 shown]
	v_ashrrev_i32_e32 v41, 31, v40
	v_add_co_u32_e32 v64, vcc, s18, v64
	v_addc_co_u32_e32 v65, vcc, v19, v65, vcc
	v_lshlrev_b64 v[66:67], 2, v[40:41]
	v_add_u32_e32 v68, 56, v3
	v_add_co_u32_e32 v66, vcc, s18, v66
	v_ashrrev_i32_e32 v69, 31, v68
	v_addc_co_u32_e32 v67, vcc, v19, v67, vcc
	v_lshlrev_b64 v[70:71], 2, v[68:69]
	v_add_co_u32_e32 v70, vcc, s18, v70
	v_addc_co_u32_e32 v71, vcc, v19, v71, vcc
	global_load_dword v1, v[20:21], off
	global_load_dword v5, v[22:23], off
	;; [unrolled: 1-line block ×15, first 2 shown]
                                        ; kill: killed $vgpr62 killed $vgpr63
                                        ; kill: killed $vgpr60 killed $vgpr61
                                        ; kill: killed $vgpr20 killed $vgpr21
                                        ; kill: killed $vgpr56 killed $vgpr57
                                        ; kill: killed $vgpr58 killed $vgpr59
                                        ; kill: killed $vgpr22 killed $vgpr23
                                        ; kill: killed $vgpr52 killed $vgpr53
                                        ; kill: killed $vgpr54 killed $vgpr55
                                        ; kill: killed $vgpr48 killed $vgpr49
                                        ; kill: killed $vgpr50 killed $vgpr51
                                        ; kill: killed $vgpr44 killed $vgpr45
                                        ; kill: killed $vgpr46 killed $vgpr47
                                        ; kill: killed $vgpr70 killed $vgpr71
                                        ; kill: killed $vgpr42 killed $vgpr43
                                        ; kill: killed $vgpr64 killed $vgpr65
	global_load_dword v20, v[66:67], off
	v_subrev_u32_e32 v22, s31, v2
	v_add_u32_e32 v18, -8, v18
	v_subrev_u32_e32 v21, s31, v3
	v_lshlrev_b32_e32 v22, 2, v22
	v_subrev_u32_e32 v4, s31, v4
	v_cmp_eq_u32_e32 vcc, 0, v18
	v_add_u32_e32 v3, 64, v3
	v_add_u32_e32 v2, 64, v2
	v_lshlrev_b32_e32 v21, 2, v21
	v_subrev_u32_e32 v6, s31, v6
	v_subrev_u32_e32 v10, s31, v10
	;; [unrolled: 1-line block ×13, first 2 shown]
	v_lshlrev_b32_e32 v4, 2, v4
	s_or_b64 s[22:23], vcc, s[22:23]
	v_lshlrev_b32_e32 v6, 2, v6
	v_lshlrev_b32_e32 v8, 2, v8
	;; [unrolled: 1-line block ×13, first 2 shown]
	s_waitcnt vmcnt(15)
	v_subrev_u32_e32 v1, s13, v1
	s_waitcnt vmcnt(14)
	v_subrev_u32_e32 v5, s13, v5
	ds_write_b32 v22, v5 offset:256
	ds_write_b32 v21, v1 offset:256
	s_waitcnt vmcnt(12)
	v_subrev_u32_e32 v5, s13, v9
	v_subrev_u32_e32 v1, s13, v7
	s_waitcnt vmcnt(11)
	v_subrev_u32_e32 v7, s13, v11
	s_waitcnt vmcnt(10)
	;; [unrolled: 2-line block ×12, first 2 shown]
	v_subrev_u32_e32 v20, s13, v20
	ds_write_b32 v4, v5 offset:256
	ds_write_b32 v6, v1 offset:256
	;; [unrolled: 1-line block ×14, first 2 shown]
	s_andn2_b64 exec, exec, s[22:23]
	s_cbranch_execnz .LBB41_5
; %bb.6:
	s_or_b64 exec, exec, s[22:23]
.LBB41_7:
	s_or_b64 exec, exec, s[20:21]
	v_and_b32_e32 v1, 7, v17
	v_cmp_ne_u32_e32 vcc, 0, v1
	s_and_saveexec_b64 s[20:21], vcc
	s_cbranch_execz .LBB41_10
; %bb.8:
	s_mov_b64 s[22:23], 0
	v_mov_b32_e32 v4, s19
.LBB41_9:                               ; =>This Inner Loop Header: Depth=1
	v_ashrrev_i32_e32 v9, 31, v2
	v_mov_b32_e32 v8, v2
	v_lshlrev_b64 v[8:9], 2, v[8:9]
	v_ashrrev_i32_e32 v7, 31, v3
	v_mov_b32_e32 v6, v3
	v_add_co_u32_e32 v8, vcc, s18, v8
	v_lshlrev_b64 v[6:7], 2, v[6:7]
	v_addc_co_u32_e32 v9, vcc, v4, v9, vcc
	v_add_co_u32_e32 v6, vcc, s18, v6
	v_addc_co_u32_e32 v7, vcc, v4, v7, vcc
	global_load_dword v5, v[6:7], off
	global_load_dword v10, v[8:9], off
	v_add_u32_e32 v1, -1, v1
	v_subrev_u32_e32 v7, s31, v2
	v_cmp_eq_u32_e32 vcc, 0, v1
	v_subrev_u32_e32 v6, s31, v3
	v_add_u32_e32 v3, 8, v3
	v_add_u32_e32 v2, 8, v2
	v_lshlrev_b32_e32 v7, 2, v7
	s_or_b64 s[22:23], vcc, s[22:23]
	v_lshlrev_b32_e32 v6, 2, v6
	s_waitcnt vmcnt(1)
	v_subrev_u32_e32 v5, s13, v5
	s_waitcnt vmcnt(0)
	v_subrev_u32_e32 v8, s13, v10
	ds_write_b32 v7, v8 offset:256
	ds_write_b32 v6, v5 offset:256
	s_andn2_b64 exec, exec, s[22:23]
	s_cbranch_execnz .LBB41_9
.LBB41_10:
	s_or_b64 exec, exec, s[20:21]
	v_add_u32_e32 v1, 1, v16
	v_and_b32_e32 v2, 0x7ffffffe, v1
	v_cmp_ne_u32_e32 vcc, v1, v2
	v_lshl_add_u32 v0, v2, 2, v0
	s_orn2_b64 s[20:21], vcc, exec
.LBB41_11:
	s_or_b64 exec, exec, s[2:3]
	s_and_b64 exec, exec, s[20:21]
	s_cbranch_execz .LBB41_14
; %bb.12:
	v_add_u32_e32 v1, s13, v0
	v_subrev_u32_e32 v1, s24, v1
	v_mov_b32_e32 v2, 0x100
	v_lshl_add_u32 v4, v1, 2, v2
	v_ashrrev_i32_e32 v1, 31, v0
	v_lshlrev_b64 v[2:3], 2, v[0:1]
	v_mov_b32_e32 v1, s19
	v_add_co_u32_e32 v2, vcc, s18, v2
	v_addc_co_u32_e32 v3, vcc, v1, v3, vcc
	s_mov_b64 s[2:3], 0
.LBB41_13:                              ; =>This Inner Loop Header: Depth=1
	global_load_dword v1, v[2:3], off
	v_add_co_u32_e32 v2, vcc, 16, v2
	v_add_u32_e32 v0, 4, v0
	v_addc_co_u32_e32 v3, vcc, 0, v3, vcc
	v_cmp_lt_i32_e32 vcc, s30, v0
	s_or_b64 s[2:3], vcc, s[2:3]
	s_waitcnt vmcnt(0)
	v_subrev_u32_e32 v1, s13, v1
	ds_write_b32 v4, v1
	v_add_u32_e32 v4, 16, v4
	s_andn2_b64 exec, exec, s[2:3]
	s_cbranch_execnz .LBB41_13
.LBB41_14:
	s_or_b64 exec, exec, s[0:1]
	s_load_dwordx2 s[20:21], s[4:5], 0x20
	v_lshlrev_b32_e32 v0, 3, v12
	v_mov_b32_e32 v2, 0
	v_mad_u32_u24 v10, v13, 24, v0
	v_mov_b32_e32 v3, v2
	s_cmp_lt_i32 s31, s30
	ds_write_b64 v10, v[2:3] offset:528
	s_waitcnt lgkmcnt(0)
	s_cbranch_scc1 .LBB41_17
; %bb.15:
	v_lshl_add_u32 v11, v12, 1, v13
	v_or_b32_e32 v8, v12, v13
	s_load_dword s33, s[4:5], 0x0
	v_add_u32_e32 v9, 0x210, v10
	s_cbranch_execz .LBB41_18
	s_branch .LBB41_63
.LBB41_16:
	s_mov_b64 s[0:1], 0
	s_cbranch_execnz .LBB41_92
	s_branch .LBB41_97
.LBB41_17:
                                        ; implicit-def: $vgpr11
                                        ; implicit-def: $vgpr8
	s_load_dword s33, s[4:5], 0x0
	v_add_u32_e32 v9, 0x210, v10
.LBB41_18:
	v_mul_u32_u24_e32 v2, 24, v13
	s_movk_i32 s0, 0x180
	s_waitcnt lgkmcnt(0)
	s_cmp_eq_u32 s33, 0
	v_lshlrev_b32_e32 v16, 1, v12
	v_mov_b32_e32 v1, 0x1e0
	v_add3_u32 v19, v2, v0, s0
	v_mov_b32_e32 v2, 0x1b0
	v_add_u32_e32 v11, v16, v13
	s_cselect_b64 vcc, -1, 0
	s_cmp_lg_u32 s33, 0
	v_mad_u32_u24 v17, v13, 24, v1
	v_mad_u32_u24 v22, v13, 24, v2
	v_or_b32_e32 v8, v12, v13
	s_cselect_b64 s[4:5], -1, 0
	v_add_u32_e32 v18, v17, v0
	v_add_u32_e32 v20, 2, v12
	;; [unrolled: 1-line block ×4, first 2 shown]
	v_cmp_ne_u32_e64 s[0:1], 0, v8
	v_mad_u32_u24 v24, v12, 24, v1
	v_cndmask_b32_e32 v25, v11, v14, vcc
	v_mov_b32_e32 v26, 0
	s_mov_b32 s22, s31
	s_branch .LBB41_22
.LBB41_19:                              ;   in Loop: Header=BB41_22 Depth=1
	s_or_b64 exec, exec, s[24:25]
	v_mov_b32_e32 v4, 1.0
	v_mov_b32_e32 v6, 0
.LBB41_20:                              ;   in Loop: Header=BB41_22 Depth=1
	s_or_b64 exec, exec, s[2:3]
	v_mul_f32_e32 v5, v6, v6
	v_fmac_f32_e32 v5, v4, v4
	v_div_scale_f32 v7, s[2:3], v5, v5, 1.0
	v_rcp_f32_e32 v27, v7
	v_div_scale_f32 v34, vcc, 1.0, v5, 1.0
	ds_read_b64 v[28:29], v17
	v_fma_f32 v30, -v7, v27, 1.0
	v_fmac_f32_e32 v27, v30, v27
	v_mul_f32_e32 v35, v34, v27
	v_fma_f32 v30, -v7, v35, v34
	v_fmac_f32_e32 v35, v30, v27
	ds_read_b64 v[30:31], v26 offset:408
	ds_read_b64 v[32:33], v22 offset:8
	v_fma_f32 v7, -v7, v35, v34
	v_div_fmas_f32 v7, v7, v27, v35
	v_div_fixup_f32 v34, v7, v5, 1.0
	s_add_i32 s22, s22, 1
	s_waitcnt lgkmcnt(0)
	v_pk_fma_f32 v[32:33], v[30:31], v[28:29], v[32:33] op_sel_hi:[1,0,1]
	v_pk_fma_f32 v[28:29], v[30:31], v[28:29], v[32:33] op_sel:[0,1,1] op_sel_hi:[1,1,0] neg_lo:[0,1,0]
	v_mov_b32_e32 v30, v3
	v_mov_b32_e32 v31, v2
	v_pk_add_f32 v[2:3], v[30:31], v[28:29] neg_lo:[0,1] neg_hi:[0,1]
	v_pk_mul_f32 v[6:7], v[6:7], v[2:3] op_sel:[0,1] op_sel_hi:[0,0] neg_lo:[0,1]
	v_pk_fma_f32 v[2:3], v[2:3], v[4:5], v[6:7] op_sel_hi:[1,0,1]
	v_pk_mul_f32 v[2:3], v[34:35], v[2:3] op_sel_hi:[0,1]
	v_mov_b32_e32 v4, v3
	v_mov_b32_e32 v5, v2
	ds_write_b64 v17, v[4:5] offset:8
	s_waitcnt lgkmcnt(0)
	ds_read_b64 v[4:5], v24 offset:8
	ds_read_b64 v[6:7], v9
	s_cmp_ge_i32 s22, s30
	s_cselect_b64 s[26:27], -1, 0
	s_waitcnt lgkmcnt(0)
	v_pk_fma_f32 v[6:7], v[2:3], v[4:5], v[6:7] op_sel:[1,0,0] op_sel_hi:[0,0,1]
	v_pk_fma_f32 v[2:3], v[2:3], v[4:5], v[6:7] op_sel:[0,1,0] neg_hi:[0,1,0]
	ds_write_b64 v9, v[2:3]
	s_waitcnt lgkmcnt(0)
	ds_read_b64 v[2:3], v18
	s_waitcnt lgkmcnt(0)
	global_store_dwordx2 v[0:1], v[2:3], off
	s_waitcnt vmcnt(0)
	buffer_wbinvl1_vol
.LBB41_21:                              ;   in Loop: Header=BB41_22 Depth=1
	s_and_b64 vcc, exec, s[26:27]
	s_cbranch_vccnz .LBB41_63
.LBB41_22:                              ; =>This Loop Header: Depth=1
                                        ;     Child Loop BB41_25 Depth 2
                                        ;     Child Loop BB41_36 Depth 2
                                        ;     Child Loop BB41_41 Depth 2
	s_ashr_i32 s23, s22, 31
	s_lshl_b64 s[2:3], s[22:23], 2
	s_add_u32 s2, s18, s2
	s_addc_u32 s3, s19, s3
	s_load_dword s23, s[2:3], 0x0
	s_waitcnt lgkmcnt(0)
	s_sub_i32 s24, s23, s13
	s_ashr_i32 s25, s24, 31
	s_lshl_b64 s[2:3], s[24:25], 2
	s_add_u32 s26, s8, s2
	s_addc_u32 s27, s9, s3
	s_load_dword s25, s[26:27], 0x0
	s_mov_b64 s[26:27], -1
	s_waitcnt lgkmcnt(0)
	s_cmp_eq_u32 s25, -1
	s_cbranch_scc1 .LBB41_21
; %bb.23:                               ;   in Loop: Header=BB41_22 Depth=1
	v_lshl_add_u32 v0, s22, 2, v25
	v_ashrrev_i32_e32 v1, 31, v0
	v_lshlrev_b64 v[0:1], 3, v[0:1]
	v_mov_b32_e32 v2, s21
	v_add_co_u32_e32 v0, vcc, s20, v0
	v_addc_co_u32_e32 v1, vcc, v2, v1, vcc
	global_load_dwordx2 v[2:3], v[0:1], off
	s_add_u32 s26, s16, s2
	s_addc_u32 s27, s17, s3
	s_load_dword s26, s[26:27], 0x0
	ds_read_b32 v4, v26 offset:256
	s_mov_b32 s27, 0
	s_waitcnt lgkmcnt(0)
	s_sub_i32 s26, s26, s13
	s_cmp_le_i32 s26, s25
	v_cmp_ge_i32_e32 vcc, s24, v4
	s_cselect_b64 s[28:29], -1, 0
	s_and_b64 s[28:29], s[28:29], vcc
	s_andn2_b64 vcc, exec, s[28:29]
	s_waitcnt vmcnt(0)
	ds_write_b64 v18, v[2:3]
	s_cbranch_vccnz .LBB41_35
; %bb.24:                               ;   in Loop: Header=BB41_22 Depth=1
	s_mov_b32 s34, 0
	s_mov_b32 s35, 0
.LBB41_25:                              ;   Parent Loop BB41_22 Depth=1
                                        ; =>  This Inner Loop Header: Depth=2
	s_ashr_i32 s27, s26, 31
	s_lshl_b64 s[28:29], s[26:27], 2
	s_add_u32 s28, s18, s28
	s_addc_u32 s29, s19, s29
	s_load_dword s27, s[28:29], 0x0
	s_lshl_b32 s28, s35, 2
	v_mov_b32_e32 v2, s28
	ds_read_b32 v2, v2 offset:256
	s_mov_b64 s[28:29], -1
	s_waitcnt lgkmcnt(0)
	s_sub_i32 s39, s27, s13
                                        ; implicit-def: $sgpr27
                                        ; implicit-def: $sgpr38
                                        ; implicit-def: $sgpr37
	v_cmp_ge_i32_e32 vcc, s39, v2
	v_readfirstlane_b32 s36, v2
	s_cbranch_vccz .LBB41_31
; %bb.26:                               ;   in Loop: Header=BB41_25 Depth=2
	s_cmp_le_i32 s39, s36
                                        ; implicit-def: $sgpr27
                                        ; implicit-def: $sgpr38
                                        ; implicit-def: $sgpr37
	s_cbranch_scc0 .LBB41_28
; %bb.27:                               ;   in Loop: Header=BB41_25 Depth=2
	s_add_i32 s27, s35, s31
	s_lshl_b32 s27, s27, 2
	s_lshl_b32 s28, s34, 2
	v_mov_b32_e32 v3, s27
	s_lshl_b32 s27, s26, 2
	v_mov_b32_e32 v2, s28
	v_mov_b32_e32 v4, s27
	ds_write2_b32 v2, v4, v3 offset1:32
	s_add_i32 s37, s35, 1
	s_add_i32 s38, s26, 1
	;; [unrolled: 1-line block ×3, first 2 shown]
	s_mov_b64 s[28:29], 0
.LBB41_28:                              ;   in Loop: Header=BB41_25 Depth=2
	s_andn2_b64 vcc, exec, s[28:29]
	s_cbranch_vccnz .LBB41_30
; %bb.29:                               ;   in Loop: Header=BB41_25 Depth=2
	s_add_i32 s37, s35, 1
	s_mov_b32 s27, s34
	s_mov_b32 s38, s26
.LBB41_30:                              ;   in Loop: Header=BB41_25 Depth=2
	s_mov_b64 s[28:29], 0
.LBB41_31:                              ;   in Loop: Header=BB41_25 Depth=2
	s_andn2_b64 vcc, exec, s[28:29]
	s_cbranch_vccnz .LBB41_33
; %bb.32:                               ;   in Loop: Header=BB41_25 Depth=2
	s_add_i32 s38, s26, 1
	s_mov_b32 s37, s35
	s_mov_b32 s27, s34
.LBB41_33:                              ;   in Loop: Header=BB41_25 Depth=2
	s_cmp_le_i32 s38, s25
	s_cselect_b64 s[28:29], -1, 0
	s_cmp_le_i32 s36, s24
	s_cselect_b64 s[34:35], -1, 0
	s_and_b64 s[28:29], s[28:29], s[34:35]
	s_and_b64 vcc, exec, s[28:29]
	s_cbranch_vccz .LBB41_35
; %bb.34:                               ;   in Loop: Header=BB41_25 Depth=2
	s_mov_b32 s34, s27
	s_mov_b32 s26, s38
	;; [unrolled: 1-line block ×3, first 2 shown]
	s_branch .LBB41_25
.LBB41_35:                              ;   in Loop: Header=BB41_22 Depth=1
	s_add_u32 s2, s10, s2
	s_addc_u32 s3, s11, s3
	s_waitcnt lgkmcnt(0)
.LBB41_36:                              ;   Parent Loop BB41_22 Depth=1
                                        ; =>  This Inner Loop Header: Depth=2
	global_load_dword v2, v26, s[2:3] glc
	s_waitcnt vmcnt(0)
	v_cmp_eq_u32_e32 vcc, 0, v2
	s_cbranch_vccnz .LBB41_36
; %bb.37:                               ;   in Loop: Header=BB41_22 Depth=1
	v_lshl_add_u32 v2, s25, 2, v25
	v_ashrrev_i32_e32 v3, 31, v2
	v_lshlrev_b64 v[2:3], 3, v[2:3]
	v_mov_b32_e32 v4, s21
	v_add_co_u32_e32 v2, vcc, s20, v2
	v_addc_co_u32_e32 v3, vcc, v4, v3, vcc
	buffer_wbinvl1_vol
	global_load_dwordx2 v[4:5], v[2:3], off
	s_mov_b32 s24, 0
	s_cmp_lt_i32 s27, 2
	v_mov_b32_e32 v3, 0
	v_mov_b32_e32 v2, 0
	s_waitcnt vmcnt(0)
	ds_write_b64 v19, v[4:5]
	s_waitcnt lgkmcnt(0)
	s_cbranch_scc1 .LBB41_56
; %bb.38:                               ;   in Loop: Header=BB41_22 Depth=1
	s_add_i32 s25, s27, -1
	s_cmp_eq_u32 s27, 2
	v_mov_b32_e32 v3, 0
	s_cbranch_scc1 .LBB41_49
; %bb.39:                               ;   in Loop: Header=BB41_22 Depth=1
	s_and_b32 s24, s25, -2
	s_mov_b32 s26, 0
	s_mov_b32 s27, 0
	v_mov_b32_e32 v2, 0
	v_mov_b32_e32 v3, 0
	s_branch .LBB41_41
.LBB41_40:                              ;   in Loop: Header=BB41_41 Depth=2
	s_add_i32 s27, s27, 2
	s_add_i32 s26, s26, 8
	s_cmp_eq_u32 s24, s27
	s_cbranch_scc1 .LBB41_50
.LBB41_41:                              ;   Parent Loop BB41_22 Depth=1
                                        ; =>  This Inner Loop Header: Depth=2
	v_mov_b32_e32 v4, s26
	s_waitcnt lgkmcnt(0)
	ds_read2_b32 v[6:7], v4 offset1:32
	s_and_b64 vcc, exec, s[4:5]
	s_cbranch_vccz .LBB41_43
; %bb.42:                               ;   in Loop: Header=BB41_41 Depth=2
	s_waitcnt lgkmcnt(0)
	v_add_u32_e32 v4, v6, v12
	v_ashrrev_i32_e32 v5, 31, v4
	v_lshlrev_b64 v[4:5], 3, v[4:5]
	v_add_u32_e32 v28, v7, v13
	v_mov_b32_e32 v27, s21
	v_add_co_u32_e32 v4, vcc, s20, v4
	v_ashrrev_i32_e32 v29, 31, v28
	v_addc_co_u32_e32 v5, vcc, v27, v5, vcc
	v_lshlrev_b64 v[28:29], 3, v[28:29]
	v_add_u32_e32 v30, v20, v6
	v_add_co_u32_e32 v28, vcc, s20, v28
	v_ashrrev_i32_e32 v31, 31, v30
	v_addc_co_u32_e32 v29, vcc, v27, v29, vcc
	v_lshlrev_b64 v[30:31], 3, v[30:31]
	v_add_u32_e32 v32, v21, v7
	v_add_co_u32_e32 v30, vcc, s20, v30
	v_ashrrev_i32_e32 v33, 31, v32
	v_addc_co_u32_e32 v31, vcc, v27, v31, vcc
	v_lshlrev_b64 v[32:33], 3, v[32:33]
	global_load_dwordx2 v[34:35], v[30:31], off
	global_load_dwordx2 v[36:37], v[28:29], off
	;; [unrolled: 1-line block ×3, first 2 shown]
	v_add_co_u32_e32 v4, vcc, s20, v32
	v_addc_co_u32_e32 v5, vcc, v27, v33, vcc
	global_load_dwordx2 v[4:5], v[4:5], off
	s_waitcnt vmcnt(1)
	v_pk_fma_f32 v[28:29], v[38:39], v[36:37], v[2:3] op_sel_hi:[1,0,1]
	v_pk_fma_f32 v[28:29], v[38:39], v[36:37], v[28:29] op_sel:[1,1,0] op_sel_hi:[0,1,1] neg_hi:[0,1,0]
	s_waitcnt vmcnt(0)
	v_pk_fma_f32 v[28:29], v[34:35], v[4:5], v[28:29] op_sel_hi:[1,0,1]
	v_pk_fma_f32 v[4:5], v[34:35], v[4:5], v[28:29] op_sel:[1,1,0] op_sel_hi:[0,1,1] neg_hi:[0,1,0]
	s_cbranch_execz .LBB41_44
	s_branch .LBB41_45
.LBB41_43:                              ;   in Loop: Header=BB41_41 Depth=2
                                        ; implicit-def: $vgpr4_vgpr5
.LBB41_44:                              ;   in Loop: Header=BB41_41 Depth=2
	s_waitcnt lgkmcnt(0)
	v_add_u32_e32 v4, v6, v16
	v_ashrrev_i32_e32 v5, 31, v4
	v_lshlrev_b64 v[4:5], 3, v[4:5]
	v_mov_b32_e32 v6, s21
	v_add_co_u32_e32 v32, vcc, s20, v4
	v_add_u32_e32 v4, v7, v15
	v_addc_co_u32_e32 v33, vcc, v6, v5, vcc
	v_ashrrev_i32_e32 v5, 31, v4
	v_lshlrev_b64 v[4:5], 3, v[4:5]
	v_add_co_u32_e32 v34, vcc, s20, v4
	v_addc_co_u32_e32 v35, vcc, v6, v5, vcc
	global_load_dwordx4 v[4:7], v[34:35], off
	global_load_dwordx4 v[28:31], v[32:33], off
	s_waitcnt vmcnt(0)
	v_pk_fma_f32 v[2:3], v[28:29], v[4:5], v[2:3] op_sel_hi:[1,0,1]
	v_pk_fma_f32 v[2:3], v[28:29], v[4:5], v[2:3] op_sel:[1,1,0] op_sel_hi:[0,1,1] neg_hi:[0,1,0]
	v_mov_b32_e32 v32, v31
	v_mov_b32_e32 v33, v30
	v_pk_fma_f32 v[2:3], v[30:31], v[6:7], v[2:3] op_sel_hi:[1,0,1]
	v_mov_b32_e32 v4, v7
	v_pk_fma_f32 v[4:5], v[32:33], v[4:5], v[2:3] op_sel_hi:[1,0,1] neg_hi:[0,1,0]
.LBB41_45:                              ;   in Loop: Header=BB41_41 Depth=2
	v_mov_b32_e32 v2, s26
	s_waitcnt lgkmcnt(0)
	ds_read2_b32 v[6:7], v2 offset0:1 offset1:33
	s_andn2_b64 vcc, exec, s[4:5]
	s_cbranch_vccnz .LBB41_47
; %bb.46:                               ;   in Loop: Header=BB41_41 Depth=2
	s_waitcnt lgkmcnt(0)
	v_add_u32_e32 v2, v6, v12
	v_ashrrev_i32_e32 v3, 31, v2
	v_lshlrev_b64 v[2:3], 3, v[2:3]
	v_add_u32_e32 v28, v7, v13
	v_mov_b32_e32 v27, s21
	v_add_co_u32_e32 v2, vcc, s20, v2
	v_ashrrev_i32_e32 v29, 31, v28
	v_addc_co_u32_e32 v3, vcc, v27, v3, vcc
	v_lshlrev_b64 v[28:29], 3, v[28:29]
	v_add_u32_e32 v30, v20, v6
	v_add_co_u32_e32 v28, vcc, s20, v28
	v_ashrrev_i32_e32 v31, 31, v30
	v_addc_co_u32_e32 v29, vcc, v27, v29, vcc
	v_lshlrev_b64 v[30:31], 3, v[30:31]
	v_add_u32_e32 v32, v21, v7
	v_add_co_u32_e32 v30, vcc, s20, v30
	v_ashrrev_i32_e32 v33, 31, v32
	v_addc_co_u32_e32 v31, vcc, v27, v31, vcc
	v_lshlrev_b64 v[32:33], 3, v[32:33]
	global_load_dwordx2 v[34:35], v[30:31], off
	global_load_dwordx2 v[36:37], v[28:29], off
	;; [unrolled: 1-line block ×3, first 2 shown]
	v_add_co_u32_e32 v2, vcc, s20, v32
	v_addc_co_u32_e32 v3, vcc, v27, v33, vcc
	global_load_dwordx2 v[2:3], v[2:3], off
	s_waitcnt vmcnt(1)
	v_pk_fma_f32 v[28:29], v[38:39], v[36:37], v[4:5] op_sel_hi:[1,0,1]
	v_pk_fma_f32 v[28:29], v[38:39], v[36:37], v[28:29] op_sel:[1,1,0] op_sel_hi:[0,1,1] neg_hi:[0,1,0]
	s_waitcnt vmcnt(0)
	v_pk_fma_f32 v[28:29], v[34:35], v[2:3], v[28:29] op_sel_hi:[1,0,1]
	v_pk_fma_f32 v[2:3], v[34:35], v[2:3], v[28:29] op_sel:[1,1,0] op_sel_hi:[0,1,1] neg_hi:[0,1,0]
	s_cbranch_execnz .LBB41_40
	s_branch .LBB41_48
.LBB41_47:                              ;   in Loop: Header=BB41_41 Depth=2
                                        ; implicit-def: $vgpr3
.LBB41_48:                              ;   in Loop: Header=BB41_41 Depth=2
	s_waitcnt lgkmcnt(0)
	v_add_u32_e32 v2, v6, v16
	v_ashrrev_i32_e32 v3, 31, v2
	v_lshlrev_b64 v[2:3], 3, v[2:3]
	v_add_u32_e32 v6, v7, v15
	v_mov_b32_e32 v27, s21
	v_add_co_u32_e32 v2, vcc, s20, v2
	v_ashrrev_i32_e32 v7, 31, v6
	v_addc_co_u32_e32 v3, vcc, v27, v3, vcc
	v_lshlrev_b64 v[6:7], 3, v[6:7]
	v_add_co_u32_e32 v6, vcc, s20, v6
	v_addc_co_u32_e32 v7, vcc, v27, v7, vcc
	global_load_dwordx4 v[28:31], v[6:7], off
	global_load_dwordx4 v[32:35], v[2:3], off
	s_waitcnt vmcnt(1)
	v_mov_b32_e32 v6, v31
	s_waitcnt vmcnt(0)
	v_pk_fma_f32 v[2:3], v[32:33], v[28:29], v[4:5] op_sel_hi:[1,0,1]
	v_pk_fma_f32 v[2:3], v[32:33], v[28:29], v[2:3] op_sel:[1,1,0] op_sel_hi:[0,1,1] neg_hi:[0,1,0]
	v_mov_b32_e32 v4, v35
	v_mov_b32_e32 v5, v34
	v_pk_fma_f32 v[2:3], v[34:35], v[30:31], v[2:3] op_sel_hi:[1,0,1]
	v_pk_fma_f32 v[2:3], v[4:5], v[6:7], v[2:3] op_sel_hi:[1,0,1] neg_hi:[0,1,0]
	s_branch .LBB41_40
.LBB41_49:                              ;   in Loop: Header=BB41_22 Depth=1
	v_mov_b32_e32 v2, v3
.LBB41_50:                              ;   in Loop: Header=BB41_22 Depth=1
	s_bitcmp0_b32 s25, 0
	s_cbranch_scc1 .LBB41_56
; %bb.51:                               ;   in Loop: Header=BB41_22 Depth=1
	s_lshl_b32 s2, s24, 2
	v_mov_b32_e32 v4, s2
	ds_read2_b32 v[4:5], v4 offset1:32
	s_andn2_b64 vcc, exec, s[4:5]
	s_cbranch_vccnz .LBB41_53
; %bb.52:                               ;   in Loop: Header=BB41_22 Depth=1
	s_waitcnt lgkmcnt(0)
	v_add_u32_e32 v6, v4, v12
	v_ashrrev_i32_e32 v7, 31, v6
	v_lshlrev_b64 v[6:7], 3, v[6:7]
	v_add_u32_e32 v28, v5, v13
	v_mov_b32_e32 v27, s21
	v_add_co_u32_e32 v6, vcc, s20, v6
	v_ashrrev_i32_e32 v29, 31, v28
	v_addc_co_u32_e32 v7, vcc, v27, v7, vcc
	v_lshlrev_b64 v[28:29], 3, v[28:29]
	v_add_u32_e32 v30, v20, v4
	v_add_co_u32_e32 v28, vcc, s20, v28
	v_ashrrev_i32_e32 v31, 31, v30
	v_addc_co_u32_e32 v29, vcc, v27, v29, vcc
	v_lshlrev_b64 v[30:31], 3, v[30:31]
	v_add_u32_e32 v32, v21, v5
	v_add_co_u32_e32 v30, vcc, s20, v30
	v_ashrrev_i32_e32 v33, 31, v32
	v_addc_co_u32_e32 v31, vcc, v27, v31, vcc
	v_lshlrev_b64 v[32:33], 3, v[32:33]
	global_load_dwordx2 v[34:35], v[30:31], off
	global_load_dwordx2 v[36:37], v[28:29], off
	;; [unrolled: 1-line block ×3, first 2 shown]
	v_add_co_u32_e32 v6, vcc, s20, v32
	v_addc_co_u32_e32 v7, vcc, v27, v33, vcc
	global_load_dwordx2 v[6:7], v[6:7], off
	s_waitcnt vmcnt(1)
	v_pk_fma_f32 v[28:29], v[38:39], v[36:37], v[2:3] op_sel_hi:[1,0,1]
	v_pk_fma_f32 v[28:29], v[38:39], v[36:37], v[28:29] op_sel:[1,1,0] op_sel_hi:[0,1,1] neg_hi:[0,1,0]
	s_waitcnt vmcnt(0)
	v_pk_fma_f32 v[28:29], v[34:35], v[6:7], v[28:29] op_sel_hi:[1,0,1]
	v_pk_fma_f32 v[6:7], v[34:35], v[6:7], v[28:29] op_sel:[1,1,0] op_sel_hi:[0,1,1] neg_hi:[0,1,0]
	s_cbranch_execz .LBB41_54
	s_branch .LBB41_55
.LBB41_53:                              ;   in Loop: Header=BB41_22 Depth=1
                                        ; implicit-def: $vgpr7
.LBB41_54:                              ;   in Loop: Header=BB41_22 Depth=1
	s_waitcnt lgkmcnt(0)
	v_add_u32_e32 v6, v4, v16
	v_ashrrev_i32_e32 v7, 31, v6
	v_lshlrev_b64 v[6:7], 3, v[6:7]
	v_add_u32_e32 v4, v5, v15
	v_mov_b32_e32 v27, s21
	v_add_co_u32_e32 v32, vcc, s20, v6
	v_ashrrev_i32_e32 v5, 31, v4
	v_addc_co_u32_e32 v33, vcc, v27, v7, vcc
	v_lshlrev_b64 v[4:5], 3, v[4:5]
	v_add_co_u32_e32 v34, vcc, s20, v4
	v_addc_co_u32_e32 v35, vcc, v27, v5, vcc
	global_load_dwordx4 v[4:7], v[34:35], off
	global_load_dwordx4 v[28:31], v[32:33], off
	s_waitcnt vmcnt(0)
	v_pk_fma_f32 v[2:3], v[28:29], v[4:5], v[2:3] op_sel_hi:[1,0,1]
	v_pk_fma_f32 v[2:3], v[28:29], v[4:5], v[2:3] op_sel:[1,1,0] op_sel_hi:[0,1,1] neg_hi:[0,1,0]
	v_mov_b32_e32 v32, v31
	v_mov_b32_e32 v33, v30
	v_pk_fma_f32 v[2:3], v[30:31], v[6:7], v[2:3] op_sel_hi:[1,0,1]
	v_mov_b32_e32 v4, v7
	v_pk_fma_f32 v[6:7], v[32:33], v[4:5], v[2:3] op_sel_hi:[1,0,1] neg_hi:[0,1,0]
.LBB41_55:                              ;   in Loop: Header=BB41_22 Depth=1
	s_waitcnt lgkmcnt(1)
	v_mov_b32_e32 v3, v7
	v_mov_b32_e32 v2, v6
.LBB41_56:                              ;   in Loop: Header=BB41_22 Depth=1
	ds_write_b64 v23, v[2:3]
	s_waitcnt lgkmcnt(0)
	ds_read_b64 v[4:5], v26 offset:384
	ds_read_b64 v[2:3], v17
	s_waitcnt lgkmcnt(1)
	v_cmp_neq_f32_e32 vcc, 0, v4
	v_cmp_neq_f32_e64 s[2:3], 0, v5
	s_or_b64 vcc, vcc, s[2:3]
	s_or_b64 s[2:3], vcc, s[0:1]
	v_cndmask_b32_e32 v4, 1.0, v4, vcc
	s_xor_b64 s[24:25], s[2:3], -1
	v_cndmask_b32_e32 v6, 0, v5, vcc
	s_and_saveexec_b64 s[2:3], s[24:25]
	s_cbranch_execz .LBB41_60
; %bb.57:                               ;   in Loop: Header=BB41_22 Depth=1
	v_mbcnt_lo_u32_b32 v4, exec_lo, 0
	v_mbcnt_hi_u32_b32 v4, exec_hi, v4
	v_cmp_eq_u32_e32 vcc, 0, v4
	s_and_saveexec_b64 s[24:25], vcc
	s_cbranch_execz .LBB41_59
; %bb.58:                               ;   in Loop: Header=BB41_22 Depth=1
	v_mov_b32_e32 v4, s23
	global_atomic_smin v26, v4, s[14:15]
.LBB41_59:                              ;   in Loop: Header=BB41_22 Depth=1
	s_or_b64 exec, exec, s[24:25]
	v_mov_b32_e32 v4, 1.0
	v_mov_b32_e32 v6, 0
.LBB41_60:                              ;   in Loop: Header=BB41_22 Depth=1
	s_or_b64 exec, exec, s[2:3]
	v_mul_f32_e32 v5, v6, v6
	v_fmac_f32_e32 v5, v4, v4
	v_div_scale_f32 v7, s[2:3], v5, v5, 1.0
	v_rcp_f32_e32 v27, v7
	v_div_scale_f32 v28, vcc, 1.0, v5, 1.0
	s_waitcnt lgkmcnt(0)
	v_mov_b32_e32 v32, v3
	v_fma_f32 v29, -v7, v27, 1.0
	v_fmac_f32_e32 v27, v29, v27
	v_mul_f32_e32 v30, v28, v27
	v_fma_f32 v29, -v7, v30, v28
	v_fmac_f32_e32 v30, v29, v27
	v_fma_f32 v7, -v7, v30, v28
	ds_read_b64 v[28:29], v22
	v_mov_b32_e32 v33, v2
	v_div_fmas_f32 v7, v7, v27, v30
	v_div_fixup_f32 v30, v7, v5, 1.0
	s_waitcnt lgkmcnt(0)
	v_pk_add_f32 v[2:3], v[32:33], v[28:29] op_sel:[0,1] op_sel_hi:[1,0] neg_lo:[0,1] neg_hi:[0,1]
	v_pk_mul_f32 v[6:7], v[6:7], v[2:3] op_sel:[0,1] op_sel_hi:[0,0] neg_lo:[0,1]
	v_pk_fma_f32 v[2:3], v[2:3], v[4:5], v[6:7] op_sel_hi:[1,0,1]
	v_pk_mul_f32 v[2:3], v[30:31], v[2:3] op_sel_hi:[0,1]
	v_mov_b32_e32 v4, v3
	v_mov_b32_e32 v5, v2
	ds_write_b64 v17, v[4:5]
	s_waitcnt lgkmcnt(0)
	ds_read_b64 v[4:5], v24
	ds_read_b64 v[6:7], v9
	s_waitcnt lgkmcnt(0)
	v_pk_fma_f32 v[6:7], v[2:3], v[4:5], v[6:7] op_sel:[1,0,0] op_sel_hi:[0,0,1]
	v_pk_fma_f32 v[2:3], v[2:3], v[4:5], v[6:7] op_sel:[0,1,0] neg_hi:[0,1,0]
	ds_write_b64 v9, v[2:3]
	s_waitcnt lgkmcnt(0)
	ds_read_b64 v[4:5], v26 offset:416
	ds_read_b64 v[2:3], v17 offset:8
	s_waitcnt lgkmcnt(1)
	v_cmp_neq_f32_e32 vcc, 0, v4
	v_cmp_neq_f32_e64 s[2:3], 0, v5
	s_or_b64 vcc, vcc, s[2:3]
	s_or_b64 s[2:3], vcc, s[0:1]
	v_cndmask_b32_e32 v4, 1.0, v4, vcc
	s_xor_b64 s[24:25], s[2:3], -1
	v_cndmask_b32_e32 v6, 0, v5, vcc
	s_and_saveexec_b64 s[2:3], s[24:25]
	s_cbranch_execz .LBB41_20
; %bb.61:                               ;   in Loop: Header=BB41_22 Depth=1
	v_mbcnt_lo_u32_b32 v4, exec_lo, 0
	v_mbcnt_hi_u32_b32 v4, exec_hi, v4
	v_cmp_eq_u32_e32 vcc, 0, v4
	s_and_saveexec_b64 s[24:25], vcc
	s_cbranch_execz .LBB41_19
; %bb.62:                               ;   in Loop: Header=BB41_22 Depth=1
	v_mov_b32_e32 v4, s23
	global_atomic_smin v26, v4, s[14:15]
	s_branch .LBB41_19
.LBB41_63:
	s_waitcnt lgkmcnt(0)
	s_cmp_eq_u32 s33, 0
	s_cselect_b64 vcc, -1, 0
	v_cndmask_b32_e32 v0, v11, v14, vcc
	v_lshl_add_u32 v0, s30, 2, v0
	v_ashrrev_i32_e32 v1, 31, v0
	v_lshlrev_b64 v[0:1], 3, v[0:1]
	v_mov_b32_e32 v2, s21
	v_add_co_u32_e32 v0, vcc, s20, v0
	v_addc_co_u32_e32 v1, vcc, v2, v1, vcc
	global_load_dwordx2 v[2:3], v[0:1], off
	v_cmp_ne_u32_e64 s[2:3], 0, v13
	v_cmp_eq_u32_e32 vcc, 0, v13
	s_waitcnt vmcnt(0)
	ds_write_b64 v10, v[2:3] offset:480
	s_waitcnt lgkmcnt(0)
	s_and_saveexec_b64 s[4:5], vcc
	s_cbranch_execz .LBB41_71
; %bb.64:
	v_mov_b32_e32 v4, 0
	ds_read2_b64 v[14:17], v4 offset0:60 offset1:66
	s_waitcnt lgkmcnt(0)
	v_sub_f32_e32 v2, v14, v16
	v_sub_f32_e32 v5, v15, v17
	v_cmp_gt_f32_e32 vcc, 0, v2
	v_cndmask_b32_e64 v2, v2, -v2, vcc
	v_cmp_gt_f32_e32 vcc, 0, v5
	v_cndmask_b32_e64 v3, v5, -v5, vcc
	v_cmp_ngt_f32_e32 vcc, v2, v3
	s_cbranch_vccz .LBB41_68
; %bb.65:
	v_cmp_eq_f32_e32 vcc, 0, v5
	s_cbranch_vccnz .LBB41_67
; %bb.66:
	v_div_scale_f32 v4, s[0:1], v3, v3, v2
	v_rcp_f32_e32 v5, v4
	v_div_scale_f32 v6, vcc, v2, v3, v2
	s_mov_b32 s0, 0xf800000
	v_fma_f32 v7, -v4, v5, 1.0
	v_fmac_f32_e32 v5, v7, v5
	v_mul_f32_e32 v7, v6, v5
	v_fma_f32 v11, -v4, v7, v6
	v_fmac_f32_e32 v7, v11, v5
	v_fma_f32 v4, -v4, v7, v6
	v_div_fmas_f32 v4, v4, v5, v7
	v_div_fixup_f32 v4, v4, v3, v2
	v_fma_f32 v4, v4, v4, 1.0
	v_mul_f32_e32 v5, 0x4f800000, v4
	v_cmp_gt_f32_e32 vcc, s0, v4
	v_cndmask_b32_e32 v4, v4, v5, vcc
	v_sqrt_f32_e32 v5, v4
	v_add_u32_e32 v6, -1, v5
	v_fma_f32 v7, -v6, v5, v4
	v_cmp_ge_f32_e64 s[0:1], 0, v7
	v_add_u32_e32 v7, 1, v5
	v_cndmask_b32_e64 v6, v5, v6, s[0:1]
	v_fma_f32 v5, -v7, v5, v4
	v_cmp_lt_f32_e64 s[0:1], 0, v5
	v_cndmask_b32_e64 v5, v6, v7, s[0:1]
	v_mul_f32_e32 v6, 0x37800000, v5
	v_cndmask_b32_e32 v5, v5, v6, vcc
	v_mov_b32_e32 v6, 0x260
	v_cmp_class_f32_e32 vcc, v4, v6
	v_cndmask_b32_e32 v4, v5, v4, vcc
	v_mul_f32_e32 v4, v3, v4
.LBB41_67:
	s_cbranch_execz .LBB41_69
	s_branch .LBB41_70
.LBB41_68:
                                        ; implicit-def: $vgpr4
.LBB41_69:
	v_div_scale_f32 v4, s[0:1], v2, v2, v3
	v_rcp_f32_e32 v5, v4
	v_div_scale_f32 v6, vcc, v3, v2, v3
	s_mov_b32 s0, 0xf800000
	v_fma_f32 v7, -v4, v5, 1.0
	v_fmac_f32_e32 v5, v7, v5
	v_mul_f32_e32 v7, v6, v5
	v_fma_f32 v11, -v4, v7, v6
	v_fmac_f32_e32 v7, v11, v5
	v_fma_f32 v4, -v4, v7, v6
	v_div_fmas_f32 v4, v4, v5, v7
	v_div_fixup_f32 v3, v4, v2, v3
	v_fma_f32 v3, v3, v3, 1.0
	v_mul_f32_e32 v4, 0x4f800000, v3
	v_cmp_gt_f32_e32 vcc, s0, v3
	v_cndmask_b32_e32 v3, v3, v4, vcc
	v_sqrt_f32_e32 v4, v3
	v_add_u32_e32 v5, -1, v4
	v_fma_f32 v6, -v5, v4, v3
	v_cmp_ge_f32_e64 s[0:1], 0, v6
	v_add_u32_e32 v6, 1, v4
	v_cndmask_b32_e64 v5, v4, v5, s[0:1]
	v_fma_f32 v4, -v6, v4, v3
	v_cmp_lt_f32_e64 s[0:1], 0, v4
	v_cndmask_b32_e64 v4, v5, v6, s[0:1]
	v_mul_f32_e32 v5, 0x37800000, v4
	v_cndmask_b32_e32 v4, v4, v5, vcc
	v_mov_b32_e32 v5, 0x260
	v_cmp_class_f32_e32 vcc, v3, v5
	v_cndmask_b32_e32 v3, v4, v3, vcc
	v_mul_f32_e32 v4, v2, v3
.LBB41_70:
	s_mov_b32 s0, 0xf800000
	v_mul_f32_e32 v2, 0x4f800000, v4
	v_cmp_gt_f32_e32 vcc, s0, v4
	v_cndmask_b32_e32 v2, v4, v2, vcc
	v_sqrt_f32_e32 v3, v2
	v_add_u32_e32 v4, -1, v3
	v_fma_f32 v5, -v4, v3, v2
	v_cmp_ge_f32_e64 s[0:1], 0, v5
	v_add_u32_e32 v5, 1, v3
	v_cndmask_b32_e64 v4, v3, v4, s[0:1]
	v_fma_f32 v3, -v5, v3, v2
	v_cmp_lt_f32_e64 s[0:1], 0, v3
	v_cndmask_b32_e64 v3, v4, v5, s[0:1]
	v_mul_f32_e32 v4, 0x37800000, v3
	v_cndmask_b32_e32 v3, v3, v4, vcc
	v_mov_b32_e32 v4, 0x260
	v_cmp_class_f32_e32 vcc, v2, v4
	v_cndmask_b32_e32 v2, v3, v2, vcc
	v_mov_b32_e32 v3, 0
	ds_write_b64 v3, v[2:3] offset:480
.LBB41_71:
	s_or_b64 exec, exec, s[4:5]
	v_mov_b32_e32 v2, 0
	s_waitcnt lgkmcnt(0)
	ds_read_b64 v[4:5], v2 offset:480
	v_cmp_ne_u32_e64 s[0:1], 0, v8
	v_add_u32_e32 v3, 0x1e0, v10
	s_add_i32 s16, s12, s13
	s_waitcnt lgkmcnt(0)
	v_cmp_neq_f32_e32 vcc, 0, v4
	v_cmp_neq_f32_e64 s[4:5], 0, v5
	s_or_b64 vcc, vcc, s[4:5]
	s_or_b64 s[4:5], vcc, s[0:1]
	v_cndmask_b32_e32 v2, 1.0, v4, vcc
	s_xor_b64 s[8:9], s[4:5], -1
	v_cndmask_b32_e32 v4, 0, v5, vcc
	s_and_saveexec_b64 s[4:5], s[8:9]
	s_cbranch_execz .LBB41_75
; %bb.72:
	v_mbcnt_lo_u32_b32 v2, exec_lo, 0
	v_mbcnt_hi_u32_b32 v2, exec_hi, v2
	v_cmp_eq_u32_e32 vcc, 0, v2
	s_and_saveexec_b64 s[8:9], vcc
	s_cbranch_execz .LBB41_74
; %bb.73:
	v_mov_b32_e32 v2, 0
	v_mov_b32_e32 v4, s16
	global_atomic_smin v2, v4, s[14:15]
.LBB41_74:
	s_or_b64 exec, exec, s[8:9]
	v_mov_b32_e32 v2, 1.0
	v_mov_b32_e32 v4, 0
.LBB41_75:
	s_or_b64 exec, exec, s[4:5]
	s_and_saveexec_b64 s[4:5], s[2:3]
	s_cbranch_execz .LBB41_77
; %bb.76:
	v_mul_f32_e32 v5, v4, v4
	v_fmac_f32_e32 v5, v2, v2
	v_div_scale_f32 v6, s[2:3], v5, v5, 1.0
	v_rcp_f32_e32 v7, v6
	v_mul_u32_u24_e32 v18, 24, v13
	v_mul_u32_u24_e32 v19, 24, v12
	v_fma_f32 v10, -v6, v7, 1.0
	v_fmac_f32_e32 v7, v10, v7
	v_div_scale_f32 v10, vcc, 1.0, v5, 1.0
	v_mul_f32_e32 v11, v10, v7
	v_fma_f32 v14, -v6, v11, v10
	v_fmac_f32_e32 v11, v14, v7
	ds_read2_b64 v[14:17], v18 offset0:60 offset1:66
	v_fma_f32 v6, -v6, v11, v10
	v_div_fmas_f32 v6, v6, v7, v11
	v_div_fixup_f32 v6, v6, v5, 1.0
	s_waitcnt lgkmcnt(0)
	v_pk_add_f32 v[10:11], v[14:15], v[16:17] op_sel:[1,1] op_sel_hi:[0,0] neg_lo:[0,1] neg_hi:[0,1]
	v_pk_mul_f32 v[4:5], v[4:5], v[10:11] op_sel:[0,1] op_sel_hi:[0,0] neg_lo:[0,1]
	v_pk_fma_f32 v[4:5], v[10:11], v[2:3], v[4:5] op_sel_hi:[1,0,1]
	v_pk_mul_f32 v[4:5], v[6:7], v[4:5] op_sel_hi:[0,1]
	v_mov_b32_e32 v6, v5
	v_mov_b32_e32 v7, v4
	ds_write_b64 v18, v[6:7] offset:480
	s_waitcnt lgkmcnt(0)
	ds_read_b64 v[6:7], v19 offset:480
	ds_read_b64 v[10:11], v9
	s_waitcnt lgkmcnt(0)
	v_pk_fma_f32 v[10:11], v[4:5], v[6:7], v[10:11] op_sel:[1,0,0] op_sel_hi:[0,0,1]
	v_pk_fma_f32 v[4:5], v[4:5], v[6:7], v[10:11] op_sel:[0,1,0] neg_hi:[0,1,0]
	ds_write_b64 v9, v[4:5]
.LBB41_77:
	s_or_b64 exec, exec, s[4:5]
	v_cmp_eq_u32_e32 vcc, 1, v13
	s_waitcnt lgkmcnt(0)
	s_and_saveexec_b64 s[4:5], vcc
	s_cbranch_execz .LBB41_85
; %bb.78:
	v_mov_b32_e32 v5, 0
	ds_read2_b64 v[14:17], v5 offset0:64 offset1:70
	s_waitcnt lgkmcnt(0)
	v_sub_f32_e32 v2, v14, v16
	v_sub_f32_e32 v6, v15, v17
	v_cmp_gt_f32_e32 vcc, 0, v2
	v_cndmask_b32_e64 v2, v2, -v2, vcc
	v_cmp_gt_f32_e32 vcc, 0, v6
	v_cndmask_b32_e64 v4, v6, -v6, vcc
	v_cmp_gt_f32_e32 vcc, v2, v4
	s_cbranch_vccnz .LBB41_82
; %bb.79:
	v_cmp_eq_f32_e32 vcc, 0, v6
	s_cbranch_vccnz .LBB41_81
; %bb.80:
	v_div_scale_f32 v5, s[2:3], v4, v4, v2
	v_rcp_f32_e32 v6, v5
	v_div_scale_f32 v7, vcc, v2, v4, v2
	s_mov_b32 s2, 0xf800000
	v_fma_f32 v10, -v5, v6, 1.0
	v_fmac_f32_e32 v6, v10, v6
	v_mul_f32_e32 v10, v7, v6
	v_fma_f32 v11, -v5, v10, v7
	v_fmac_f32_e32 v10, v11, v6
	v_fma_f32 v5, -v5, v10, v7
	v_div_fmas_f32 v5, v5, v6, v10
	v_div_fixup_f32 v5, v5, v4, v2
	v_fma_f32 v5, v5, v5, 1.0
	v_mul_f32_e32 v6, 0x4f800000, v5
	v_cmp_gt_f32_e32 vcc, s2, v5
	v_cndmask_b32_e32 v5, v5, v6, vcc
	v_sqrt_f32_e32 v6, v5
	v_add_u32_e32 v7, -1, v6
	v_fma_f32 v10, -v7, v6, v5
	v_cmp_ge_f32_e64 s[2:3], 0, v10
	v_add_u32_e32 v10, 1, v6
	v_cndmask_b32_e64 v7, v6, v7, s[2:3]
	v_fma_f32 v6, -v10, v6, v5
	v_cmp_lt_f32_e64 s[2:3], 0, v6
	v_cndmask_b32_e64 v6, v7, v10, s[2:3]
	v_mul_f32_e32 v7, 0x37800000, v6
	v_cndmask_b32_e32 v6, v6, v7, vcc
	v_mov_b32_e32 v7, 0x260
	v_cmp_class_f32_e32 vcc, v5, v7
	v_cndmask_b32_e32 v5, v6, v5, vcc
	v_mul_f32_e32 v5, v4, v5
.LBB41_81:
	s_cbranch_execz .LBB41_83
	s_branch .LBB41_84
.LBB41_82:
                                        ; implicit-def: $vgpr5
.LBB41_83:
	v_div_scale_f32 v5, s[2:3], v2, v2, v4
	v_rcp_f32_e32 v6, v5
	v_div_scale_f32 v7, vcc, v4, v2, v4
	s_mov_b32 s2, 0xf800000
	v_fma_f32 v10, -v5, v6, 1.0
	v_fmac_f32_e32 v6, v10, v6
	v_mul_f32_e32 v10, v7, v6
	v_fma_f32 v11, -v5, v10, v7
	v_fmac_f32_e32 v10, v11, v6
	v_fma_f32 v5, -v5, v10, v7
	v_div_fmas_f32 v5, v5, v6, v10
	v_div_fixup_f32 v4, v5, v2, v4
	v_fma_f32 v4, v4, v4, 1.0
	v_mul_f32_e32 v5, 0x4f800000, v4
	v_cmp_gt_f32_e32 vcc, s2, v4
	v_cndmask_b32_e32 v4, v4, v5, vcc
	v_sqrt_f32_e32 v5, v4
	v_add_u32_e32 v6, -1, v5
	v_fma_f32 v7, -v6, v5, v4
	v_cmp_ge_f32_e64 s[2:3], 0, v7
	v_add_u32_e32 v7, 1, v5
	v_cndmask_b32_e64 v6, v5, v6, s[2:3]
	v_fma_f32 v5, -v7, v5, v4
	v_cmp_lt_f32_e64 s[2:3], 0, v5
	v_cndmask_b32_e64 v5, v6, v7, s[2:3]
	v_mul_f32_e32 v6, 0x37800000, v5
	v_cndmask_b32_e32 v5, v5, v6, vcc
	v_mov_b32_e32 v6, 0x260
	v_cmp_class_f32_e32 vcc, v4, v6
	v_cndmask_b32_e32 v4, v5, v4, vcc
	v_mul_f32_e32 v5, v2, v4
.LBB41_84:
	s_mov_b32 s2, 0xf800000
	v_mul_f32_e32 v2, 0x4f800000, v5
	v_cmp_gt_f32_e32 vcc, s2, v5
	v_cndmask_b32_e32 v2, v5, v2, vcc
	v_sqrt_f32_e32 v4, v2
	v_add_u32_e32 v5, -1, v4
	v_fma_f32 v6, -v5, v4, v2
	v_cmp_ge_f32_e64 s[2:3], 0, v6
	v_add_u32_e32 v6, 1, v4
	v_cndmask_b32_e64 v5, v4, v5, s[2:3]
	v_fma_f32 v4, -v6, v4, v2
	v_cmp_lt_f32_e64 s[2:3], 0, v4
	v_cndmask_b32_e64 v4, v5, v6, s[2:3]
	v_mul_f32_e32 v5, 0x37800000, v4
	v_cndmask_b32_e32 v4, v4, v5, vcc
	v_mov_b32_e32 v5, 0x260
	v_cmp_class_f32_e32 vcc, v2, v5
	v_cndmask_b32_e32 v4, v4, v2, vcc
	v_mov_b32_e32 v5, 0
	ds_write_b64 v5, v[4:5] offset:512
.LBB41_85:
	s_or_b64 exec, exec, s[4:5]
	v_mov_b32_e32 v2, 0
	s_waitcnt lgkmcnt(0)
	ds_read_b64 v[4:5], v2 offset:512
	s_waitcnt lgkmcnt(0)
	v_cmp_neq_f32_e32 vcc, 0, v4
	v_cmp_neq_f32_e64 s[2:3], 0, v5
	s_or_b64 vcc, vcc, s[2:3]
	s_or_b64 s[0:1], vcc, s[0:1]
	v_cndmask_b32_e32 v2, 1.0, v4, vcc
	s_xor_b64 s[2:3], s[0:1], -1
	v_cndmask_b32_e32 v4, 0, v5, vcc
	s_and_saveexec_b64 s[0:1], s[2:3]
	s_cbranch_execz .LBB41_89
; %bb.86:
	v_mbcnt_lo_u32_b32 v2, exec_lo, 0
	v_mbcnt_hi_u32_b32 v2, exec_hi, v2
	v_cmp_eq_u32_e32 vcc, 0, v2
	s_and_saveexec_b64 s[2:3], vcc
	s_cbranch_execz .LBB41_88
; %bb.87:
	v_mov_b32_e32 v2, 0
	v_mov_b32_e32 v4, s16
	global_atomic_smin v2, v4, s[14:15]
.LBB41_88:
	s_or_b64 exec, exec, s[2:3]
	v_mov_b32_e32 v2, 1.0
	v_mov_b32_e32 v4, 0
.LBB41_89:
	s_or_b64 exec, exec, s[0:1]
	v_cmp_lt_u32_e32 vcc, 1, v13
	s_and_saveexec_b64 s[0:1], vcc
	s_cbranch_execz .LBB41_91
; %bb.90:
	v_mul_f32_e32 v5, v4, v4
	v_fmac_f32_e32 v5, v2, v2
	v_div_scale_f32 v6, s[2:3], v5, v5, 1.0
	v_rcp_f32_e32 v7, v6
	v_mul_u32_u24_e32 v18, 24, v13
	v_mul_u32_u24_e32 v19, 24, v12
	v_fma_f32 v10, -v6, v7, 1.0
	v_fmac_f32_e32 v7, v10, v7
	v_div_scale_f32 v10, vcc, 1.0, v5, 1.0
	v_mul_f32_e32 v11, v10, v7
	v_fma_f32 v14, -v6, v11, v10
	v_fmac_f32_e32 v11, v14, v7
	ds_read2_b64 v[14:17], v18 offset0:61 offset1:67
	v_fma_f32 v6, -v6, v11, v10
	v_div_fmas_f32 v6, v6, v7, v11
	v_div_fixup_f32 v6, v6, v5, 1.0
	s_waitcnt lgkmcnt(0)
	v_pk_add_f32 v[10:11], v[14:15], v[16:17] op_sel:[1,1] op_sel_hi:[0,0] neg_lo:[0,1] neg_hi:[0,1]
	v_pk_mul_f32 v[4:5], v[4:5], v[10:11] op_sel:[0,1] op_sel_hi:[0,0] neg_lo:[0,1]
	v_pk_fma_f32 v[4:5], v[10:11], v[2:3], v[4:5] op_sel_hi:[1,0,1]
	v_pk_mul_f32 v[4:5], v[6:7], v[4:5] op_sel_hi:[0,1]
	v_mov_b32_e32 v6, v5
	v_mov_b32_e32 v7, v4
	ds_write_b64 v18, v[6:7] offset:488
	s_waitcnt lgkmcnt(0)
	ds_read_b64 v[6:7], v19 offset:488
	ds_read_b64 v[10:11], v9
	s_waitcnt lgkmcnt(0)
	v_pk_fma_f32 v[10:11], v[4:5], v[6:7], v[10:11] op_sel:[1,0,0] op_sel_hi:[0,0,1]
	v_pk_fma_f32 v[4:5], v[4:5], v[6:7], v[10:11] op_sel:[0,1,0] neg_hi:[0,1,0]
	ds_write_b64 v9, v[4:5]
.LBB41_91:
	s_or_b64 exec, exec, s[0:1]
	s_waitcnt lgkmcnt(0)
	ds_read_b64 v[2:3], v3
	v_cmp_eq_u32_e64 s[0:1], 0, v8
	s_waitcnt lgkmcnt(0)
	global_store_dwordx2 v[0:1], v[2:3], off
	s_branch .LBB41_97
.LBB41_92:
	v_or_b32_e32 v0, v12, v13
	v_cmp_eq_u32_e32 vcc, 0, v0
	s_and_saveexec_b64 s[2:3], vcc
	s_cbranch_execz .LBB41_96
; %bb.93:
	v_mbcnt_lo_u32_b32 v0, exec_lo, 0
	v_mbcnt_hi_u32_b32 v0, exec_hi, v0
	v_cmp_eq_u32_e32 vcc, 0, v0
	s_and_saveexec_b64 s[4:5], vcc
	s_cbranch_execz .LBB41_95
; %bb.94:
	s_add_i32 s8, s12, s13
	v_mov_b32_e32 v0, 0
	v_mov_b32_e32 v1, s8
	global_atomic_smin v0, v1, s[14:15]
.LBB41_95:
	s_or_b64 exec, exec, s[4:5]
	s_or_b64 s[0:1], s[0:1], exec
.LBB41_96:
	s_or_b64 exec, exec, s[2:3]
.LBB41_97:
	s_and_saveexec_b64 s[2:3], s[0:1]
	s_cbranch_execnz .LBB41_99
; %bb.98:
	s_endpgm
.LBB41_99:
	s_add_u32 s0, s10, s6
	s_addc_u32 s1, s11, s7
	v_mov_b32_e32 v0, 0
	v_mov_b32_e32 v1, 1
	s_waitcnt vmcnt(0)
	global_store_dword v0, v1, s[0:1]
	s_endpgm
	.section	.rodata,"a",@progbits
	.p2align	6, 0x0
	.amdhsa_kernel _ZN9rocsparseL26bsric0_2_8_unrolled_kernelILi4ELi32ELi2E21rocsparse_complex_numIfEEEv20rocsparse_direction_iiPKiS5_PT2_S5_PiS5_S8_21rocsparse_index_base_
		.amdhsa_group_segment_fixed_size 576
		.amdhsa_private_segment_fixed_size 0
		.amdhsa_kernarg_size 76
		.amdhsa_user_sgpr_count 6
		.amdhsa_user_sgpr_private_segment_buffer 1
		.amdhsa_user_sgpr_dispatch_ptr 0
		.amdhsa_user_sgpr_queue_ptr 0
		.amdhsa_user_sgpr_kernarg_segment_ptr 1
		.amdhsa_user_sgpr_dispatch_id 0
		.amdhsa_user_sgpr_flat_scratch_init 0
		.amdhsa_user_sgpr_kernarg_preload_length 0
		.amdhsa_user_sgpr_kernarg_preload_offset 0
		.amdhsa_user_sgpr_private_segment_size 0
		.amdhsa_uses_dynamic_stack 0
		.amdhsa_system_sgpr_private_segment_wavefront_offset 0
		.amdhsa_system_sgpr_workgroup_id_x 1
		.amdhsa_system_sgpr_workgroup_id_y 0
		.amdhsa_system_sgpr_workgroup_id_z 0
		.amdhsa_system_sgpr_workgroup_info 0
		.amdhsa_system_vgpr_workitem_id 1
		.amdhsa_next_free_vgpr 72
		.amdhsa_next_free_sgpr 40
		.amdhsa_accum_offset 72
		.amdhsa_reserve_vcc 1
		.amdhsa_reserve_flat_scratch 0
		.amdhsa_float_round_mode_32 0
		.amdhsa_float_round_mode_16_64 0
		.amdhsa_float_denorm_mode_32 3
		.amdhsa_float_denorm_mode_16_64 3
		.amdhsa_dx10_clamp 1
		.amdhsa_ieee_mode 1
		.amdhsa_fp16_overflow 0
		.amdhsa_tg_split 0
		.amdhsa_exception_fp_ieee_invalid_op 0
		.amdhsa_exception_fp_denorm_src 0
		.amdhsa_exception_fp_ieee_div_zero 0
		.amdhsa_exception_fp_ieee_overflow 0
		.amdhsa_exception_fp_ieee_underflow 0
		.amdhsa_exception_fp_ieee_inexact 0
		.amdhsa_exception_int_div_zero 0
	.end_amdhsa_kernel
	.section	.text._ZN9rocsparseL26bsric0_2_8_unrolled_kernelILi4ELi32ELi2E21rocsparse_complex_numIfEEEv20rocsparse_direction_iiPKiS5_PT2_S5_PiS5_S8_21rocsparse_index_base_,"axG",@progbits,_ZN9rocsparseL26bsric0_2_8_unrolled_kernelILi4ELi32ELi2E21rocsparse_complex_numIfEEEv20rocsparse_direction_iiPKiS5_PT2_S5_PiS5_S8_21rocsparse_index_base_,comdat
.Lfunc_end41:
	.size	_ZN9rocsparseL26bsric0_2_8_unrolled_kernelILi4ELi32ELi2E21rocsparse_complex_numIfEEEv20rocsparse_direction_iiPKiS5_PT2_S5_PiS5_S8_21rocsparse_index_base_, .Lfunc_end41-_ZN9rocsparseL26bsric0_2_8_unrolled_kernelILi4ELi32ELi2E21rocsparse_complex_numIfEEEv20rocsparse_direction_iiPKiS5_PT2_S5_PiS5_S8_21rocsparse_index_base_
                                        ; -- End function
	.section	.AMDGPU.csdata,"",@progbits
; Kernel info:
; codeLenInByte = 6220
; NumSgprs: 44
; NumVgprs: 72
; NumAgprs: 0
; TotalNumVgprs: 72
; ScratchSize: 0
; MemoryBound: 0
; FloatMode: 240
; IeeeMode: 1
; LDSByteSize: 576 bytes/workgroup (compile time only)
; SGPRBlocks: 5
; VGPRBlocks: 8
; NumSGPRsForWavesPerEU: 44
; NumVGPRsForWavesPerEU: 72
; AccumOffset: 72
; Occupancy: 7
; WaveLimiterHint : 1
; COMPUTE_PGM_RSRC2:SCRATCH_EN: 0
; COMPUTE_PGM_RSRC2:USER_SGPR: 6
; COMPUTE_PGM_RSRC2:TRAP_HANDLER: 0
; COMPUTE_PGM_RSRC2:TGID_X_EN: 1
; COMPUTE_PGM_RSRC2:TGID_Y_EN: 0
; COMPUTE_PGM_RSRC2:TGID_Z_EN: 0
; COMPUTE_PGM_RSRC2:TIDIG_COMP_CNT: 1
; COMPUTE_PGM_RSRC3_GFX90A:ACCUM_OFFSET: 17
; COMPUTE_PGM_RSRC3_GFX90A:TG_SPLIT: 0
	.section	.text._ZN9rocsparseL26bsric0_2_8_unrolled_kernelILi9ELi32ELi3E21rocsparse_complex_numIfEEEv20rocsparse_direction_iiPKiS5_PT2_S5_PiS5_S8_21rocsparse_index_base_,"axG",@progbits,_ZN9rocsparseL26bsric0_2_8_unrolled_kernelILi9ELi32ELi3E21rocsparse_complex_numIfEEEv20rocsparse_direction_iiPKiS5_PT2_S5_PiS5_S8_21rocsparse_index_base_,comdat
	.globl	_ZN9rocsparseL26bsric0_2_8_unrolled_kernelILi9ELi32ELi3E21rocsparse_complex_numIfEEEv20rocsparse_direction_iiPKiS5_PT2_S5_PiS5_S8_21rocsparse_index_base_ ; -- Begin function _ZN9rocsparseL26bsric0_2_8_unrolled_kernelILi9ELi32ELi3E21rocsparse_complex_numIfEEEv20rocsparse_direction_iiPKiS5_PT2_S5_PiS5_S8_21rocsparse_index_base_
	.p2align	8
	.type	_ZN9rocsparseL26bsric0_2_8_unrolled_kernelILi9ELi32ELi3E21rocsparse_complex_numIfEEEv20rocsparse_direction_iiPKiS5_PT2_S5_PiS5_S8_21rocsparse_index_base_,@function
_ZN9rocsparseL26bsric0_2_8_unrolled_kernelILi9ELi32ELi3E21rocsparse_complex_numIfEEEv20rocsparse_direction_iiPKiS5_PT2_S5_PiS5_S8_21rocsparse_index_base_: ; @_ZN9rocsparseL26bsric0_2_8_unrolled_kernelILi9ELi32ELi3E21rocsparse_complex_numIfEEEv20rocsparse_direction_iiPKiS5_PT2_S5_PiS5_S8_21rocsparse_index_base_
; %bb.0:
	s_load_dwordx8 s[8:15], s[4:5], 0x28
	s_mov_b32 s7, 0
	s_lshl_b64 s[0:1], s[6:7], 2
	v_and_b32_e32 v12, 0x3ff, v0
	v_bfe_u32 v13, v0, 10, 10
	s_waitcnt lgkmcnt(0)
	s_add_u32 s0, s12, s0
	s_addc_u32 s1, s13, s1
	s_load_dword s12, s[0:1], 0x0
	s_waitcnt lgkmcnt(0)
	s_ashr_i32 s13, s12, 31
	s_lshl_b64 s[6:7], s[12:13], 2
	s_add_u32 s0, s8, s6
	s_addc_u32 s1, s9, s7
	s_load_dword s30, s[0:1], 0x0
	s_load_dword s13, s[4:5], 0x48
	s_waitcnt lgkmcnt(0)
	s_cmp_lg_u32 s30, -1
	s_cbranch_scc0 .LBB42_59
; %bb.1:
	s_load_dwordx4 s[16:19], s[4:5], 0x10
	s_load_dwordx2 s[20:21], s[4:5], 0x20
	v_mad_u32_u24 v14, v13, 3, v12
	v_mul_u32_u24_e32 v15, 3, v13
	s_waitcnt lgkmcnt(0)
	s_add_u32 s0, s16, s6
	s_addc_u32 s1, s17, s7
	s_load_dword s26, s[0:1], 0x0
	s_waitcnt lgkmcnt(0)
	s_sub_i32 s31, s26, s13
	v_add_u32_e32 v0, s31, v14
	v_cmp_ge_i32_e32 vcc, s30, v0
	s_and_saveexec_b64 s[2:3], vcc
	s_cbranch_execz .LBB42_14
; %bb.2:
	v_add_u32_e32 v1, s26, v12
	v_add_u32_e32 v2, v1, v15
	v_subrev_u32_e32 v2, s13, v2
	v_add_u32_e32 v2, 9, v2
	s_add_i32 s0, s30, 1
	v_max_i32_e32 v2, s0, v2
	v_add_u32_e32 v2, s13, v2
	v_sub_u32_e32 v1, v2, v1
	v_add_u32_e32 v1, -9, v1
	v_cmp_ne_u32_e32 vcc, v1, v15
	v_addc_co_u32_e64 v2, s[0:1], 0, v15, vcc
	v_sub_u32_e32 v1, v1, v2
	s_mov_b32 s0, 0x38e38e39
	v_mul_hi_u32 v1, v1, s0
	v_lshrrev_b32_e32 v1, 1, v1
	v_addc_co_u32_e32 v16, vcc, 0, v1, vcc
	v_cmp_ne_u32_e32 vcc, 0, v16
	s_mov_b64 s[22:23], -1
	s_and_saveexec_b64 s[0:1], vcc
	s_cbranch_execz .LBB42_11
; %bb.3:
	v_add_u32_e32 v2, -1, v16
	v_add_u32_e32 v1, 9, v0
	v_lshrrev_b32_e32 v2, 1, v2
	v_add_u32_e32 v17, 1, v2
	v_cmp_lt_u32_e32 vcc, 14, v16
	v_pk_mov_b32 v[2:3], v[0:1], v[0:1] op_sel:[0,1]
	s_and_saveexec_b64 s[22:23], vcc
	s_cbranch_execz .LBB42_7
; %bb.4:
	v_and_b32_e32 v18, -8, v17
	s_mov_b64 s[24:25], 0
	v_mov_b32_e32 v19, s19
	v_pk_mov_b32 v[2:3], v[0:1], v[0:1] op_sel:[0,1]
.LBB42_5:                               ; =>This Inner Loop Header: Depth=1
	v_ashrrev_i32_e32 v23, 31, v2
	v_mov_b32_e32 v22, v2
	v_lshlrev_b64 v[22:23], 2, v[22:23]
	v_ashrrev_i32_e32 v21, 31, v3
	v_mov_b32_e32 v20, v3
	v_add_co_u32_e32 v22, vcc, s18, v22
	v_add_u32_e32 v4, 18, v2
	v_lshlrev_b64 v[20:21], 2, v[20:21]
	v_addc_co_u32_e32 v23, vcc, v19, v23, vcc
	v_ashrrev_i32_e32 v5, 31, v4
	v_add_co_u32_e32 v20, vcc, s18, v20
	v_add_u32_e32 v6, 18, v3
	v_addc_co_u32_e32 v21, vcc, v19, v21, vcc
	v_lshlrev_b64 v[42:43], 2, v[4:5]
	v_ashrrev_i32_e32 v7, 31, v6
	v_add_co_u32_e32 v42, vcc, s18, v42
	v_add_u32_e32 v8, 36, v2
	v_lshlrev_b64 v[44:45], 2, v[6:7]
	v_addc_co_u32_e32 v43, vcc, v19, v43, vcc
	v_ashrrev_i32_e32 v9, 31, v8
	v_add_co_u32_e32 v44, vcc, s18, v44
	v_add_u32_e32 v10, 36, v3
	v_lshlrev_b64 v[46:47], 2, v[8:9]
	v_addc_co_u32_e32 v45, vcc, v19, v45, vcc
	v_ashrrev_i32_e32 v11, 31, v10
	v_add_co_u32_e32 v46, vcc, s18, v46
	v_add_u32_e32 v24, 54, v2
	v_lshlrev_b64 v[48:49], 2, v[10:11]
	v_addc_co_u32_e32 v47, vcc, v19, v47, vcc
	v_ashrrev_i32_e32 v25, 31, v24
	v_add_co_u32_e32 v48, vcc, s18, v48
	v_add_u32_e32 v26, 54, v3
	v_lshlrev_b64 v[50:51], 2, v[24:25]
	v_addc_co_u32_e32 v49, vcc, v19, v49, vcc
	v_ashrrev_i32_e32 v27, 31, v26
	v_add_co_u32_e32 v50, vcc, s18, v50
	v_add_u32_e32 v28, 0x48, v2
	v_lshlrev_b64 v[52:53], 2, v[26:27]
	v_addc_co_u32_e32 v51, vcc, v19, v51, vcc
	v_ashrrev_i32_e32 v29, 31, v28
	v_add_co_u32_e32 v52, vcc, s18, v52
	v_add_u32_e32 v30, 0x48, v3
	v_lshlrev_b64 v[54:55], 2, v[28:29]
	v_addc_co_u32_e32 v53, vcc, v19, v53, vcc
	v_ashrrev_i32_e32 v31, 31, v30
	v_add_co_u32_e32 v54, vcc, s18, v54
	v_add_u32_e32 v32, 0x5a, v2
	v_lshlrev_b64 v[56:57], 2, v[30:31]
	v_addc_co_u32_e32 v55, vcc, v19, v55, vcc
	v_ashrrev_i32_e32 v33, 31, v32
	v_add_co_u32_e32 v56, vcc, s18, v56
	v_add_u32_e32 v34, 0x5a, v3
	v_lshlrev_b64 v[58:59], 2, v[32:33]
	v_addc_co_u32_e32 v57, vcc, v19, v57, vcc
	v_ashrrev_i32_e32 v35, 31, v34
	v_add_co_u32_e32 v58, vcc, s18, v58
	v_add_u32_e32 v36, 0x6c, v2
	v_lshlrev_b64 v[60:61], 2, v[34:35]
	v_addc_co_u32_e32 v59, vcc, v19, v59, vcc
	v_ashrrev_i32_e32 v37, 31, v36
	v_add_co_u32_e32 v60, vcc, s18, v60
	v_add_u32_e32 v38, 0x6c, v3
	v_lshlrev_b64 v[62:63], 2, v[36:37]
	v_addc_co_u32_e32 v61, vcc, v19, v61, vcc
	v_ashrrev_i32_e32 v39, 31, v38
	v_add_co_u32_e32 v62, vcc, s18, v62
	v_add_u32_e32 v40, 0x7e, v2
	v_lshlrev_b64 v[64:65], 2, v[38:39]
	v_addc_co_u32_e32 v63, vcc, v19, v63, vcc
	v_ashrrev_i32_e32 v41, 31, v40
	v_add_co_u32_e32 v64, vcc, s18, v64
	v_addc_co_u32_e32 v65, vcc, v19, v65, vcc
	v_lshlrev_b64 v[66:67], 2, v[40:41]
	v_add_u32_e32 v68, 0x7e, v3
	v_add_co_u32_e32 v66, vcc, s18, v66
	v_ashrrev_i32_e32 v69, 31, v68
	v_addc_co_u32_e32 v67, vcc, v19, v67, vcc
	v_lshlrev_b64 v[70:71], 2, v[68:69]
	v_add_co_u32_e32 v70, vcc, s18, v70
	v_addc_co_u32_e32 v71, vcc, v19, v71, vcc
	global_load_dword v1, v[20:21], off
	global_load_dword v5, v[22:23], off
	;; [unrolled: 1-line block ×15, first 2 shown]
                                        ; kill: killed $vgpr70 killed $vgpr71
                                        ; kill: killed $vgpr42 killed $vgpr43
                                        ; kill: killed $vgpr64 killed $vgpr65
                                        ; kill: killed $vgpr62 killed $vgpr63
                                        ; kill: killed $vgpr60 killed $vgpr61
                                        ; kill: killed $vgpr20 killed $vgpr21
                                        ; kill: killed $vgpr56 killed $vgpr57
                                        ; kill: killed $vgpr58 killed $vgpr59
                                        ; kill: killed $vgpr22 killed $vgpr23
                                        ; kill: killed $vgpr52 killed $vgpr53
                                        ; kill: killed $vgpr54 killed $vgpr55
                                        ; kill: killed $vgpr48 killed $vgpr49
                                        ; kill: killed $vgpr50 killed $vgpr51
                                        ; kill: killed $vgpr44 killed $vgpr45
                                        ; kill: killed $vgpr46 killed $vgpr47
	global_load_dword v20, v[66:67], off
	v_subrev_u32_e32 v22, s31, v2
	v_add_u32_e32 v18, -8, v18
	v_subrev_u32_e32 v21, s31, v3
	v_lshlrev_b32_e32 v22, 2, v22
	v_subrev_u32_e32 v4, s31, v4
	v_cmp_eq_u32_e32 vcc, 0, v18
	v_add_u32_e32 v3, 0x90, v3
	v_add_u32_e32 v2, 0x90, v2
	v_lshlrev_b32_e32 v21, 2, v21
	v_subrev_u32_e32 v6, s31, v6
	v_subrev_u32_e32 v10, s31, v10
	;; [unrolled: 1-line block ×13, first 2 shown]
	v_lshlrev_b32_e32 v4, 2, v4
	s_or_b64 s[24:25], vcc, s[24:25]
	v_lshlrev_b32_e32 v6, 2, v6
	v_lshlrev_b32_e32 v8, 2, v8
	;; [unrolled: 1-line block ×13, first 2 shown]
	s_waitcnt vmcnt(15)
	v_subrev_u32_e32 v1, s13, v1
	s_waitcnt vmcnt(14)
	v_subrev_u32_e32 v5, s13, v5
	ds_write_b32 v22, v5 offset:256
	ds_write_b32 v21, v1 offset:256
	s_waitcnt vmcnt(12)
	v_subrev_u32_e32 v5, s13, v9
	v_subrev_u32_e32 v1, s13, v7
	s_waitcnt vmcnt(11)
	v_subrev_u32_e32 v7, s13, v11
	s_waitcnt vmcnt(10)
	;; [unrolled: 2-line block ×12, first 2 shown]
	v_subrev_u32_e32 v20, s13, v20
	ds_write_b32 v4, v5 offset:256
	ds_write_b32 v6, v1 offset:256
	;; [unrolled: 1-line block ×14, first 2 shown]
	s_andn2_b64 exec, exec, s[24:25]
	s_cbranch_execnz .LBB42_5
; %bb.6:
	s_or_b64 exec, exec, s[24:25]
.LBB42_7:
	s_or_b64 exec, exec, s[22:23]
	v_and_b32_e32 v1, 7, v17
	v_cmp_ne_u32_e32 vcc, 0, v1
	s_and_saveexec_b64 s[22:23], vcc
	s_cbranch_execz .LBB42_10
; %bb.8:
	v_sub_u32_e32 v1, 0, v1
	s_mov_b64 s[24:25], 0
	v_mov_b32_e32 v4, s19
.LBB42_9:                               ; =>This Inner Loop Header: Depth=1
	v_ashrrev_i32_e32 v9, 31, v2
	v_mov_b32_e32 v8, v2
	v_lshlrev_b64 v[8:9], 2, v[8:9]
	v_ashrrev_i32_e32 v7, 31, v3
	v_mov_b32_e32 v6, v3
	v_add_co_u32_e32 v8, vcc, s18, v8
	v_lshlrev_b64 v[6:7], 2, v[6:7]
	v_addc_co_u32_e32 v9, vcc, v4, v9, vcc
	v_add_co_u32_e32 v6, vcc, s18, v6
	v_addc_co_u32_e32 v7, vcc, v4, v7, vcc
	global_load_dword v5, v[6:7], off
	global_load_dword v10, v[8:9], off
	v_subrev_u32_e32 v7, s31, v2
	v_add_co_u32_e32 v1, vcc, 1, v1
	v_subrev_u32_e32 v6, s31, v3
	v_add_u32_e32 v3, 18, v3
	v_add_u32_e32 v2, 18, v2
	v_lshlrev_b32_e32 v7, 2, v7
	s_or_b64 s[24:25], vcc, s[24:25]
	v_lshlrev_b32_e32 v6, 2, v6
	s_waitcnt vmcnt(1)
	v_subrev_u32_e32 v5, s13, v5
	s_waitcnt vmcnt(0)
	v_subrev_u32_e32 v8, s13, v10
	ds_write_b32 v7, v8 offset:256
	ds_write_b32 v6, v5 offset:256
	s_andn2_b64 exec, exec, s[24:25]
	s_cbranch_execnz .LBB42_9
.LBB42_10:
	s_or_b64 exec, exec, s[22:23]
	v_add_u32_e32 v2, 1, v16
	v_and_b32_e32 v3, 0x7ffffffe, v2
	v_mad_u64_u32 v[0:1], s[22:23], v3, 9, v[0:1]
	v_cmp_ne_u32_e32 vcc, v2, v3
	s_orn2_b64 s[22:23], vcc, exec
.LBB42_11:
	s_or_b64 exec, exec, s[0:1]
	s_and_b64 exec, exec, s[22:23]
	s_cbranch_execz .LBB42_14
; %bb.12:
	v_add_u32_e32 v1, s13, v0
	v_subrev_u32_e32 v1, s26, v1
	v_mov_b32_e32 v2, 0x100
	v_lshl_add_u32 v4, v1, 2, v2
	v_ashrrev_i32_e32 v1, 31, v0
	v_lshlrev_b64 v[2:3], 2, v[0:1]
	v_mov_b32_e32 v1, s19
	v_add_co_u32_e32 v2, vcc, s18, v2
	v_addc_co_u32_e32 v3, vcc, v1, v3, vcc
	s_mov_b64 s[0:1], 0
.LBB42_13:                              ; =>This Inner Loop Header: Depth=1
	global_load_dword v1, v[2:3], off
	v_add_co_u32_e32 v2, vcc, 36, v2
	v_add_u32_e32 v0, 9, v0
	v_addc_co_u32_e32 v3, vcc, 0, v3, vcc
	v_cmp_lt_i32_e32 vcc, s30, v0
	s_or_b64 s[0:1], vcc, s[0:1]
	s_waitcnt vmcnt(0)
	v_subrev_u32_e32 v1, s13, v1
	ds_write_b32 v4, v1
	v_add_u32_e32 v4, 36, v4
	s_andn2_b64 exec, exec, s[0:1]
	s_cbranch_execnz .LBB42_13
.LBB42_14:
	s_or_b64 exec, exec, s[2:3]
	s_load_dword s33, s[4:5], 0x0
	v_lshlrev_b32_e32 v2, 3, v12
	v_mov_b32_e32 v0, 0
	v_lshl_add_u32 v16, v13, 5, v2
	v_mov_b32_e32 v1, v0
	v_add_u32_e32 v3, 0x2a0, v16
	ds_write_b64 v16, v[0:1] offset:672
	s_cmp_ge_i32 s31, s30
	v_mad_u32_u24 v1, v12, 3, v13
	s_waitcnt lgkmcnt(0)
	s_cbranch_scc1 .LBB42_52
; %bb.15:
	v_lshlrev_b32_e32 v5, 5, v13
	v_add_u32_e32 v18, 0x240, v5
	s_movk_i32 s0, 0x180
	v_add_u32_e32 v21, 0x1e0, v5
	s_cmp_eq_u32 s33, 0
	v_add_u32_e32 v19, v18, v2
	v_add3_u32 v20, v5, v2, s0
	v_add_u32_e32 v22, v21, v2
	v_or_b32_e32 v2, v12, v13
	v_mad_u32_u24 v4, v12, 3, v13
	s_cselect_b64 vcc, -1, 0
	s_cmp_lg_u32 s33, 0
	v_cmp_ne_u32_e64 s[0:1], 0, v2
	v_mov_b32_e32 v2, 0x240
	s_cselect_b64 s[4:5], -1, 0
	v_mul_u32_u24_e32 v17, 3, v12
	v_lshl_add_u32 v23, v12, 5, v2
	v_cndmask_b32_e32 v2, v4, v14, vcc
	s_mov_b32 s22, s31
	s_branch .LBB42_19
.LBB42_16:                              ;   in Loop: Header=BB42_19 Depth=1
	s_or_b64 exec, exec, s[24:25]
	v_mov_b32_e32 v8, 1.0
	v_mov_b32_e32 v10, 0
.LBB42_17:                              ;   in Loop: Header=BB42_19 Depth=1
	s_or_b64 exec, exec, s[2:3]
	v_mul_f32_e32 v9, v10, v10
	v_fmac_f32_e32 v9, v8, v8
	v_div_scale_f32 v11, s[2:3], v9, v9, 1.0
	v_rcp_f32_e32 v34, v11
	v_div_scale_f32 v35, vcc, 1.0, v9, 1.0
	s_add_i32 s22, s22, 1
	v_fma_f32 v24, -v11, v34, 1.0
	v_fmac_f32_e32 v34, v24, v34
	v_mul_f32_e32 v36, v35, v34
	v_fma_f32 v24, -v11, v36, v35
	v_fmac_f32_e32 v36, v24, v34
	ds_read_b128 v[24:27], v0 offset:448
	ds_read_b128 v[28:31], v18
	ds_read_b64 v[32:33], v21 offset:16
	v_fma_f32 v11, -v11, v36, v35
	v_div_fmas_f32 v11, v11, v34, v36
	v_div_fixup_f32 v34, v11, v9, 1.0
	s_cmp_ge_i32 s22, s30
	s_waitcnt lgkmcnt(0)
	v_pk_fma_f32 v[32:33], v[24:25], v[28:29], v[32:33] op_sel_hi:[1,0,1]
	v_pk_fma_f32 v[24:25], v[24:25], v[28:29], v[32:33] op_sel:[0,1,1] op_sel_hi:[1,1,0] neg_lo:[0,1,0]
	v_mov_b32_e32 v28, v27
	v_mov_b32_e32 v29, v26
	v_pk_fma_f32 v[24:25], v[28:29], v[30:31], v[24:25] op_sel_hi:[1,0,1]
	v_mov_b32_e32 v28, v31
	v_pk_fma_f32 v[24:25], v[26:27], v[28:29], v[24:25] op_sel_hi:[1,0,1] neg_lo:[0,1,0]
	v_mov_b32_e32 v26, v7
	v_mov_b32_e32 v27, v6
	v_pk_add_f32 v[6:7], v[26:27], v[24:25] neg_lo:[0,1] neg_hi:[0,1]
	v_pk_mul_f32 v[10:11], v[10:11], v[6:7] op_sel:[0,1] op_sel_hi:[0,0] neg_lo:[0,1]
	v_pk_fma_f32 v[6:7], v[6:7], v[8:9], v[10:11] op_sel_hi:[1,0,1]
	v_pk_mul_f32 v[6:7], v[34:35], v[6:7] op_sel_hi:[0,1]
	v_mov_b32_e32 v8, v7
	v_mov_b32_e32 v9, v6
	ds_write_b64 v18, v[8:9] offset:16
	s_waitcnt lgkmcnt(0)
	ds_read_b64 v[8:9], v23 offset:16
	ds_read_b64 v[10:11], v3
	s_cselect_b64 s[26:27], -1, 0
	s_waitcnt lgkmcnt(0)
	v_pk_fma_f32 v[10:11], v[6:7], v[8:9], v[10:11] op_sel:[1,0,0] op_sel_hi:[0,0,1]
	v_pk_fma_f32 v[6:7], v[6:7], v[8:9], v[10:11] op_sel:[0,1,0] neg_hi:[0,1,0]
	ds_write_b64 v3, v[6:7]
	s_waitcnt lgkmcnt(0)
	ds_read_b64 v[6:7], v19
	s_waitcnt lgkmcnt(0)
	global_store_dwordx2 v[4:5], v[6:7], off
	s_waitcnt vmcnt(0)
	buffer_wbinvl1_vol
.LBB42_18:                              ;   in Loop: Header=BB42_19 Depth=1
	s_and_b64 vcc, exec, s[26:27]
	s_cbranch_vccnz .LBB42_52
.LBB42_19:                              ; =>This Loop Header: Depth=1
                                        ;     Child Loop BB42_22 Depth 2
                                        ;     Child Loop BB42_33 Depth 2
	;; [unrolled: 1-line block ×3, first 2 shown]
	s_ashr_i32 s23, s22, 31
	s_lshl_b64 s[2:3], s[22:23], 2
	s_add_u32 s2, s18, s2
	s_addc_u32 s3, s19, s3
	s_load_dword s23, s[2:3], 0x0
	s_waitcnt lgkmcnt(0)
	s_sub_i32 s24, s23, s13
	s_ashr_i32 s25, s24, 31
	s_lshl_b64 s[2:3], s[24:25], 2
	s_add_u32 s26, s8, s2
	s_addc_u32 s27, s9, s3
	s_load_dword s25, s[26:27], 0x0
	s_mov_b64 s[26:27], -1
	s_waitcnt lgkmcnt(0)
	s_cmp_eq_u32 s25, -1
	s_cbranch_scc1 .LBB42_18
; %bb.20:                               ;   in Loop: Header=BB42_19 Depth=1
	v_mad_u64_u32 v[4:5], s[26:27], s22, 9, v[2:3]
	v_ashrrev_i32_e32 v5, 31, v4
	v_lshlrev_b64 v[4:5], 3, v[4:5]
	v_mov_b32_e32 v6, s21
	v_add_co_u32_e32 v4, vcc, s20, v4
	v_addc_co_u32_e32 v5, vcc, v6, v5, vcc
	global_load_dwordx2 v[6:7], v[4:5], off
	s_add_u32 s26, s16, s2
	s_addc_u32 s27, s17, s3
	s_load_dword s26, s[26:27], 0x0
	ds_read_b32 v8, v0 offset:256
	s_mov_b32 s27, 0
	s_waitcnt lgkmcnt(0)
	s_sub_i32 s26, s26, s13
	s_cmp_le_i32 s26, s25
	v_cmp_ge_i32_e32 vcc, s24, v8
	s_cselect_b64 s[28:29], -1, 0
	s_and_b64 s[28:29], s[28:29], vcc
	s_andn2_b64 vcc, exec, s[28:29]
	s_waitcnt vmcnt(0)
	ds_write_b64 v19, v[6:7]
	s_cbranch_vccnz .LBB42_32
; %bb.21:                               ;   in Loop: Header=BB42_19 Depth=1
	s_mov_b32 s34, 0
	s_mov_b32 s35, 0
.LBB42_22:                              ;   Parent Loop BB42_19 Depth=1
                                        ; =>  This Inner Loop Header: Depth=2
	s_ashr_i32 s27, s26, 31
	s_lshl_b64 s[28:29], s[26:27], 2
	s_add_u32 s28, s18, s28
	s_addc_u32 s29, s19, s29
	s_load_dword s27, s[28:29], 0x0
	s_lshl_b32 s28, s35, 2
	v_mov_b32_e32 v6, s28
	ds_read_b32 v6, v6 offset:256
	s_mov_b64 s[28:29], -1
	s_waitcnt lgkmcnt(0)
	s_sub_i32 s39, s27, s13
                                        ; implicit-def: $sgpr27
                                        ; implicit-def: $sgpr38
                                        ; implicit-def: $sgpr37
	v_cmp_ge_i32_e32 vcc, s39, v6
	v_readfirstlane_b32 s36, v6
	s_cbranch_vccz .LBB42_28
; %bb.23:                               ;   in Loop: Header=BB42_22 Depth=2
	s_cmp_le_i32 s39, s36
                                        ; implicit-def: $sgpr27
                                        ; implicit-def: $sgpr38
                                        ; implicit-def: $sgpr37
	s_cbranch_scc0 .LBB42_25
; %bb.24:                               ;   in Loop: Header=BB42_22 Depth=2
	s_add_i32 s27, s35, s31
	s_mul_i32 s27, s27, 9
	s_lshl_b32 s28, s34, 2
	v_mov_b32_e32 v7, s27
	s_mul_i32 s27, s26, 9
	v_mov_b32_e32 v6, s28
	v_mov_b32_e32 v8, s27
	ds_write2_b32 v6, v8, v7 offset1:32
	s_add_i32 s37, s35, 1
	s_add_i32 s38, s26, 1
	;; [unrolled: 1-line block ×3, first 2 shown]
	s_mov_b64 s[28:29], 0
.LBB42_25:                              ;   in Loop: Header=BB42_22 Depth=2
	s_andn2_b64 vcc, exec, s[28:29]
	s_cbranch_vccnz .LBB42_27
; %bb.26:                               ;   in Loop: Header=BB42_22 Depth=2
	s_add_i32 s37, s35, 1
	s_mov_b32 s27, s34
	s_mov_b32 s38, s26
.LBB42_27:                              ;   in Loop: Header=BB42_22 Depth=2
	s_mov_b64 s[28:29], 0
.LBB42_28:                              ;   in Loop: Header=BB42_22 Depth=2
	s_andn2_b64 vcc, exec, s[28:29]
	s_cbranch_vccnz .LBB42_30
; %bb.29:                               ;   in Loop: Header=BB42_22 Depth=2
	s_add_i32 s38, s26, 1
	s_mov_b32 s37, s35
	s_mov_b32 s27, s34
.LBB42_30:                              ;   in Loop: Header=BB42_22 Depth=2
	s_cmp_le_i32 s38, s25
	s_cselect_b64 s[28:29], -1, 0
	s_cmp_le_i32 s36, s24
	s_cselect_b64 s[34:35], -1, 0
	s_and_b64 s[28:29], s[28:29], s[34:35]
	s_and_b64 vcc, exec, s[28:29]
	s_cbranch_vccz .LBB42_32
; %bb.31:                               ;   in Loop: Header=BB42_22 Depth=2
	s_mov_b32 s34, s27
	s_mov_b32 s26, s38
	;; [unrolled: 1-line block ×3, first 2 shown]
	s_branch .LBB42_22
.LBB42_32:                              ;   in Loop: Header=BB42_19 Depth=1
	s_add_u32 s2, s10, s2
	s_addc_u32 s3, s11, s3
	s_waitcnt lgkmcnt(0)
.LBB42_33:                              ;   Parent Loop BB42_19 Depth=1
                                        ; =>  This Inner Loop Header: Depth=2
	global_load_dword v6, v0, s[2:3] glc
	s_waitcnt vmcnt(0)
	v_cmp_eq_u32_e32 vcc, 0, v6
	s_cbranch_vccnz .LBB42_33
; %bb.34:                               ;   in Loop: Header=BB42_19 Depth=1
	v_mad_u64_u32 v[6:7], s[2:3], s25, 9, v[2:3]
	v_ashrrev_i32_e32 v7, 31, v6
	v_lshlrev_b64 v[6:7], 3, v[6:7]
	v_mov_b32_e32 v8, s21
	v_add_co_u32_e32 v6, vcc, s20, v6
	v_addc_co_u32_e32 v7, vcc, v8, v7, vcc
	buffer_wbinvl1_vol
	global_load_dwordx2 v[6:7], v[6:7], off
	v_mov_b32_e32 v11, 0
	s_cmp_lt_i32 s27, 2
	v_mov_b32_e32 v10, v11
	s_waitcnt vmcnt(0)
	ds_write_b64 v20, v[6:7]
	s_waitcnt lgkmcnt(0)
	s_cbranch_scc1 .LBB42_41
; %bb.35:                               ;   in Loop: Header=BB42_19 Depth=1
	v_mov_b32_e32 v10, 0
	s_add_i32 s24, s27, -1
	s_mov_b32 s25, 0
	v_mov_b32_e32 v11, v10
	s_branch .LBB42_37
.LBB42_36:                              ;   in Loop: Header=BB42_37 Depth=2
	s_add_i32 s24, s24, -1
	s_add_i32 s25, s25, 4
	s_cmp_eq_u32 s24, 0
	s_cbranch_scc1 .LBB42_41
.LBB42_37:                              ;   Parent Loop BB42_19 Depth=1
                                        ; =>  This Inner Loop Header: Depth=2
	v_mov_b32_e32 v7, s25
	s_waitcnt lgkmcnt(0)
	ds_read2_b32 v[8:9], v7 offset1:32
	v_mov_b32_e32 v6, v10
	v_mov_b32_e32 v7, v11
	s_and_b64 vcc, exec, s[4:5]
	s_cbranch_vccz .LBB42_39
; %bb.38:                               ;   in Loop: Header=BB42_37 Depth=2
	s_waitcnt lgkmcnt(0)
	v_add_u32_e32 v10, v8, v12
	v_ashrrev_i32_e32 v11, 31, v10
	v_lshlrev_b64 v[24:25], 3, v[10:11]
	v_add_u32_e32 v26, v9, v13
	v_mov_b32_e32 v42, s21
	v_add_co_u32_e32 v24, vcc, s20, v24
	v_ashrrev_i32_e32 v27, 31, v26
	v_addc_co_u32_e32 v25, vcc, v42, v25, vcc
	v_lshlrev_b64 v[28:29], 3, v[26:27]
	v_add_u32_e32 v30, 3, v10
	v_add_co_u32_e32 v28, vcc, s20, v28
	v_ashrrev_i32_e32 v31, 31, v30
	v_addc_co_u32_e32 v29, vcc, v42, v29, vcc
	v_lshlrev_b64 v[30:31], 3, v[30:31]
	v_add_u32_e32 v32, 3, v26
	;; [unrolled: 5-line block ×4, first 2 shown]
	v_add_co_u32_e32 v10, vcc, s20, v10
	v_ashrrev_i32_e32 v27, 31, v26
	global_load_dwordx2 v[34:35], v[32:33], off
	global_load_dwordx2 v[36:37], v[30:31], off
	;; [unrolled: 1-line block ×4, first 2 shown]
	v_addc_co_u32_e32 v11, vcc, v42, v11, vcc
	v_lshlrev_b64 v[26:27], 3, v[26:27]
	v_add_co_u32_e32 v24, vcc, s20, v26
	v_addc_co_u32_e32 v25, vcc, v42, v27, vcc
	global_load_dwordx2 v[26:27], v[24:25], off
	global_load_dwordx2 v[28:29], v[10:11], off
	s_waitcnt vmcnt(2)
	v_pk_fma_f32 v[10:11], v[40:41], v[38:39], v[6:7] op_sel_hi:[1,0,1]
	v_pk_fma_f32 v[10:11], v[40:41], v[38:39], v[10:11] op_sel:[1,1,0] op_sel_hi:[0,1,1] neg_hi:[0,1,0]
	v_pk_fma_f32 v[10:11], v[36:37], v[34:35], v[10:11] op_sel_hi:[1,0,1]
	v_pk_fma_f32 v[10:11], v[36:37], v[34:35], v[10:11] op_sel:[1,1,0] op_sel_hi:[0,1,1] neg_hi:[0,1,0]
	s_waitcnt vmcnt(0)
	v_pk_fma_f32 v[10:11], v[28:29], v[26:27], v[10:11] op_sel_hi:[1,0,1]
	v_pk_fma_f32 v[10:11], v[28:29], v[26:27], v[10:11] op_sel:[1,1,0] op_sel_hi:[0,1,1] neg_hi:[0,1,0]
	s_cbranch_execnz .LBB42_36
	s_branch .LBB42_40
.LBB42_39:                              ;   in Loop: Header=BB42_37 Depth=2
                                        ; implicit-def: $vgpr11
.LBB42_40:                              ;   in Loop: Header=BB42_37 Depth=2
	s_waitcnt lgkmcnt(0)
	v_add_u32_e32 v10, v8, v17
	v_ashrrev_i32_e32 v11, 31, v10
	v_lshlrev_b64 v[10:11], 3, v[10:11]
	v_add_u32_e32 v8, v9, v15
	v_mov_b32_e32 v24, s21
	v_add_co_u32_e32 v28, vcc, s20, v10
	v_ashrrev_i32_e32 v9, 31, v8
	v_addc_co_u32_e32 v29, vcc, v24, v11, vcc
	v_lshlrev_b64 v[8:9], 3, v[8:9]
	v_add_co_u32_e32 v30, vcc, s20, v8
	v_addc_co_u32_e32 v31, vcc, v24, v9, vcc
	global_load_dwordx4 v[8:11], v[30:31], off
	global_load_dwordx4 v[24:27], v[28:29], off
	global_load_dwordx2 v[32:33], v[30:31], off offset:16
	global_load_dwordx2 v[34:35], v[28:29], off offset:16
	s_waitcnt vmcnt(2)
	v_pk_fma_f32 v[6:7], v[24:25], v[8:9], v[6:7] op_sel_hi:[1,0,1]
	v_pk_fma_f32 v[6:7], v[24:25], v[8:9], v[6:7] op_sel:[1,1,0] op_sel_hi:[0,1,1] neg_hi:[0,1,0]
	v_mov_b32_e32 v28, v27
	v_mov_b32_e32 v29, v26
	v_pk_fma_f32 v[6:7], v[26:27], v[10:11], v[6:7] op_sel_hi:[1,0,1]
	v_mov_b32_e32 v8, v11
	v_pk_fma_f32 v[6:7], v[28:29], v[8:9], v[6:7] op_sel_hi:[1,0,1] neg_hi:[0,1,0]
	s_waitcnt vmcnt(0)
	v_pk_fma_f32 v[6:7], v[34:35], v[32:33], v[6:7] op_sel_hi:[1,0,1]
	v_pk_fma_f32 v[10:11], v[34:35], v[32:33], v[6:7] op_sel:[1,1,0] op_sel_hi:[0,1,1] neg_hi:[0,1,0]
	s_branch .LBB42_36
.LBB42_41:                              ;   in Loop: Header=BB42_19 Depth=1
	ds_write_b64 v22, v[10:11]
	s_waitcnt lgkmcnt(0)
	ds_read_b64 v[8:9], v0 offset:384
	ds_read_b64 v[6:7], v18
	s_waitcnt lgkmcnt(1)
	v_cmp_neq_f32_e32 vcc, 0, v8
	v_cmp_neq_f32_e64 s[2:3], 0, v9
	s_or_b64 vcc, vcc, s[2:3]
	s_or_b64 s[2:3], vcc, s[0:1]
	v_cndmask_b32_e32 v8, 1.0, v8, vcc
	s_xor_b64 s[24:25], s[2:3], -1
	v_cndmask_b32_e32 v10, 0, v9, vcc
	s_and_saveexec_b64 s[2:3], s[24:25]
	s_cbranch_execz .LBB42_45
; %bb.42:                               ;   in Loop: Header=BB42_19 Depth=1
	v_mbcnt_lo_u32_b32 v8, exec_lo, 0
	v_mbcnt_hi_u32_b32 v8, exec_hi, v8
	v_cmp_eq_u32_e32 vcc, 0, v8
	s_and_saveexec_b64 s[24:25], vcc
	s_cbranch_execz .LBB42_44
; %bb.43:                               ;   in Loop: Header=BB42_19 Depth=1
	v_mov_b32_e32 v8, s23
	global_atomic_smin v0, v8, s[14:15]
.LBB42_44:                              ;   in Loop: Header=BB42_19 Depth=1
	s_or_b64 exec, exec, s[24:25]
	v_mov_b32_e32 v8, 1.0
	v_mov_b32_e32 v10, 0
.LBB42_45:                              ;   in Loop: Header=BB42_19 Depth=1
	s_or_b64 exec, exec, s[2:3]
	v_mul_f32_e32 v9, v10, v10
	v_fmac_f32_e32 v9, v8, v8
	v_div_scale_f32 v11, s[2:3], v9, v9, 1.0
	v_rcp_f32_e32 v26, v11
	v_div_scale_f32 v24, vcc, 1.0, v9, 1.0
	s_waitcnt lgkmcnt(0)
	v_mov_b32_e32 v28, v7
	v_fma_f32 v25, -v11, v26, 1.0
	v_fmac_f32_e32 v26, v25, v26
	v_mul_f32_e32 v27, v24, v26
	v_fma_f32 v25, -v11, v27, v24
	v_fmac_f32_e32 v27, v25, v26
	v_fma_f32 v11, -v11, v27, v24
	ds_read_b64 v[24:25], v21
	v_mov_b32_e32 v29, v6
	v_div_fmas_f32 v11, v11, v26, v27
	v_div_fixup_f32 v26, v11, v9, 1.0
	s_waitcnt lgkmcnt(0)
	v_pk_add_f32 v[6:7], v[28:29], v[24:25] op_sel:[0,1] op_sel_hi:[1,0] neg_lo:[0,1] neg_hi:[0,1]
	v_pk_mul_f32 v[10:11], v[10:11], v[6:7] op_sel:[0,1] op_sel_hi:[0,0] neg_lo:[0,1]
	v_pk_fma_f32 v[6:7], v[6:7], v[8:9], v[10:11] op_sel_hi:[1,0,1]
	v_pk_mul_f32 v[6:7], v[26:27], v[6:7] op_sel_hi:[0,1]
	v_mov_b32_e32 v8, v7
	v_mov_b32_e32 v9, v6
	ds_write_b64 v18, v[8:9]
	s_waitcnt lgkmcnt(0)
	ds_read_b64 v[8:9], v23
	ds_read_b64 v[10:11], v3
	s_waitcnt lgkmcnt(0)
	v_pk_fma_f32 v[10:11], v[6:7], v[8:9], v[10:11] op_sel:[1,0,0] op_sel_hi:[0,0,1]
	v_pk_fma_f32 v[6:7], v[6:7], v[8:9], v[10:11] op_sel:[0,1,0] neg_hi:[0,1,0]
	ds_write_b64 v3, v[6:7]
	s_waitcnt lgkmcnt(0)
	ds_read_b64 v[8:9], v0 offset:424
	ds_read_b64 v[6:7], v18 offset:8
	s_waitcnt lgkmcnt(1)
	v_cmp_neq_f32_e32 vcc, 0, v8
	v_cmp_neq_f32_e64 s[2:3], 0, v9
	s_or_b64 vcc, vcc, s[2:3]
	s_or_b64 s[2:3], vcc, s[0:1]
	v_cndmask_b32_e32 v8, 1.0, v8, vcc
	s_xor_b64 s[24:25], s[2:3], -1
	v_cndmask_b32_e32 v10, 0, v9, vcc
	s_and_saveexec_b64 s[2:3], s[24:25]
	s_cbranch_execz .LBB42_49
; %bb.46:                               ;   in Loop: Header=BB42_19 Depth=1
	v_mbcnt_lo_u32_b32 v8, exec_lo, 0
	v_mbcnt_hi_u32_b32 v8, exec_hi, v8
	v_cmp_eq_u32_e32 vcc, 0, v8
	s_and_saveexec_b64 s[24:25], vcc
	s_cbranch_execz .LBB42_48
; %bb.47:                               ;   in Loop: Header=BB42_19 Depth=1
	v_mov_b32_e32 v8, s23
	global_atomic_smin v0, v8, s[14:15]
.LBB42_48:                              ;   in Loop: Header=BB42_19 Depth=1
	s_or_b64 exec, exec, s[24:25]
	v_mov_b32_e32 v8, 1.0
	v_mov_b32_e32 v10, 0
.LBB42_49:                              ;   in Loop: Header=BB42_19 Depth=1
	s_or_b64 exec, exec, s[2:3]
	v_mul_f32_e32 v9, v10, v10
	v_fmac_f32_e32 v9, v8, v8
	v_div_scale_f32 v11, s[2:3], v9, v9, 1.0
	v_rcp_f32_e32 v30, v11
	v_div_scale_f32 v31, vcc, 1.0, v9, 1.0
	ds_read_b64 v[24:25], v18
	v_fma_f32 v26, -v11, v30, 1.0
	v_fmac_f32_e32 v30, v26, v30
	v_mul_f32_e32 v32, v31, v30
	v_fma_f32 v26, -v11, v32, v31
	v_fmac_f32_e32 v32, v26, v30
	ds_read_b64 v[26:27], v0 offset:416
	ds_read_b64 v[28:29], v21 offset:8
	v_fma_f32 v11, -v11, v32, v31
	v_div_fmas_f32 v11, v11, v30, v32
	v_div_fixup_f32 v30, v11, v9, 1.0
	s_waitcnt lgkmcnt(0)
	v_pk_fma_f32 v[28:29], v[26:27], v[24:25], v[28:29] op_sel_hi:[1,0,1]
	v_pk_fma_f32 v[24:25], v[26:27], v[24:25], v[28:29] op_sel:[0,1,1] op_sel_hi:[1,1,0] neg_lo:[0,1,0]
	v_mov_b32_e32 v26, v7
	v_mov_b32_e32 v27, v6
	v_pk_add_f32 v[6:7], v[26:27], v[24:25] neg_lo:[0,1] neg_hi:[0,1]
	v_pk_mul_f32 v[10:11], v[10:11], v[6:7] op_sel:[0,1] op_sel_hi:[0,0] neg_lo:[0,1]
	v_pk_fma_f32 v[6:7], v[6:7], v[8:9], v[10:11] op_sel_hi:[1,0,1]
	v_pk_mul_f32 v[6:7], v[30:31], v[6:7] op_sel_hi:[0,1]
	v_mov_b32_e32 v8, v7
	v_mov_b32_e32 v9, v6
	ds_write_b64 v18, v[8:9] offset:8
	s_waitcnt lgkmcnt(0)
	ds_read_b64 v[8:9], v23 offset:8
	ds_read_b64 v[10:11], v3
	s_waitcnt lgkmcnt(0)
	v_pk_fma_f32 v[10:11], v[6:7], v[8:9], v[10:11] op_sel:[1,0,0] op_sel_hi:[0,0,1]
	v_pk_fma_f32 v[6:7], v[6:7], v[8:9], v[10:11] op_sel:[0,1,0] neg_hi:[0,1,0]
	ds_write_b64 v3, v[6:7]
	s_waitcnt lgkmcnt(0)
	ds_read_b64 v[8:9], v0 offset:464
	ds_read_b64 v[6:7], v18 offset:16
	s_waitcnt lgkmcnt(1)
	v_cmp_neq_f32_e32 vcc, 0, v8
	v_cmp_neq_f32_e64 s[2:3], 0, v9
	s_or_b64 vcc, vcc, s[2:3]
	s_or_b64 s[2:3], vcc, s[0:1]
	v_cndmask_b32_e32 v8, 1.0, v8, vcc
	s_xor_b64 s[24:25], s[2:3], -1
	v_cndmask_b32_e32 v10, 0, v9, vcc
	s_and_saveexec_b64 s[2:3], s[24:25]
	s_cbranch_execz .LBB42_17
; %bb.50:                               ;   in Loop: Header=BB42_19 Depth=1
	v_mbcnt_lo_u32_b32 v8, exec_lo, 0
	v_mbcnt_hi_u32_b32 v8, exec_hi, v8
	v_cmp_eq_u32_e32 vcc, 0, v8
	s_and_saveexec_b64 s[24:25], vcc
	s_cbranch_execz .LBB42_16
; %bb.51:                               ;   in Loop: Header=BB42_19 Depth=1
	v_mov_b32_e32 v8, s23
	global_atomic_smin v0, v8, s[14:15]
	s_branch .LBB42_16
.LBB42_52:
	s_cmp_lg_u32 s33, 0
	s_cselect_b64 s[8:9], -1, 0
	s_cmp_eq_u32 s33, 0
	v_mov_b32_e32 v0, v14
	s_cbranch_scc1 .LBB42_54
; %bb.53:
	v_mad_u32_u24 v0, v12, 3, v13
.LBB42_54:
	s_mul_i32 s30, s30, 9
	v_add_u32_e32 v4, s30, v0
	v_ashrrev_i32_e32 v5, 31, v4
	v_lshlrev_b64 v[4:5], 3, v[4:5]
	v_mov_b32_e32 v0, s21
	v_add_co_u32_e32 v4, vcc, s20, v4
	v_addc_co_u32_e32 v5, vcc, v0, v5, vcc
	global_load_dwordx2 v[4:5], v[4:5], off
	v_cmp_ne_u32_e64 s[2:3], 0, v13
	v_cmp_eq_u32_e32 vcc, 0, v13
	s_waitcnt vmcnt(0)
	ds_write_b64 v16, v[4:5] offset:576
	s_waitcnt lgkmcnt(0)
	s_and_saveexec_b64 s[4:5], vcc
	s_cbranch_execz .LBB42_63
; %bb.55:
	v_mov_b32_e32 v4, 0
	ds_read2_b64 v[6:9], v4 offset0:72 offset1:84
	s_waitcnt lgkmcnt(0)
	v_sub_f32_e32 v0, v6, v8
	v_sub_f32_e32 v5, v7, v9
	v_cmp_gt_f32_e32 vcc, 0, v0
	v_cndmask_b32_e64 v0, v0, -v0, vcc
	v_cmp_gt_f32_e32 vcc, 0, v5
	v_cndmask_b32_e64 v2, v5, -v5, vcc
	v_cmp_ngt_f32_e32 vcc, v0, v2
	s_cbranch_vccz .LBB42_60
; %bb.56:
	v_cmp_eq_f32_e32 vcc, 0, v5
	s_cbranch_vccnz .LBB42_58
; %bb.57:
	v_div_scale_f32 v4, s[0:1], v2, v2, v0
	v_rcp_f32_e32 v5, v4
	v_div_scale_f32 v6, vcc, v0, v2, v0
	s_mov_b32 s0, 0xf800000
	v_fma_f32 v7, -v4, v5, 1.0
	v_fmac_f32_e32 v5, v7, v5
	v_mul_f32_e32 v7, v6, v5
	v_fma_f32 v8, -v4, v7, v6
	v_fmac_f32_e32 v7, v8, v5
	v_fma_f32 v4, -v4, v7, v6
	v_div_fmas_f32 v4, v4, v5, v7
	v_div_fixup_f32 v4, v4, v2, v0
	v_fma_f32 v4, v4, v4, 1.0
	v_mul_f32_e32 v5, 0x4f800000, v4
	v_cmp_gt_f32_e32 vcc, s0, v4
	v_cndmask_b32_e32 v4, v4, v5, vcc
	v_sqrt_f32_e32 v5, v4
	v_add_u32_e32 v6, -1, v5
	v_fma_f32 v7, -v6, v5, v4
	v_cmp_ge_f32_e64 s[0:1], 0, v7
	v_add_u32_e32 v7, 1, v5
	v_cndmask_b32_e64 v6, v5, v6, s[0:1]
	v_fma_f32 v5, -v7, v5, v4
	v_cmp_lt_f32_e64 s[0:1], 0, v5
	v_cndmask_b32_e64 v5, v6, v7, s[0:1]
	v_mul_f32_e32 v6, 0x37800000, v5
	v_cndmask_b32_e32 v5, v5, v6, vcc
	v_mov_b32_e32 v6, 0x260
	v_cmp_class_f32_e32 vcc, v4, v6
	v_cndmask_b32_e32 v4, v5, v4, vcc
	v_mul_f32_e32 v4, v2, v4
.LBB42_58:
	s_cbranch_execz .LBB42_61
	s_branch .LBB42_62
.LBB42_59:
	s_mov_b64 s[0:1], 0
	s_cbranch_execnz .LBB42_96
	s_branch .LBB42_101
.LBB42_60:
                                        ; implicit-def: $vgpr4
.LBB42_61:
	v_div_scale_f32 v4, s[0:1], v0, v0, v2
	v_rcp_f32_e32 v5, v4
	v_div_scale_f32 v6, vcc, v2, v0, v2
	s_mov_b32 s0, 0xf800000
	v_fma_f32 v7, -v4, v5, 1.0
	v_fmac_f32_e32 v5, v7, v5
	v_mul_f32_e32 v7, v6, v5
	v_fma_f32 v8, -v4, v7, v6
	v_fmac_f32_e32 v7, v8, v5
	v_fma_f32 v4, -v4, v7, v6
	v_div_fmas_f32 v4, v4, v5, v7
	v_div_fixup_f32 v2, v4, v0, v2
	v_fma_f32 v2, v2, v2, 1.0
	v_mul_f32_e32 v4, 0x4f800000, v2
	v_cmp_gt_f32_e32 vcc, s0, v2
	v_cndmask_b32_e32 v2, v2, v4, vcc
	v_sqrt_f32_e32 v4, v2
	v_add_u32_e32 v5, -1, v4
	v_fma_f32 v6, -v5, v4, v2
	v_cmp_ge_f32_e64 s[0:1], 0, v6
	v_add_u32_e32 v6, 1, v4
	v_cndmask_b32_e64 v5, v4, v5, s[0:1]
	v_fma_f32 v4, -v6, v4, v2
	v_cmp_lt_f32_e64 s[0:1], 0, v4
	v_cndmask_b32_e64 v4, v5, v6, s[0:1]
	v_mul_f32_e32 v5, 0x37800000, v4
	v_cndmask_b32_e32 v4, v4, v5, vcc
	v_mov_b32_e32 v5, 0x260
	v_cmp_class_f32_e32 vcc, v2, v5
	v_cndmask_b32_e32 v2, v4, v2, vcc
	v_mul_f32_e32 v4, v0, v2
.LBB42_62:
	s_mov_b32 s0, 0xf800000
	v_mul_f32_e32 v0, 0x4f800000, v4
	v_cmp_gt_f32_e32 vcc, s0, v4
	v_cndmask_b32_e32 v0, v4, v0, vcc
	v_sqrt_f32_e32 v2, v0
	v_add_u32_e32 v4, -1, v2
	v_fma_f32 v5, -v4, v2, v0
	v_cmp_ge_f32_e64 s[0:1], 0, v5
	v_add_u32_e32 v5, 1, v2
	v_cndmask_b32_e64 v4, v2, v4, s[0:1]
	v_fma_f32 v2, -v5, v2, v0
	v_cmp_lt_f32_e64 s[0:1], 0, v2
	v_cndmask_b32_e64 v2, v4, v5, s[0:1]
	v_mul_f32_e32 v4, 0x37800000, v2
	v_cndmask_b32_e32 v2, v2, v4, vcc
	v_mov_b32_e32 v4, 0x260
	v_cmp_class_f32_e32 vcc, v0, v4
	v_cndmask_b32_e32 v4, v2, v0, vcc
	v_mov_b32_e32 v5, 0
	ds_write_b64 v5, v[4:5] offset:576
.LBB42_63:
	s_or_b64 exec, exec, s[4:5]
	v_mov_b32_e32 v0, 0
	s_waitcnt lgkmcnt(0)
	ds_read_b64 v[6:7], v0 offset:576
	v_or_b32_e32 v5, v12, v13
	v_cmp_ne_u32_e64 s[0:1], 0, v5
	v_add_u32_e32 v4, 0x240, v16
	s_add_i32 s18, s12, s13
	s_waitcnt lgkmcnt(0)
	v_cmp_neq_f32_e32 vcc, 0, v6
	v_cmp_neq_f32_e64 s[4:5], 0, v7
	s_or_b64 vcc, vcc, s[4:5]
	s_or_b64 s[4:5], vcc, s[0:1]
	v_cndmask_b32_e32 v0, 1.0, v6, vcc
	s_xor_b64 s[16:17], s[4:5], -1
	v_cndmask_b32_e32 v2, 0, v7, vcc
	s_and_saveexec_b64 s[4:5], s[16:17]
	s_cbranch_execz .LBB42_67
; %bb.64:
	v_mbcnt_lo_u32_b32 v0, exec_lo, 0
	v_mbcnt_hi_u32_b32 v0, exec_hi, v0
	v_cmp_eq_u32_e32 vcc, 0, v0
	s_and_saveexec_b64 s[16:17], vcc
	s_cbranch_execz .LBB42_66
; %bb.65:
	v_mov_b32_e32 v0, 0
	v_mov_b32_e32 v2, s18
	global_atomic_smin v0, v2, s[14:15]
.LBB42_66:
	s_or_b64 exec, exec, s[16:17]
	v_mov_b32_e32 v0, 1.0
	v_mov_b32_e32 v2, 0
.LBB42_67:
	s_or_b64 exec, exec, s[4:5]
	s_and_saveexec_b64 s[4:5], s[2:3]
	s_cbranch_execz .LBB42_69
; %bb.68:
	v_mul_f32_e32 v10, v2, v2
	v_fmac_f32_e32 v10, v0, v0
	v_div_scale_f32 v11, s[2:3], v10, v10, 1.0
	v_rcp_f32_e32 v15, v11
	v_lshlrev_b32_e32 v16, 5, v13
	ds_read2_b64 v[6:9], v16 offset0:72 offset1:84
	v_fma_f32 v17, -v11, v15, 1.0
	v_fmac_f32_e32 v15, v17, v15
	v_div_scale_f32 v17, vcc, 1.0, v10, 1.0
	v_mul_f32_e32 v18, v17, v15
	v_fma_f32 v19, -v11, v18, v17
	v_fmac_f32_e32 v18, v19, v15
	v_fma_f32 v11, -v11, v18, v17
	s_waitcnt lgkmcnt(0)
	v_pk_add_f32 v[6:7], v[6:7], v[8:9] op_sel:[1,1] op_sel_hi:[0,0] neg_lo:[0,1] neg_hi:[0,1]
	v_div_fmas_f32 v11, v11, v15, v18
	v_pk_mul_f32 v[8:9], v[2:3], v[6:7] op_sel:[0,1] op_sel_hi:[0,0] neg_lo:[0,1]
	v_div_fixup_f32 v10, v11, v10, 1.0
	v_lshlrev_b32_e32 v11, 5, v12
	v_pk_fma_f32 v[6:7], v[6:7], v[0:1], v[8:9] op_sel_hi:[1,0,1]
	v_pk_mul_f32 v[6:7], v[10:11], v[6:7] op_sel_hi:[0,1]
	v_mov_b32_e32 v8, v7
	v_mov_b32_e32 v9, v6
	ds_write_b64 v16, v[8:9] offset:576
	s_waitcnt lgkmcnt(0)
	ds_read_b64 v[8:9], v11 offset:576
	ds_read_b64 v[10:11], v3
	s_waitcnt lgkmcnt(0)
	v_pk_fma_f32 v[10:11], v[6:7], v[8:9], v[10:11] op_sel:[1,0,0] op_sel_hi:[0,0,1]
	v_pk_fma_f32 v[6:7], v[6:7], v[8:9], v[10:11] op_sel:[0,1,0] neg_hi:[0,1,0]
	ds_write_b64 v3, v[6:7]
.LBB42_69:
	s_or_b64 exec, exec, s[4:5]
	v_cmp_eq_u32_e32 vcc, 1, v13
	s_waitcnt lgkmcnt(0)
	s_and_saveexec_b64 s[4:5], vcc
	s_cbranch_execz .LBB42_77
; %bb.70:
	v_mov_b32_e32 v6, 0
	ds_read2_b64 v[8:11], v6 offset0:77 offset1:89
	s_waitcnt lgkmcnt(0)
	v_sub_f32_e32 v0, v8, v10
	v_sub_f32_e32 v7, v9, v11
	v_cmp_gt_f32_e32 vcc, 0, v0
	v_cndmask_b32_e64 v0, v0, -v0, vcc
	v_cmp_gt_f32_e32 vcc, 0, v7
	v_cndmask_b32_e64 v2, v7, -v7, vcc
	v_cmp_gt_f32_e32 vcc, v0, v2
	s_cbranch_vccnz .LBB42_74
; %bb.71:
	v_cmp_eq_f32_e32 vcc, 0, v7
	s_cbranch_vccnz .LBB42_73
; %bb.72:
	v_div_scale_f32 v6, s[2:3], v2, v2, v0
	v_rcp_f32_e32 v7, v6
	v_div_scale_f32 v8, vcc, v0, v2, v0
	s_mov_b32 s2, 0xf800000
	v_fma_f32 v9, -v6, v7, 1.0
	v_fmac_f32_e32 v7, v9, v7
	v_mul_f32_e32 v9, v8, v7
	v_fma_f32 v10, -v6, v9, v8
	v_fmac_f32_e32 v9, v10, v7
	v_fma_f32 v6, -v6, v9, v8
	v_div_fmas_f32 v6, v6, v7, v9
	v_div_fixup_f32 v6, v6, v2, v0
	v_fma_f32 v6, v6, v6, 1.0
	v_mul_f32_e32 v7, 0x4f800000, v6
	v_cmp_gt_f32_e32 vcc, s2, v6
	v_cndmask_b32_e32 v6, v6, v7, vcc
	v_sqrt_f32_e32 v7, v6
	v_add_u32_e32 v8, -1, v7
	v_fma_f32 v9, -v8, v7, v6
	v_cmp_ge_f32_e64 s[2:3], 0, v9
	v_add_u32_e32 v9, 1, v7
	v_cndmask_b32_e64 v8, v7, v8, s[2:3]
	v_fma_f32 v7, -v9, v7, v6
	v_cmp_lt_f32_e64 s[2:3], 0, v7
	v_cndmask_b32_e64 v7, v8, v9, s[2:3]
	v_mul_f32_e32 v8, 0x37800000, v7
	v_cndmask_b32_e32 v7, v7, v8, vcc
	v_mov_b32_e32 v8, 0x260
	v_cmp_class_f32_e32 vcc, v6, v8
	v_cndmask_b32_e32 v6, v7, v6, vcc
	v_mul_f32_e32 v6, v2, v6
.LBB42_73:
	s_cbranch_execz .LBB42_75
	s_branch .LBB42_76
.LBB42_74:
                                        ; implicit-def: $vgpr6
.LBB42_75:
	v_div_scale_f32 v6, s[2:3], v0, v0, v2
	v_rcp_f32_e32 v7, v6
	v_div_scale_f32 v8, vcc, v2, v0, v2
	s_mov_b32 s2, 0xf800000
	v_fma_f32 v9, -v6, v7, 1.0
	v_fmac_f32_e32 v7, v9, v7
	v_mul_f32_e32 v9, v8, v7
	v_fma_f32 v10, -v6, v9, v8
	v_fmac_f32_e32 v9, v10, v7
	v_fma_f32 v6, -v6, v9, v8
	v_div_fmas_f32 v6, v6, v7, v9
	v_div_fixup_f32 v2, v6, v0, v2
	v_fma_f32 v2, v2, v2, 1.0
	v_mul_f32_e32 v6, 0x4f800000, v2
	v_cmp_gt_f32_e32 vcc, s2, v2
	v_cndmask_b32_e32 v2, v2, v6, vcc
	v_sqrt_f32_e32 v6, v2
	v_add_u32_e32 v7, -1, v6
	v_fma_f32 v8, -v7, v6, v2
	v_cmp_ge_f32_e64 s[2:3], 0, v8
	v_add_u32_e32 v8, 1, v6
	v_cndmask_b32_e64 v7, v6, v7, s[2:3]
	v_fma_f32 v6, -v8, v6, v2
	v_cmp_lt_f32_e64 s[2:3], 0, v6
	v_cndmask_b32_e64 v6, v7, v8, s[2:3]
	v_mul_f32_e32 v7, 0x37800000, v6
	v_cndmask_b32_e32 v6, v6, v7, vcc
	v_mov_b32_e32 v7, 0x260
	v_cmp_class_f32_e32 vcc, v2, v7
	v_cndmask_b32_e32 v2, v6, v2, vcc
	v_mul_f32_e32 v6, v0, v2
.LBB42_76:
	s_mov_b32 s2, 0xf800000
	v_mul_f32_e32 v0, 0x4f800000, v6
	v_cmp_gt_f32_e32 vcc, s2, v6
	v_cndmask_b32_e32 v0, v6, v0, vcc
	v_sqrt_f32_e32 v2, v0
	v_add_u32_e32 v6, -1, v2
	v_fma_f32 v7, -v6, v2, v0
	v_cmp_ge_f32_e64 s[2:3], 0, v7
	v_add_u32_e32 v7, 1, v2
	v_cndmask_b32_e64 v6, v2, v6, s[2:3]
	v_fma_f32 v2, -v7, v2, v0
	v_cmp_lt_f32_e64 s[2:3], 0, v2
	v_cndmask_b32_e64 v2, v6, v7, s[2:3]
	v_mul_f32_e32 v6, 0x37800000, v2
	v_cndmask_b32_e32 v2, v2, v6, vcc
	v_mov_b32_e32 v6, 0x260
	v_cmp_class_f32_e32 vcc, v0, v6
	v_cndmask_b32_e32 v6, v2, v0, vcc
	v_mov_b32_e32 v7, 0
	ds_write_b64 v7, v[6:7] offset:616
.LBB42_77:
	s_or_b64 exec, exec, s[4:5]
	v_mov_b32_e32 v0, 0
	s_waitcnt lgkmcnt(0)
	ds_read_b64 v[6:7], v0 offset:616
	s_waitcnt lgkmcnt(0)
	v_cmp_neq_f32_e32 vcc, 0, v6
	v_cmp_neq_f32_e64 s[2:3], 0, v7
	s_or_b64 vcc, vcc, s[2:3]
	s_or_b64 s[2:3], vcc, s[0:1]
	v_cndmask_b32_e32 v0, 1.0, v6, vcc
	s_xor_b64 s[4:5], s[2:3], -1
	v_cndmask_b32_e32 v2, 0, v7, vcc
	s_and_saveexec_b64 s[2:3], s[4:5]
	s_cbranch_execz .LBB42_81
; %bb.78:
	v_mbcnt_lo_u32_b32 v0, exec_lo, 0
	v_mbcnt_hi_u32_b32 v0, exec_hi, v0
	v_cmp_eq_u32_e32 vcc, 0, v0
	s_and_saveexec_b64 s[4:5], vcc
	s_cbranch_execz .LBB42_80
; %bb.79:
	v_mov_b32_e32 v0, 0
	v_mov_b32_e32 v2, s18
	global_atomic_smin v0, v2, s[14:15]
.LBB42_80:
	s_or_b64 exec, exec, s[4:5]
	v_mov_b32_e32 v0, 1.0
	v_mov_b32_e32 v2, 0
.LBB42_81:
	s_or_b64 exec, exec, s[2:3]
	v_cmp_lt_u32_e32 vcc, 1, v13
	s_and_saveexec_b64 s[2:3], vcc
	s_cbranch_execz .LBB42_83
; %bb.82:
	v_mul_f32_e32 v10, v2, v2
	v_fmac_f32_e32 v10, v0, v0
	v_div_scale_f32 v11, s[4:5], v10, v10, 1.0
	v_rcp_f32_e32 v15, v11
	v_lshlrev_b32_e32 v16, 5, v13
	ds_read2_b64 v[6:9], v16 offset0:73 offset1:85
	v_fma_f32 v17, -v11, v15, 1.0
	v_fmac_f32_e32 v15, v17, v15
	v_div_scale_f32 v17, vcc, 1.0, v10, 1.0
	v_mul_f32_e32 v18, v17, v15
	v_fma_f32 v19, -v11, v18, v17
	v_fmac_f32_e32 v18, v19, v15
	v_fma_f32 v11, -v11, v18, v17
	s_waitcnt lgkmcnt(0)
	v_pk_add_f32 v[6:7], v[6:7], v[8:9] op_sel:[1,1] op_sel_hi:[0,0] neg_lo:[0,1] neg_hi:[0,1]
	v_div_fmas_f32 v11, v11, v15, v18
	v_pk_mul_f32 v[8:9], v[2:3], v[6:7] op_sel:[0,1] op_sel_hi:[0,0] neg_lo:[0,1]
	v_div_fixup_f32 v10, v11, v10, 1.0
	v_lshlrev_b32_e32 v11, 5, v12
	v_pk_fma_f32 v[6:7], v[6:7], v[0:1], v[8:9] op_sel_hi:[1,0,1]
	v_pk_mul_f32 v[6:7], v[10:11], v[6:7] op_sel_hi:[0,1]
	v_mov_b32_e32 v8, v7
	v_mov_b32_e32 v9, v6
	ds_write_b64 v16, v[8:9] offset:584
	s_waitcnt lgkmcnt(0)
	ds_read_b64 v[8:9], v11 offset:584
	ds_read_b64 v[10:11], v3
	s_waitcnt lgkmcnt(0)
	v_pk_fma_f32 v[10:11], v[6:7], v[8:9], v[10:11] op_sel:[1,0,0] op_sel_hi:[0,0,1]
	v_pk_fma_f32 v[6:7], v[6:7], v[8:9], v[10:11] op_sel:[0,1,0] neg_hi:[0,1,0]
	ds_write_b64 v3, v[6:7]
.LBB42_83:
	s_or_b64 exec, exec, s[2:3]
	v_cmp_eq_u32_e32 vcc, 2, v13
	s_waitcnt lgkmcnt(0)
	s_and_saveexec_b64 s[4:5], vcc
	s_cbranch_execz .LBB42_91
; %bb.84:
	v_mov_b32_e32 v6, 0
	ds_read2_b64 v[8:11], v6 offset0:82 offset1:94
	s_waitcnt lgkmcnt(0)
	v_sub_f32_e32 v0, v8, v10
	v_sub_f32_e32 v7, v9, v11
	v_cmp_gt_f32_e32 vcc, 0, v0
	v_cndmask_b32_e64 v0, v0, -v0, vcc
	v_cmp_gt_f32_e32 vcc, 0, v7
	v_cndmask_b32_e64 v2, v7, -v7, vcc
	v_cmp_gt_f32_e32 vcc, v0, v2
	s_cbranch_vccnz .LBB42_88
; %bb.85:
	v_cmp_eq_f32_e32 vcc, 0, v7
	s_cbranch_vccnz .LBB42_87
; %bb.86:
	v_div_scale_f32 v6, s[2:3], v2, v2, v0
	v_rcp_f32_e32 v7, v6
	v_div_scale_f32 v8, vcc, v0, v2, v0
	s_mov_b32 s2, 0xf800000
	v_fma_f32 v9, -v6, v7, 1.0
	v_fmac_f32_e32 v7, v9, v7
	v_mul_f32_e32 v9, v8, v7
	v_fma_f32 v10, -v6, v9, v8
	v_fmac_f32_e32 v9, v10, v7
	v_fma_f32 v6, -v6, v9, v8
	v_div_fmas_f32 v6, v6, v7, v9
	v_div_fixup_f32 v6, v6, v2, v0
	v_fma_f32 v6, v6, v6, 1.0
	v_mul_f32_e32 v7, 0x4f800000, v6
	v_cmp_gt_f32_e32 vcc, s2, v6
	v_cndmask_b32_e32 v6, v6, v7, vcc
	v_sqrt_f32_e32 v7, v6
	v_add_u32_e32 v8, -1, v7
	v_fma_f32 v9, -v8, v7, v6
	v_cmp_ge_f32_e64 s[2:3], 0, v9
	v_add_u32_e32 v9, 1, v7
	v_cndmask_b32_e64 v8, v7, v8, s[2:3]
	v_fma_f32 v7, -v9, v7, v6
	v_cmp_lt_f32_e64 s[2:3], 0, v7
	v_cndmask_b32_e64 v7, v8, v9, s[2:3]
	v_mul_f32_e32 v8, 0x37800000, v7
	v_cndmask_b32_e32 v7, v7, v8, vcc
	v_mov_b32_e32 v8, 0x260
	v_cmp_class_f32_e32 vcc, v6, v8
	v_cndmask_b32_e32 v6, v7, v6, vcc
	v_mul_f32_e32 v6, v2, v6
.LBB42_87:
	s_cbranch_execz .LBB42_89
	s_branch .LBB42_90
.LBB42_88:
                                        ; implicit-def: $vgpr6
.LBB42_89:
	v_div_scale_f32 v6, s[2:3], v0, v0, v2
	v_rcp_f32_e32 v7, v6
	v_div_scale_f32 v8, vcc, v2, v0, v2
	s_mov_b32 s2, 0xf800000
	v_fma_f32 v9, -v6, v7, 1.0
	v_fmac_f32_e32 v7, v9, v7
	v_mul_f32_e32 v9, v8, v7
	v_fma_f32 v10, -v6, v9, v8
	v_fmac_f32_e32 v9, v10, v7
	v_fma_f32 v6, -v6, v9, v8
	v_div_fmas_f32 v6, v6, v7, v9
	v_div_fixup_f32 v2, v6, v0, v2
	v_fma_f32 v2, v2, v2, 1.0
	v_mul_f32_e32 v6, 0x4f800000, v2
	v_cmp_gt_f32_e32 vcc, s2, v2
	v_cndmask_b32_e32 v2, v2, v6, vcc
	v_sqrt_f32_e32 v6, v2
	v_add_u32_e32 v7, -1, v6
	v_fma_f32 v8, -v7, v6, v2
	v_cmp_ge_f32_e64 s[2:3], 0, v8
	v_add_u32_e32 v8, 1, v6
	v_cndmask_b32_e64 v7, v6, v7, s[2:3]
	v_fma_f32 v6, -v8, v6, v2
	v_cmp_lt_f32_e64 s[2:3], 0, v6
	v_cndmask_b32_e64 v6, v7, v8, s[2:3]
	v_mul_f32_e32 v7, 0x37800000, v6
	v_cndmask_b32_e32 v6, v6, v7, vcc
	v_mov_b32_e32 v7, 0x260
	v_cmp_class_f32_e32 vcc, v2, v7
	v_cndmask_b32_e32 v2, v6, v2, vcc
	v_mul_f32_e32 v6, v0, v2
.LBB42_90:
	s_mov_b32 s2, 0xf800000
	v_mul_f32_e32 v0, 0x4f800000, v6
	v_cmp_gt_f32_e32 vcc, s2, v6
	v_cndmask_b32_e32 v0, v6, v0, vcc
	v_sqrt_f32_e32 v2, v0
	v_add_u32_e32 v6, -1, v2
	v_fma_f32 v7, -v6, v2, v0
	v_cmp_ge_f32_e64 s[2:3], 0, v7
	v_add_u32_e32 v7, 1, v2
	v_cndmask_b32_e64 v6, v2, v6, s[2:3]
	v_fma_f32 v2, -v7, v2, v0
	v_cmp_lt_f32_e64 s[2:3], 0, v2
	v_cndmask_b32_e64 v2, v6, v7, s[2:3]
	v_mul_f32_e32 v6, 0x37800000, v2
	v_cndmask_b32_e32 v2, v2, v6, vcc
	v_mov_b32_e32 v6, 0x260
	v_cmp_class_f32_e32 vcc, v0, v6
	v_cndmask_b32_e32 v6, v2, v0, vcc
	v_mov_b32_e32 v7, 0
	ds_write_b64 v7, v[6:7] offset:656
.LBB42_91:
	s_or_b64 exec, exec, s[4:5]
	v_mov_b32_e32 v0, 0
	s_waitcnt lgkmcnt(0)
	ds_read_b64 v[6:7], v0 offset:656
	s_waitcnt lgkmcnt(0)
	v_cmp_neq_f32_e32 vcc, 0, v6
	v_cmp_neq_f32_e64 s[2:3], 0, v7
	s_or_b64 vcc, vcc, s[2:3]
	s_or_b64 s[0:1], vcc, s[0:1]
	v_cndmask_b32_e32 v0, 1.0, v6, vcc
	s_xor_b64 s[2:3], s[0:1], -1
	v_cndmask_b32_e32 v2, 0, v7, vcc
	s_and_saveexec_b64 s[0:1], s[2:3]
	s_cbranch_execnz .LBB42_104
; %bb.92:
	s_or_b64 exec, exec, s[0:1]
	v_cmp_lt_u32_e32 vcc, 2, v13
	s_and_saveexec_b64 s[0:1], vcc
	s_cbranch_execnz .LBB42_107
.LBB42_93:
	s_or_b64 exec, exec, s[0:1]
	s_andn2_b64 vcc, exec, s[8:9]
	s_cbranch_vccnz .LBB42_95
.LBB42_94:
	v_mov_b32_e32 v14, v1
.LBB42_95:
	v_add_u32_e32 v0, s30, v14
	ds_read_b64 v[2:3], v4
	v_ashrrev_i32_e32 v1, 31, v0
	v_lshlrev_b64 v[0:1], 3, v[0:1]
	v_mov_b32_e32 v6, s21
	v_add_co_u32_e32 v0, vcc, s20, v0
	v_addc_co_u32_e32 v1, vcc, v6, v1, vcc
	s_waitcnt lgkmcnt(0)
	global_store_dwordx2 v[0:1], v[2:3], off
	v_cmp_eq_u32_e64 s[0:1], 0, v5
	s_branch .LBB42_101
.LBB42_96:
	v_or_b32_e32 v0, v12, v13
	v_cmp_eq_u32_e32 vcc, 0, v0
	s_and_saveexec_b64 s[2:3], vcc
	s_cbranch_execz .LBB42_100
; %bb.97:
	v_mbcnt_lo_u32_b32 v0, exec_lo, 0
	v_mbcnt_hi_u32_b32 v0, exec_hi, v0
	v_cmp_eq_u32_e32 vcc, 0, v0
	s_and_saveexec_b64 s[4:5], vcc
	s_cbranch_execz .LBB42_99
; %bb.98:
	s_add_i32 s8, s12, s13
	v_mov_b32_e32 v0, 0
	v_mov_b32_e32 v1, s8
	global_atomic_smin v0, v1, s[14:15]
.LBB42_99:
	s_or_b64 exec, exec, s[4:5]
	s_or_b64 s[0:1], s[0:1], exec
.LBB42_100:
	s_or_b64 exec, exec, s[2:3]
.LBB42_101:
	s_and_saveexec_b64 s[2:3], s[0:1]
	s_cbranch_execnz .LBB42_103
; %bb.102:
	s_endpgm
.LBB42_103:
	s_add_u32 s0, s10, s6
	s_addc_u32 s1, s11, s7
	v_mov_b32_e32 v0, 0
	v_mov_b32_e32 v1, 1
	s_waitcnt vmcnt(0)
	global_store_dword v0, v1, s[0:1]
	s_endpgm
.LBB42_104:
	v_mbcnt_lo_u32_b32 v0, exec_lo, 0
	v_mbcnt_hi_u32_b32 v0, exec_hi, v0
	v_cmp_eq_u32_e32 vcc, 0, v0
	s_and_saveexec_b64 s[2:3], vcc
	s_cbranch_execz .LBB42_106
; %bb.105:
	v_mov_b32_e32 v0, 0
	v_mov_b32_e32 v2, s18
	global_atomic_smin v0, v2, s[14:15]
.LBB42_106:
	s_or_b64 exec, exec, s[2:3]
	v_mov_b32_e32 v0, 1.0
	v_mov_b32_e32 v2, 0
	s_or_b64 exec, exec, s[0:1]
	v_cmp_lt_u32_e32 vcc, 2, v13
	s_and_saveexec_b64 s[0:1], vcc
	s_cbranch_execz .LBB42_93
.LBB42_107:
	v_mul_f32_e32 v10, v2, v2
	v_fmac_f32_e32 v10, v0, v0
	v_div_scale_f32 v11, s[2:3], v10, v10, 1.0
	v_rcp_f32_e32 v15, v11
	v_lshlrev_b32_e32 v16, 5, v13
	ds_read2_b64 v[6:9], v16 offset0:74 offset1:86
	v_fma_f32 v17, -v11, v15, 1.0
	v_fmac_f32_e32 v15, v17, v15
	v_div_scale_f32 v17, vcc, 1.0, v10, 1.0
	v_mul_f32_e32 v18, v17, v15
	v_fma_f32 v19, -v11, v18, v17
	v_fmac_f32_e32 v18, v19, v15
	v_fma_f32 v11, -v11, v18, v17
	s_waitcnt lgkmcnt(0)
	v_pk_add_f32 v[6:7], v[6:7], v[8:9] op_sel:[1,1] op_sel_hi:[0,0] neg_lo:[0,1] neg_hi:[0,1]
	v_div_fmas_f32 v11, v11, v15, v18
	v_pk_mul_f32 v[8:9], v[2:3], v[6:7] op_sel:[0,1] op_sel_hi:[0,0] neg_lo:[0,1]
	v_div_fixup_f32 v10, v11, v10, 1.0
	v_lshlrev_b32_e32 v11, 5, v12
	v_pk_fma_f32 v[6:7], v[6:7], v[0:1], v[8:9] op_sel_hi:[1,0,1]
	v_pk_mul_f32 v[6:7], v[10:11], v[6:7] op_sel_hi:[0,1]
	v_mov_b32_e32 v8, v7
	v_mov_b32_e32 v9, v6
	ds_write_b64 v16, v[8:9] offset:592
	s_waitcnt lgkmcnt(0)
	ds_read_b64 v[8:9], v11 offset:592
	ds_read_b64 v[10:11], v3
	s_waitcnt lgkmcnt(0)
	v_pk_fma_f32 v[10:11], v[6:7], v[8:9], v[10:11] op_sel:[1,0,0] op_sel_hi:[0,0,1]
	v_pk_fma_f32 v[6:7], v[6:7], v[8:9], v[10:11] op_sel:[0,1,0] neg_hi:[0,1,0]
	ds_write_b64 v3, v[6:7]
	s_or_b64 exec, exec, s[0:1]
	s_andn2_b64 vcc, exec, s[8:9]
	s_waitcnt lgkmcnt(0)
	s_cbranch_vccz .LBB42_94
	s_branch .LBB42_95
	.section	.rodata,"a",@progbits
	.p2align	6, 0x0
	.amdhsa_kernel _ZN9rocsparseL26bsric0_2_8_unrolled_kernelILi9ELi32ELi3E21rocsparse_complex_numIfEEEv20rocsparse_direction_iiPKiS5_PT2_S5_PiS5_S8_21rocsparse_index_base_
		.amdhsa_group_segment_fixed_size 768
		.amdhsa_private_segment_fixed_size 0
		.amdhsa_kernarg_size 76
		.amdhsa_user_sgpr_count 6
		.amdhsa_user_sgpr_private_segment_buffer 1
		.amdhsa_user_sgpr_dispatch_ptr 0
		.amdhsa_user_sgpr_queue_ptr 0
		.amdhsa_user_sgpr_kernarg_segment_ptr 1
		.amdhsa_user_sgpr_dispatch_id 0
		.amdhsa_user_sgpr_flat_scratch_init 0
		.amdhsa_user_sgpr_kernarg_preload_length 0
		.amdhsa_user_sgpr_kernarg_preload_offset 0
		.amdhsa_user_sgpr_private_segment_size 0
		.amdhsa_uses_dynamic_stack 0
		.amdhsa_system_sgpr_private_segment_wavefront_offset 0
		.amdhsa_system_sgpr_workgroup_id_x 1
		.amdhsa_system_sgpr_workgroup_id_y 0
		.amdhsa_system_sgpr_workgroup_id_z 0
		.amdhsa_system_sgpr_workgroup_info 0
		.amdhsa_system_vgpr_workitem_id 1
		.amdhsa_next_free_vgpr 72
		.amdhsa_next_free_sgpr 40
		.amdhsa_accum_offset 72
		.amdhsa_reserve_vcc 1
		.amdhsa_reserve_flat_scratch 0
		.amdhsa_float_round_mode_32 0
		.amdhsa_float_round_mode_16_64 0
		.amdhsa_float_denorm_mode_32 3
		.amdhsa_float_denorm_mode_16_64 3
		.amdhsa_dx10_clamp 1
		.amdhsa_ieee_mode 1
		.amdhsa_fp16_overflow 0
		.amdhsa_tg_split 0
		.amdhsa_exception_fp_ieee_invalid_op 0
		.amdhsa_exception_fp_denorm_src 0
		.amdhsa_exception_fp_ieee_div_zero 0
		.amdhsa_exception_fp_ieee_overflow 0
		.amdhsa_exception_fp_ieee_underflow 0
		.amdhsa_exception_fp_ieee_inexact 0
		.amdhsa_exception_int_div_zero 0
	.end_amdhsa_kernel
	.section	.text._ZN9rocsparseL26bsric0_2_8_unrolled_kernelILi9ELi32ELi3E21rocsparse_complex_numIfEEEv20rocsparse_direction_iiPKiS5_PT2_S5_PiS5_S8_21rocsparse_index_base_,"axG",@progbits,_ZN9rocsparseL26bsric0_2_8_unrolled_kernelILi9ELi32ELi3E21rocsparse_complex_numIfEEEv20rocsparse_direction_iiPKiS5_PT2_S5_PiS5_S8_21rocsparse_index_base_,comdat
.Lfunc_end42:
	.size	_ZN9rocsparseL26bsric0_2_8_unrolled_kernelILi9ELi32ELi3E21rocsparse_complex_numIfEEEv20rocsparse_direction_iiPKiS5_PT2_S5_PiS5_S8_21rocsparse_index_base_, .Lfunc_end42-_ZN9rocsparseL26bsric0_2_8_unrolled_kernelILi9ELi32ELi3E21rocsparse_complex_numIfEEEv20rocsparse_direction_iiPKiS5_PT2_S5_PiS5_S8_21rocsparse_index_base_
                                        ; -- End function
	.section	.AMDGPU.csdata,"",@progbits
; Kernel info:
; codeLenInByte = 7068
; NumSgprs: 44
; NumVgprs: 72
; NumAgprs: 0
; TotalNumVgprs: 72
; ScratchSize: 0
; MemoryBound: 0
; FloatMode: 240
; IeeeMode: 1
; LDSByteSize: 768 bytes/workgroup (compile time only)
; SGPRBlocks: 5
; VGPRBlocks: 8
; NumSGPRsForWavesPerEU: 44
; NumVGPRsForWavesPerEU: 72
; AccumOffset: 72
; Occupancy: 7
; WaveLimiterHint : 1
; COMPUTE_PGM_RSRC2:SCRATCH_EN: 0
; COMPUTE_PGM_RSRC2:USER_SGPR: 6
; COMPUTE_PGM_RSRC2:TRAP_HANDLER: 0
; COMPUTE_PGM_RSRC2:TGID_X_EN: 1
; COMPUTE_PGM_RSRC2:TGID_Y_EN: 0
; COMPUTE_PGM_RSRC2:TGID_Z_EN: 0
; COMPUTE_PGM_RSRC2:TIDIG_COMP_CNT: 1
; COMPUTE_PGM_RSRC3_GFX90A:ACCUM_OFFSET: 17
; COMPUTE_PGM_RSRC3_GFX90A:TG_SPLIT: 0
	.section	.text._ZN9rocsparseL26bsric0_2_8_unrolled_kernelILi16ELi32ELi4E21rocsparse_complex_numIfEEEv20rocsparse_direction_iiPKiS5_PT2_S5_PiS5_S8_21rocsparse_index_base_,"axG",@progbits,_ZN9rocsparseL26bsric0_2_8_unrolled_kernelILi16ELi32ELi4E21rocsparse_complex_numIfEEEv20rocsparse_direction_iiPKiS5_PT2_S5_PiS5_S8_21rocsparse_index_base_,comdat
	.globl	_ZN9rocsparseL26bsric0_2_8_unrolled_kernelILi16ELi32ELi4E21rocsparse_complex_numIfEEEv20rocsparse_direction_iiPKiS5_PT2_S5_PiS5_S8_21rocsparse_index_base_ ; -- Begin function _ZN9rocsparseL26bsric0_2_8_unrolled_kernelILi16ELi32ELi4E21rocsparse_complex_numIfEEEv20rocsparse_direction_iiPKiS5_PT2_S5_PiS5_S8_21rocsparse_index_base_
	.p2align	8
	.type	_ZN9rocsparseL26bsric0_2_8_unrolled_kernelILi16ELi32ELi4E21rocsparse_complex_numIfEEEv20rocsparse_direction_iiPKiS5_PT2_S5_PiS5_S8_21rocsparse_index_base_,@function
_ZN9rocsparseL26bsric0_2_8_unrolled_kernelILi16ELi32ELi4E21rocsparse_complex_numIfEEEv20rocsparse_direction_iiPKiS5_PT2_S5_PiS5_S8_21rocsparse_index_base_: ; @_ZN9rocsparseL26bsric0_2_8_unrolled_kernelILi16ELi32ELi4E21rocsparse_complex_numIfEEEv20rocsparse_direction_iiPKiS5_PT2_S5_PiS5_S8_21rocsparse_index_base_
; %bb.0:
	s_load_dwordx8 s[8:15], s[4:5], 0x28
	s_mov_b32 s7, 0
	s_lshl_b64 s[0:1], s[6:7], 2
	v_and_b32_e32 v12, 0x3ff, v0
	v_bfe_u32 v13, v0, 10, 10
	s_waitcnt lgkmcnt(0)
	s_add_u32 s0, s12, s0
	s_addc_u32 s1, s13, s1
	s_load_dword s12, s[0:1], 0x0
	s_waitcnt lgkmcnt(0)
	s_ashr_i32 s13, s12, 31
	s_lshl_b64 s[6:7], s[12:13], 2
	s_add_u32 s0, s8, s6
	s_addc_u32 s1, s9, s7
	s_load_dword s30, s[0:1], 0x0
	s_load_dword s13, s[4:5], 0x48
	s_waitcnt lgkmcnt(0)
	s_cmp_lg_u32 s30, -1
	s_cbranch_scc0 .LBB43_16
; %bb.1:
	s_load_dwordx4 s[16:19], s[4:5], 0x10
	v_lshlrev_b32_e32 v15, 2, v13
	v_add_u32_e32 v14, v15, v12
	s_waitcnt lgkmcnt(0)
	s_add_u32 s0, s16, s6
	s_addc_u32 s1, s17, s7
	s_load_dword s24, s[0:1], 0x0
	s_waitcnt lgkmcnt(0)
	s_sub_i32 s31, s24, s13
	v_add_u32_e32 v0, s31, v14
	v_cmp_ge_i32_e32 vcc, s30, v0
	s_and_saveexec_b64 s[0:1], vcc
	s_cbranch_execz .LBB43_14
; %bb.2:
	v_add_u32_e32 v1, s24, v14
	v_subrev_u32_e32 v1, s13, v1
	v_add_u32_e32 v1, 16, v1
	s_add_i32 s2, s30, 1
	v_max_i32_e32 v1, s2, v1
	v_not_b32_e32 v2, v12
	v_add3_u32 v1, v1, s13, v2
	v_add_u32_e32 v2, s24, v15
	v_sub_u32_e32 v1, v1, v2
	v_cmp_lt_u32_e32 vcc, 15, v1
	s_mov_b64 s[20:21], -1
	s_and_saveexec_b64 s[2:3], vcc
	s_cbranch_execz .LBB43_11
; %bb.3:
	v_lshrrev_b32_e32 v16, 4, v1
	v_add_u32_e32 v2, -1, v16
	v_add_u32_e32 v1, 16, v0
	v_lshrrev_b32_e32 v3, 1, v2
	v_add_u32_e32 v17, 1, v3
	v_cmp_lt_u32_e32 vcc, 13, v2
	v_pk_mov_b32 v[2:3], v[0:1], v[0:1] op_sel:[0,1]
	s_and_saveexec_b64 s[20:21], vcc
	s_cbranch_execz .LBB43_7
; %bb.4:
	v_and_b32_e32 v18, -8, v17
	s_mov_b64 s[22:23], 0
	v_mov_b32_e32 v19, s19
	v_pk_mov_b32 v[2:3], v[0:1], v[0:1] op_sel:[0,1]
.LBB43_5:                               ; =>This Inner Loop Header: Depth=1
	v_ashrrev_i32_e32 v23, 31, v2
	v_mov_b32_e32 v22, v2
	v_lshlrev_b64 v[22:23], 2, v[22:23]
	v_ashrrev_i32_e32 v21, 31, v3
	v_mov_b32_e32 v20, v3
	v_add_co_u32_e32 v22, vcc, s18, v22
	v_add_u32_e32 v4, 32, v2
	v_lshlrev_b64 v[20:21], 2, v[20:21]
	v_addc_co_u32_e32 v23, vcc, v19, v23, vcc
	v_ashrrev_i32_e32 v5, 31, v4
	v_add_co_u32_e32 v20, vcc, s18, v20
	v_add_u32_e32 v6, 32, v3
	v_addc_co_u32_e32 v21, vcc, v19, v21, vcc
	v_lshlrev_b64 v[42:43], 2, v[4:5]
	v_ashrrev_i32_e32 v7, 31, v6
	v_add_co_u32_e32 v42, vcc, s18, v42
	v_add_u32_e32 v8, 64, v2
	v_lshlrev_b64 v[44:45], 2, v[6:7]
	v_addc_co_u32_e32 v43, vcc, v19, v43, vcc
	v_ashrrev_i32_e32 v9, 31, v8
	v_add_co_u32_e32 v44, vcc, s18, v44
	v_add_u32_e32 v10, 64, v3
	v_lshlrev_b64 v[46:47], 2, v[8:9]
	v_addc_co_u32_e32 v45, vcc, v19, v45, vcc
	;; [unrolled: 5-line block ×11, first 2 shown]
	v_ashrrev_i32_e32 v41, 31, v40
	v_add_co_u32_e32 v64, vcc, s18, v64
	v_addc_co_u32_e32 v65, vcc, v19, v65, vcc
	v_lshlrev_b64 v[66:67], 2, v[40:41]
	v_add_u32_e32 v68, 0xe0, v3
	v_add_co_u32_e32 v66, vcc, s18, v66
	v_ashrrev_i32_e32 v69, 31, v68
	v_addc_co_u32_e32 v67, vcc, v19, v67, vcc
	v_lshlrev_b64 v[70:71], 2, v[68:69]
	v_add_co_u32_e32 v70, vcc, s18, v70
	v_addc_co_u32_e32 v71, vcc, v19, v71, vcc
	global_load_dword v1, v[20:21], off
	global_load_dword v5, v[22:23], off
	;; [unrolled: 1-line block ×15, first 2 shown]
                                        ; kill: killed $vgpr48 killed $vgpr49
                                        ; kill: killed $vgpr50 killed $vgpr51
                                        ; kill: killed $vgpr44 killed $vgpr45
                                        ; kill: killed $vgpr46 killed $vgpr47
                                        ; kill: killed $vgpr70 killed $vgpr71
                                        ; kill: killed $vgpr42 killed $vgpr43
                                        ; kill: killed $vgpr64 killed $vgpr65
                                        ; kill: killed $vgpr62 killed $vgpr63
                                        ; kill: killed $vgpr60 killed $vgpr61
                                        ; kill: killed $vgpr20 killed $vgpr21
                                        ; kill: killed $vgpr56 killed $vgpr57
                                        ; kill: killed $vgpr58 killed $vgpr59
                                        ; kill: killed $vgpr22 killed $vgpr23
                                        ; kill: killed $vgpr52 killed $vgpr53
                                        ; kill: killed $vgpr54 killed $vgpr55
	global_load_dword v20, v[66:67], off
	v_subrev_u32_e32 v22, s31, v2
	v_add_u32_e32 v18, -8, v18
	v_subrev_u32_e32 v21, s31, v3
	v_lshlrev_b32_e32 v22, 2, v22
	v_subrev_u32_e32 v4, s31, v4
	v_cmp_eq_u32_e32 vcc, 0, v18
	v_add_u32_e32 v3, 0x100, v3
	v_add_u32_e32 v2, 0x100, v2
	v_lshlrev_b32_e32 v21, 2, v21
	v_subrev_u32_e32 v6, s31, v6
	v_subrev_u32_e32 v10, s31, v10
	;; [unrolled: 1-line block ×13, first 2 shown]
	v_lshlrev_b32_e32 v4, 2, v4
	s_or_b64 s[22:23], vcc, s[22:23]
	v_lshlrev_b32_e32 v6, 2, v6
	v_lshlrev_b32_e32 v8, 2, v8
	;; [unrolled: 1-line block ×13, first 2 shown]
	s_waitcnt vmcnt(15)
	v_subrev_u32_e32 v1, s13, v1
	s_waitcnt vmcnt(14)
	v_subrev_u32_e32 v5, s13, v5
	ds_write_b32 v22, v5 offset:896
	ds_write_b32 v21, v1 offset:896
	s_waitcnt vmcnt(12)
	v_subrev_u32_e32 v5, s13, v9
	v_subrev_u32_e32 v1, s13, v7
	s_waitcnt vmcnt(11)
	v_subrev_u32_e32 v7, s13, v11
	s_waitcnt vmcnt(10)
	v_subrev_u32_e32 v9, s13, v25
	s_waitcnt vmcnt(9)
	v_subrev_u32_e32 v11, s13, v27
	s_waitcnt vmcnt(8)
	v_subrev_u32_e32 v21, s13, v29
	s_waitcnt vmcnt(7)
	v_subrev_u32_e32 v22, s13, v31
	s_waitcnt vmcnt(6)
	v_subrev_u32_e32 v25, s13, v33
	s_waitcnt vmcnt(5)
	v_subrev_u32_e32 v27, s13, v35
	s_waitcnt vmcnt(4)
	v_subrev_u32_e32 v29, s13, v37
	s_waitcnt vmcnt(3)
	v_subrev_u32_e32 v31, s13, v39
	s_waitcnt vmcnt(2)
	v_subrev_u32_e32 v33, s13, v41
	s_waitcnt vmcnt(1)
	v_subrev_u32_e32 v35, s13, v69
	s_waitcnt vmcnt(0)
	v_subrev_u32_e32 v20, s13, v20
	ds_write_b32 v4, v5 offset:896
	ds_write_b32 v6, v1 offset:896
	ds_write_b32 v8, v9 offset:896
	ds_write_b32 v10, v7 offset:896
	ds_write_b32 v24, v21 offset:896
	ds_write_b32 v23, v11 offset:896
	ds_write_b32 v28, v25 offset:896
	ds_write_b32 v26, v22 offset:896
	ds_write_b32 v32, v29 offset:896
	ds_write_b32 v30, v27 offset:896
	ds_write_b32 v36, v33 offset:896
	ds_write_b32 v34, v31 offset:896
	ds_write_b32 v40, v20 offset:896
	ds_write_b32 v38, v35 offset:896
	s_andn2_b64 exec, exec, s[22:23]
	s_cbranch_execnz .LBB43_5
; %bb.6:
	s_or_b64 exec, exec, s[22:23]
.LBB43_7:
	s_or_b64 exec, exec, s[20:21]
	v_and_b32_e32 v1, 7, v17
	v_cmp_ne_u32_e32 vcc, 0, v1
	s_and_saveexec_b64 s[20:21], vcc
	s_cbranch_execz .LBB43_10
; %bb.8:
	s_mov_b64 s[22:23], 0
	v_mov_b32_e32 v4, s19
.LBB43_9:                               ; =>This Inner Loop Header: Depth=1
	v_ashrrev_i32_e32 v9, 31, v2
	v_mov_b32_e32 v8, v2
	v_lshlrev_b64 v[8:9], 2, v[8:9]
	v_ashrrev_i32_e32 v7, 31, v3
	v_mov_b32_e32 v6, v3
	v_add_co_u32_e32 v8, vcc, s18, v8
	v_lshlrev_b64 v[6:7], 2, v[6:7]
	v_addc_co_u32_e32 v9, vcc, v4, v9, vcc
	v_add_co_u32_e32 v6, vcc, s18, v6
	v_addc_co_u32_e32 v7, vcc, v4, v7, vcc
	global_load_dword v5, v[6:7], off
	global_load_dword v10, v[8:9], off
	v_add_u32_e32 v1, -1, v1
	v_subrev_u32_e32 v7, s31, v2
	v_cmp_eq_u32_e32 vcc, 0, v1
	v_subrev_u32_e32 v6, s31, v3
	v_add_u32_e32 v3, 32, v3
	v_add_u32_e32 v2, 32, v2
	v_lshlrev_b32_e32 v7, 2, v7
	s_or_b64 s[22:23], vcc, s[22:23]
	v_lshlrev_b32_e32 v6, 2, v6
	s_waitcnt vmcnt(1)
	v_subrev_u32_e32 v5, s13, v5
	s_waitcnt vmcnt(0)
	v_subrev_u32_e32 v8, s13, v10
	ds_write_b32 v7, v8 offset:896
	ds_write_b32 v6, v5 offset:896
	s_andn2_b64 exec, exec, s[22:23]
	s_cbranch_execnz .LBB43_9
.LBB43_10:
	s_or_b64 exec, exec, s[20:21]
	v_add_u32_e32 v1, 1, v16
	v_and_b32_e32 v2, 0x1ffffffe, v1
	v_cmp_ne_u32_e32 vcc, v1, v2
	v_lshl_add_u32 v0, v2, 4, v0
	s_orn2_b64 s[20:21], vcc, exec
.LBB43_11:
	s_or_b64 exec, exec, s[2:3]
	s_and_b64 exec, exec, s[20:21]
	s_cbranch_execz .LBB43_14
; %bb.12:
	v_add_u32_e32 v1, s13, v0
	v_subrev_u32_e32 v1, s24, v1
	v_mov_b32_e32 v2, 0x380
	v_lshl_add_u32 v4, v1, 2, v2
	v_ashrrev_i32_e32 v1, 31, v0
	v_lshlrev_b64 v[2:3], 2, v[0:1]
	v_mov_b32_e32 v1, s19
	v_add_co_u32_e32 v2, vcc, s18, v2
	v_addc_co_u32_e32 v3, vcc, v1, v3, vcc
	s_mov_b64 s[2:3], 0
.LBB43_13:                              ; =>This Inner Loop Header: Depth=1
	global_load_dword v1, v[2:3], off
	v_add_co_u32_e32 v2, vcc, 64, v2
	v_add_u32_e32 v0, 16, v0
	v_addc_co_u32_e32 v3, vcc, 0, v3, vcc
	v_cmp_lt_i32_e32 vcc, s30, v0
	s_or_b64 s[2:3], vcc, s[2:3]
	s_waitcnt vmcnt(0)
	v_subrev_u32_e32 v1, s13, v1
	ds_write_b32 v4, v1
	v_add_u32_e32 v4, 64, v4
	s_andn2_b64 exec, exec, s[2:3]
	s_cbranch_execnz .LBB43_13
.LBB43_14:
	s_or_b64 exec, exec, s[0:1]
	s_load_dwordx2 s[20:21], s[4:5], 0x20
	v_lshlrev_b32_e32 v0, 3, v12
	v_mov_b32_e32 v2, 0
	v_mad_u32_u24 v10, v13, 40, v0
	v_mov_b32_e32 v3, v2
	s_cmp_lt_i32 s31, s30
	ds_write_b64 v10, v[2:3] offset:480
	s_waitcnt lgkmcnt(0)
	s_cbranch_scc1 .LBB43_17
; %bb.15:
	v_lshl_add_u32 v11, v12, 2, v13
	v_or_b32_e32 v8, v12, v13
	s_load_dword s33, s[4:5], 0x0
	v_add_u32_e32 v9, 0x1e0, v10
	s_cbranch_execz .LBB43_18
	s_branch .LBB43_59
.LBB43_16:
	s_mov_b64 s[0:1], 0
	s_cbranch_execnz .LBB43_116
	s_branch .LBB43_121
.LBB43_17:
                                        ; implicit-def: $vgpr11
                                        ; implicit-def: $vgpr8
	s_load_dword s33, s[4:5], 0x0
	v_add_u32_e32 v9, 0x1e0, v10
.LBB43_18:
	s_waitcnt lgkmcnt(0)
	s_cmp_eq_u32 s33, 0
	v_lshlrev_b32_e32 v16, 2, v12
	v_mov_b32_e32 v1, 0x140
	v_mov_b32_e32 v2, 0xa0
	v_add_u32_e32 v11, v16, v13
	s_cselect_b64 vcc, -1, 0
	s_cmp_lg_u32 s33, 0
	v_mad_u32_u24 v17, v13, 40, v1
	v_mad_u32_u24 v19, v13, 40, v2
	v_or_b32_e32 v8, v12, v13
	s_cselect_b64 s[4:5], -1, 0
	v_add_u32_e32 v18, v17, v0
	v_add_u32_e32 v20, v19, v0
	v_cmp_ne_u32_e64 s[0:1], 0, v8
	v_mad_u32_u24 v21, v12, 40, v1
	v_cndmask_b32_e32 v22, v11, v14, vcc
	v_mov_b32_e32 v23, 0
	s_mov_b32 s22, s31
	s_branch .LBB43_22
.LBB43_19:                              ;   in Loop: Header=BB43_22 Depth=1
	s_or_b64 exec, exec, s[24:25]
	v_mov_b32_e32 v4, 1.0
	v_mov_b32_e32 v6, 0
.LBB43_20:                              ;   in Loop: Header=BB43_22 Depth=1
	s_or_b64 exec, exec, s[2:3]
	v_mul_f32_e32 v5, v6, v6
	v_fmac_f32_e32 v5, v4, v4
	v_div_scale_f32 v7, s[2:3], v5, v5, 1.0
	v_rcp_f32_e32 v36, v7
	ds_read_b64 v[32:33], v17 offset:16
	ds_read2_b64 v[24:27], v17 offset1:1
	s_add_i32 s22, s22, 1
	s_cmp_ge_i32 s22, s30
	v_fma_f32 v28, -v7, v36, 1.0
	v_fmac_f32_e32 v36, v28, v36
	v_div_scale_f32 v28, vcc, 1.0, v5, 1.0
	v_mul_f32_e32 v37, v28, v36
	v_fma_f32 v29, -v7, v37, v28
	v_fmac_f32_e32 v37, v29, v36
	v_fma_f32 v7, -v7, v37, v28
	ds_read2_b64 v[28:31], v23 offset0:15 offset1:16
	ds_read_b64 v[34:35], v19 offset:24
	ds_read_b64 v[38:39], v23 offset:136
	v_div_fmas_f32 v7, v7, v36, v37
	v_div_fixup_f32 v36, v7, v5, 1.0
	s_cselect_b64 s[26:27], -1, 0
	s_waitcnt lgkmcnt(1)
	v_pk_fma_f32 v[34:35], v[28:29], v[24:25], v[34:35] op_sel_hi:[1,0,1]
	v_pk_fma_f32 v[24:25], v[28:29], v[24:25], v[34:35] op_sel:[0,1,1] op_sel_hi:[1,1,0] neg_lo:[0,1,0]
	v_mov_b32_e32 v28, v31
	v_mov_b32_e32 v29, v30
	v_pk_fma_f32 v[24:25], v[28:29], v[26:27], v[24:25] op_sel_hi:[1,0,1]
	v_mov_b32_e32 v26, v27
	v_pk_fma_f32 v[24:25], v[30:31], v[26:27], v[24:25] op_sel_hi:[1,0,1] neg_lo:[0,1,0]
	s_waitcnt lgkmcnt(0)
	v_pk_fma_f32 v[24:25], v[38:39], v[32:33], v[24:25] op_sel:[1,0,0] op_sel_hi:[0,0,1]
	v_pk_fma_f32 v[24:25], v[38:39], v[32:33], v[24:25] op_sel:[0,1,0] neg_lo:[0,1,0]
	v_mov_b32_e32 v26, v3
	v_mov_b32_e32 v27, v2
	v_pk_add_f32 v[2:3], v[26:27], v[24:25] neg_lo:[0,1] neg_hi:[0,1]
	v_pk_mul_f32 v[6:7], v[6:7], v[2:3] op_sel:[0,1] op_sel_hi:[0,0] neg_lo:[0,1]
	v_pk_fma_f32 v[2:3], v[2:3], v[4:5], v[6:7] op_sel_hi:[1,0,1]
	v_pk_mul_f32 v[2:3], v[36:37], v[2:3] op_sel_hi:[0,1]
	v_mov_b32_e32 v4, v3
	v_mov_b32_e32 v5, v2
	ds_write_b64 v17, v[4:5] offset:24
	s_waitcnt lgkmcnt(0)
	ds_read_b64 v[4:5], v21 offset:24
	ds_read_b64 v[6:7], v9
	s_waitcnt lgkmcnt(0)
	v_pk_fma_f32 v[6:7], v[2:3], v[4:5], v[6:7] op_sel:[1,0,0] op_sel_hi:[0,0,1]
	v_pk_fma_f32 v[2:3], v[2:3], v[4:5], v[6:7] op_sel:[0,1,0] neg_hi:[0,1,0]
	ds_write_b64 v9, v[2:3]
	s_waitcnt lgkmcnt(0)
	ds_read_b64 v[2:3], v18
	s_waitcnt lgkmcnt(0)
	global_store_dwordx2 v[0:1], v[2:3], off
	s_waitcnt vmcnt(0)
	buffer_wbinvl1_vol
.LBB43_21:                              ;   in Loop: Header=BB43_22 Depth=1
	s_and_b64 vcc, exec, s[26:27]
	s_cbranch_vccnz .LBB43_59
.LBB43_22:                              ; =>This Loop Header: Depth=1
                                        ;     Child Loop BB43_25 Depth 2
                                        ;     Child Loop BB43_36 Depth 2
	;; [unrolled: 1-line block ×3, first 2 shown]
	s_ashr_i32 s23, s22, 31
	s_lshl_b64 s[2:3], s[22:23], 2
	s_add_u32 s2, s18, s2
	s_addc_u32 s3, s19, s3
	s_load_dword s23, s[2:3], 0x0
	s_waitcnt lgkmcnt(0)
	s_sub_i32 s24, s23, s13
	s_ashr_i32 s25, s24, 31
	s_lshl_b64 s[2:3], s[24:25], 2
	s_add_u32 s26, s8, s2
	s_addc_u32 s27, s9, s3
	s_load_dword s25, s[26:27], 0x0
	s_mov_b64 s[26:27], -1
	s_waitcnt lgkmcnt(0)
	s_cmp_eq_u32 s25, -1
	s_cbranch_scc1 .LBB43_21
; %bb.23:                               ;   in Loop: Header=BB43_22 Depth=1
	v_lshl_add_u32 v0, s22, 4, v22
	v_ashrrev_i32_e32 v1, 31, v0
	v_lshlrev_b64 v[0:1], 3, v[0:1]
	v_mov_b32_e32 v2, s21
	v_add_co_u32_e32 v0, vcc, s20, v0
	v_addc_co_u32_e32 v1, vcc, v2, v1, vcc
	global_load_dwordx2 v[2:3], v[0:1], off
	s_add_u32 s26, s16, s2
	s_addc_u32 s27, s17, s3
	s_load_dword s26, s[26:27], 0x0
	ds_read_b32 v4, v23 offset:896
	s_mov_b32 s27, 0
	s_waitcnt lgkmcnt(0)
	s_sub_i32 s26, s26, s13
	s_cmp_le_i32 s26, s25
	v_cmp_ge_i32_e32 vcc, s24, v4
	s_cselect_b64 s[28:29], -1, 0
	s_and_b64 s[28:29], s[28:29], vcc
	s_andn2_b64 vcc, exec, s[28:29]
	s_waitcnt vmcnt(0)
	ds_write_b64 v18, v[2:3]
	s_cbranch_vccnz .LBB43_35
; %bb.24:                               ;   in Loop: Header=BB43_22 Depth=1
	s_mov_b32 s34, 0
	s_mov_b32 s35, 0
.LBB43_25:                              ;   Parent Loop BB43_22 Depth=1
                                        ; =>  This Inner Loop Header: Depth=2
	s_ashr_i32 s27, s26, 31
	s_lshl_b64 s[28:29], s[26:27], 2
	s_add_u32 s28, s18, s28
	s_addc_u32 s29, s19, s29
	s_load_dword s27, s[28:29], 0x0
	s_lshl_b32 s28, s35, 2
	v_mov_b32_e32 v2, s28
	ds_read_b32 v2, v2 offset:896
	s_mov_b64 s[28:29], -1
	s_waitcnt lgkmcnt(0)
	s_sub_i32 s39, s27, s13
                                        ; implicit-def: $sgpr27
                                        ; implicit-def: $sgpr38
                                        ; implicit-def: $sgpr37
	v_cmp_ge_i32_e32 vcc, s39, v2
	v_readfirstlane_b32 s36, v2
	s_cbranch_vccz .LBB43_31
; %bb.26:                               ;   in Loop: Header=BB43_25 Depth=2
	s_cmp_le_i32 s39, s36
                                        ; implicit-def: $sgpr27
                                        ; implicit-def: $sgpr38
                                        ; implicit-def: $sgpr37
	s_cbranch_scc0 .LBB43_28
; %bb.27:                               ;   in Loop: Header=BB43_25 Depth=2
	s_add_i32 s27, s35, s31
	s_lshl_b32 s27, s27, 4
	s_lshl_b32 s28, s34, 2
	v_mov_b32_e32 v3, s27
	s_lshl_b32 s27, s26, 4
	v_mov_b32_e32 v2, s28
	v_mov_b32_e32 v4, s27
	ds_write2_b32 v2, v4, v3 offset0:160 offset1:192
	s_add_i32 s37, s35, 1
	s_add_i32 s38, s26, 1
	;; [unrolled: 1-line block ×3, first 2 shown]
	s_mov_b64 s[28:29], 0
.LBB43_28:                              ;   in Loop: Header=BB43_25 Depth=2
	s_andn2_b64 vcc, exec, s[28:29]
	s_cbranch_vccnz .LBB43_30
; %bb.29:                               ;   in Loop: Header=BB43_25 Depth=2
	s_add_i32 s37, s35, 1
	s_mov_b32 s27, s34
	s_mov_b32 s38, s26
.LBB43_30:                              ;   in Loop: Header=BB43_25 Depth=2
	s_mov_b64 s[28:29], 0
.LBB43_31:                              ;   in Loop: Header=BB43_25 Depth=2
	s_andn2_b64 vcc, exec, s[28:29]
	s_cbranch_vccnz .LBB43_33
; %bb.32:                               ;   in Loop: Header=BB43_25 Depth=2
	s_add_i32 s38, s26, 1
	s_mov_b32 s37, s35
	s_mov_b32 s27, s34
.LBB43_33:                              ;   in Loop: Header=BB43_25 Depth=2
	s_cmp_le_i32 s38, s25
	s_cselect_b64 s[28:29], -1, 0
	s_cmp_le_i32 s36, s24
	s_cselect_b64 s[34:35], -1, 0
	s_and_b64 s[28:29], s[28:29], s[34:35]
	s_and_b64 vcc, exec, s[28:29]
	s_cbranch_vccz .LBB43_35
; %bb.34:                               ;   in Loop: Header=BB43_25 Depth=2
	s_mov_b32 s34, s27
	s_mov_b32 s26, s38
	s_mov_b32 s35, s37
	s_branch .LBB43_25
.LBB43_35:                              ;   in Loop: Header=BB43_22 Depth=1
	s_add_u32 s2, s10, s2
	s_addc_u32 s3, s11, s3
	s_waitcnt lgkmcnt(0)
.LBB43_36:                              ;   Parent Loop BB43_22 Depth=1
                                        ; =>  This Inner Loop Header: Depth=2
	global_load_dword v2, v23, s[2:3] glc
	s_waitcnt vmcnt(0)
	v_cmp_eq_u32_e32 vcc, 0, v2
	s_cbranch_vccnz .LBB43_36
; %bb.37:                               ;   in Loop: Header=BB43_22 Depth=1
	v_lshl_add_u32 v2, s25, 4, v22
	v_ashrrev_i32_e32 v3, 31, v2
	v_lshlrev_b64 v[2:3], 3, v[2:3]
	v_mov_b32_e32 v4, s21
	v_add_co_u32_e32 v2, vcc, s20, v2
	v_addc_co_u32_e32 v3, vcc, v4, v3, vcc
	buffer_wbinvl1_vol
	global_load_dwordx2 v[2:3], v[2:3], off
	v_mov_b32_e32 v7, 0
	s_cmp_lt_i32 s27, 2
	v_mov_b32_e32 v6, v7
	s_waitcnt vmcnt(0)
	ds_write_b64 v10, v[2:3]
	s_waitcnt lgkmcnt(0)
	s_cbranch_scc1 .LBB43_44
; %bb.38:                               ;   in Loop: Header=BB43_22 Depth=1
	v_mov_b32_e32 v6, 0
	s_add_i32 s24, s27, -1
	s_movk_i32 s25, 0x280
	v_mov_b32_e32 v7, v6
	s_branch .LBB43_40
.LBB43_39:                              ;   in Loop: Header=BB43_40 Depth=2
	s_add_i32 s24, s24, -1
	s_add_i32 s25, s25, 4
	s_cmp_eq_u32 s24, 0
	s_cbranch_scc1 .LBB43_44
.LBB43_40:                              ;   Parent Loop BB43_22 Depth=1
                                        ; =>  This Inner Loop Header: Depth=2
	v_mov_b32_e32 v3, s25
	s_waitcnt lgkmcnt(0)
	ds_read2_b32 v[4:5], v3 offset1:32
	v_mov_b32_e32 v2, v6
	v_mov_b32_e32 v3, v7
	s_and_b64 vcc, exec, s[4:5]
	s_cbranch_vccz .LBB43_42
; %bb.41:                               ;   in Loop: Header=BB43_40 Depth=2
	s_waitcnt lgkmcnt(0)
	v_add_u32_e32 v6, v4, v12
	v_ashrrev_i32_e32 v7, 31, v6
	v_lshlrev_b64 v[24:25], 3, v[6:7]
	v_add_u32_e32 v26, v5, v13
	v_mov_b32_e32 v52, s21
	v_add_co_u32_e32 v24, vcc, s20, v24
	v_ashrrev_i32_e32 v27, 31, v26
	v_addc_co_u32_e32 v25, vcc, v52, v25, vcc
	v_lshlrev_b64 v[28:29], 3, v[26:27]
	v_add_u32_e32 v30, 4, v6
	v_add_co_u32_e32 v28, vcc, s20, v28
	v_ashrrev_i32_e32 v31, 31, v30
	v_addc_co_u32_e32 v29, vcc, v52, v29, vcc
	v_lshlrev_b64 v[30:31], 3, v[30:31]
	v_add_u32_e32 v32, 4, v26
	;; [unrolled: 5-line block ×6, first 2 shown]
	v_add_co_u32_e32 v6, vcc, s20, v6
	v_ashrrev_i32_e32 v27, 31, v26
	v_addc_co_u32_e32 v7, vcc, v52, v7, vcc
	v_lshlrev_b64 v[26:27], 3, v[26:27]
	global_load_dwordx2 v[38:39], v[32:33], off
	global_load_dwordx2 v[40:41], v[30:31], off
	;; [unrolled: 1-line block ×7, first 2 shown]
	v_add_co_u32_e32 v6, vcc, s20, v26
	v_addc_co_u32_e32 v7, vcc, v52, v27, vcc
	global_load_dwordx2 v[6:7], v[6:7], off
	s_waitcnt vmcnt(4)
	v_pk_fma_f32 v[24:25], v[44:45], v[42:43], v[2:3] op_sel_hi:[1,0,1]
	v_pk_fma_f32 v[24:25], v[44:45], v[42:43], v[24:25] op_sel:[1,1,0] op_sel_hi:[0,1,1] neg_hi:[0,1,0]
	v_pk_fma_f32 v[24:25], v[40:41], v[38:39], v[24:25] op_sel_hi:[1,0,1]
	v_pk_fma_f32 v[24:25], v[40:41], v[38:39], v[24:25] op_sel:[1,1,0] op_sel_hi:[0,1,1] neg_hi:[0,1,0]
	s_waitcnt vmcnt(1)
	v_pk_fma_f32 v[24:25], v[50:51], v[48:49], v[24:25] op_sel_hi:[1,0,1]
	v_pk_fma_f32 v[24:25], v[50:51], v[48:49], v[24:25] op_sel:[1,1,0] op_sel_hi:[0,1,1] neg_hi:[0,1,0]
	s_waitcnt vmcnt(0)
	v_pk_fma_f32 v[24:25], v[46:47], v[6:7], v[24:25] op_sel_hi:[1,0,1]
	v_pk_fma_f32 v[6:7], v[46:47], v[6:7], v[24:25] op_sel:[1,1,0] op_sel_hi:[0,1,1] neg_hi:[0,1,0]
	s_cbranch_execnz .LBB43_39
	s_branch .LBB43_43
.LBB43_42:                              ;   in Loop: Header=BB43_40 Depth=2
                                        ; implicit-def: $vgpr7
.LBB43_43:                              ;   in Loop: Header=BB43_40 Depth=2
	s_waitcnt lgkmcnt(0)
	v_add_u32_e32 v6, v4, v16
	v_ashrrev_i32_e32 v7, 31, v6
	v_lshlrev_b64 v[6:7], 3, v[6:7]
	v_add_u32_e32 v4, v5, v15
	v_mov_b32_e32 v24, s21
	v_add_co_u32_e32 v36, vcc, s20, v6
	v_ashrrev_i32_e32 v5, 31, v4
	v_addc_co_u32_e32 v37, vcc, v24, v7, vcc
	v_lshlrev_b64 v[4:5], 3, v[4:5]
	v_add_co_u32_e32 v38, vcc, s20, v4
	v_addc_co_u32_e32 v39, vcc, v24, v5, vcc
	global_load_dwordx4 v[4:7], v[38:39], off
	global_load_dwordx4 v[24:27], v[36:37], off
	global_load_dwordx4 v[28:31], v[36:37], off offset:16
	global_load_dwordx4 v[32:35], v[38:39], off offset:16
	s_waitcnt vmcnt(3)
	v_mov_b32_e32 v38, v7
	s_waitcnt vmcnt(2)
	v_pk_fma_f32 v[2:3], v[24:25], v[4:5], v[2:3] op_sel_hi:[1,0,1]
	v_pk_fma_f32 v[2:3], v[24:25], v[4:5], v[2:3] op_sel:[1,1,0] op_sel_hi:[0,1,1] neg_hi:[0,1,0]
	v_mov_b32_e32 v36, v27
	v_mov_b32_e32 v37, v26
	v_pk_fma_f32 v[2:3], v[26:27], v[6:7], v[2:3] op_sel_hi:[1,0,1]
	v_pk_fma_f32 v[2:3], v[36:37], v[38:39], v[2:3] op_sel_hi:[1,0,1] neg_hi:[0,1,0]
	s_waitcnt vmcnt(0)
	v_pk_fma_f32 v[2:3], v[28:29], v[32:33], v[2:3] op_sel_hi:[1,0,1]
	v_pk_fma_f32 v[2:3], v[28:29], v[32:33], v[2:3] op_sel:[1,1,0] op_sel_hi:[0,1,1] neg_hi:[0,1,0]
	v_mov_b32_e32 v40, v31
	v_mov_b32_e32 v41, v30
	v_pk_fma_f32 v[2:3], v[30:31], v[34:35], v[2:3] op_sel_hi:[1,0,1]
	v_mov_b32_e32 v4, v35
	v_pk_fma_f32 v[6:7], v[40:41], v[4:5], v[2:3] op_sel_hi:[1,0,1] neg_hi:[0,1,0]
	s_branch .LBB43_39
.LBB43_44:                              ;   in Loop: Header=BB43_22 Depth=1
	ds_write_b64 v20, v[6:7]
	s_waitcnt lgkmcnt(0)
	ds_read_b64 v[4:5], v23
	ds_read_b64 v[2:3], v17
	s_waitcnt lgkmcnt(1)
	v_cmp_neq_f32_e32 vcc, 0, v4
	v_cmp_neq_f32_e64 s[2:3], 0, v5
	s_or_b64 vcc, vcc, s[2:3]
	s_or_b64 s[2:3], vcc, s[0:1]
	v_cndmask_b32_e32 v4, 1.0, v4, vcc
	s_xor_b64 s[24:25], s[2:3], -1
	v_cndmask_b32_e32 v6, 0, v5, vcc
	s_and_saveexec_b64 s[2:3], s[24:25]
	s_cbranch_execz .LBB43_48
; %bb.45:                               ;   in Loop: Header=BB43_22 Depth=1
	v_mbcnt_lo_u32_b32 v4, exec_lo, 0
	v_mbcnt_hi_u32_b32 v4, exec_hi, v4
	v_cmp_eq_u32_e32 vcc, 0, v4
	s_and_saveexec_b64 s[24:25], vcc
	s_cbranch_execz .LBB43_47
; %bb.46:                               ;   in Loop: Header=BB43_22 Depth=1
	v_mov_b32_e32 v4, s23
	global_atomic_smin v23, v4, s[14:15]
.LBB43_47:                              ;   in Loop: Header=BB43_22 Depth=1
	s_or_b64 exec, exec, s[24:25]
	v_mov_b32_e32 v4, 1.0
	v_mov_b32_e32 v6, 0
.LBB43_48:                              ;   in Loop: Header=BB43_22 Depth=1
	s_or_b64 exec, exec, s[2:3]
	v_mul_f32_e32 v5, v6, v6
	v_fmac_f32_e32 v5, v4, v4
	v_div_scale_f32 v7, s[2:3], v5, v5, 1.0
	v_rcp_f32_e32 v26, v7
	v_div_scale_f32 v24, vcc, 1.0, v5, 1.0
	s_waitcnt lgkmcnt(0)
	v_mov_b32_e32 v28, v3
	v_fma_f32 v25, -v7, v26, 1.0
	v_fmac_f32_e32 v26, v25, v26
	v_mul_f32_e32 v27, v24, v26
	v_fma_f32 v25, -v7, v27, v24
	v_fmac_f32_e32 v27, v25, v26
	v_fma_f32 v7, -v7, v27, v24
	ds_read_b64 v[24:25], v19
	v_mov_b32_e32 v29, v2
	v_div_fmas_f32 v7, v7, v26, v27
	v_div_fixup_f32 v26, v7, v5, 1.0
	s_waitcnt lgkmcnt(0)
	v_pk_add_f32 v[2:3], v[28:29], v[24:25] op_sel:[0,1] op_sel_hi:[1,0] neg_lo:[0,1] neg_hi:[0,1]
	v_pk_mul_f32 v[6:7], v[6:7], v[2:3] op_sel:[0,1] op_sel_hi:[0,0] neg_lo:[0,1]
	v_pk_fma_f32 v[2:3], v[2:3], v[4:5], v[6:7] op_sel_hi:[1,0,1]
	v_pk_mul_f32 v[2:3], v[26:27], v[2:3] op_sel_hi:[0,1]
	v_mov_b32_e32 v4, v3
	v_mov_b32_e32 v5, v2
	ds_write_b64 v17, v[4:5]
	s_waitcnt lgkmcnt(0)
	ds_read_b64 v[4:5], v21
	ds_read_b64 v[6:7], v9
	s_waitcnt lgkmcnt(0)
	v_pk_fma_f32 v[6:7], v[2:3], v[4:5], v[6:7] op_sel:[1,0,0] op_sel_hi:[0,0,1]
	v_pk_fma_f32 v[2:3], v[2:3], v[4:5], v[6:7] op_sel:[0,1,0] neg_hi:[0,1,0]
	ds_write_b64 v9, v[2:3]
	s_waitcnt lgkmcnt(0)
	ds_read_b64 v[4:5], v23 offset:48
	ds_read_b64 v[2:3], v17 offset:8
	s_waitcnt lgkmcnt(1)
	v_cmp_neq_f32_e32 vcc, 0, v4
	v_cmp_neq_f32_e64 s[2:3], 0, v5
	s_or_b64 vcc, vcc, s[2:3]
	s_or_b64 s[2:3], vcc, s[0:1]
	v_cndmask_b32_e32 v4, 1.0, v4, vcc
	s_xor_b64 s[24:25], s[2:3], -1
	v_cndmask_b32_e32 v6, 0, v5, vcc
	s_and_saveexec_b64 s[2:3], s[24:25]
	s_cbranch_execz .LBB43_52
; %bb.49:                               ;   in Loop: Header=BB43_22 Depth=1
	v_mbcnt_lo_u32_b32 v4, exec_lo, 0
	v_mbcnt_hi_u32_b32 v4, exec_hi, v4
	v_cmp_eq_u32_e32 vcc, 0, v4
	s_and_saveexec_b64 s[24:25], vcc
	s_cbranch_execz .LBB43_51
; %bb.50:                               ;   in Loop: Header=BB43_22 Depth=1
	v_mov_b32_e32 v4, s23
	global_atomic_smin v23, v4, s[14:15]
.LBB43_51:                              ;   in Loop: Header=BB43_22 Depth=1
	s_or_b64 exec, exec, s[24:25]
	v_mov_b32_e32 v4, 1.0
	v_mov_b32_e32 v6, 0
.LBB43_52:                              ;   in Loop: Header=BB43_22 Depth=1
	s_or_b64 exec, exec, s[2:3]
	v_mul_f32_e32 v5, v6, v6
	v_fmac_f32_e32 v5, v4, v4
	v_div_scale_f32 v7, s[2:3], v5, v5, 1.0
	v_rcp_f32_e32 v30, v7
	v_div_scale_f32 v31, vcc, 1.0, v5, 1.0
	ds_read_b64 v[24:25], v17
	v_fma_f32 v26, -v7, v30, 1.0
	v_fmac_f32_e32 v30, v26, v30
	v_mul_f32_e32 v32, v31, v30
	v_fma_f32 v26, -v7, v32, v31
	v_fmac_f32_e32 v32, v26, v30
	ds_read_b64 v[26:27], v23 offset:40
	ds_read_b64 v[28:29], v19 offset:8
	v_fma_f32 v7, -v7, v32, v31
	v_div_fmas_f32 v7, v7, v30, v32
	v_div_fixup_f32 v30, v7, v5, 1.0
	s_waitcnt lgkmcnt(0)
	v_pk_fma_f32 v[28:29], v[26:27], v[24:25], v[28:29] op_sel_hi:[1,0,1]
	v_pk_fma_f32 v[24:25], v[26:27], v[24:25], v[28:29] op_sel:[0,1,1] op_sel_hi:[1,1,0] neg_lo:[0,1,0]
	v_mov_b32_e32 v26, v3
	v_mov_b32_e32 v27, v2
	v_pk_add_f32 v[2:3], v[26:27], v[24:25] neg_lo:[0,1] neg_hi:[0,1]
	v_pk_mul_f32 v[6:7], v[6:7], v[2:3] op_sel:[0,1] op_sel_hi:[0,0] neg_lo:[0,1]
	v_pk_fma_f32 v[2:3], v[2:3], v[4:5], v[6:7] op_sel_hi:[1,0,1]
	v_pk_mul_f32 v[2:3], v[30:31], v[2:3] op_sel_hi:[0,1]
	v_mov_b32_e32 v4, v3
	v_mov_b32_e32 v5, v2
	ds_write_b64 v17, v[4:5] offset:8
	s_waitcnt lgkmcnt(0)
	ds_read_b64 v[4:5], v21 offset:8
	ds_read_b64 v[6:7], v9
	s_waitcnt lgkmcnt(0)
	v_pk_fma_f32 v[6:7], v[2:3], v[4:5], v[6:7] op_sel:[1,0,0] op_sel_hi:[0,0,1]
	v_pk_fma_f32 v[2:3], v[2:3], v[4:5], v[6:7] op_sel:[0,1,0] neg_hi:[0,1,0]
	ds_write_b64 v9, v[2:3]
	s_waitcnt lgkmcnt(0)
	ds_read_b64 v[4:5], v23 offset:96
	ds_read_b64 v[2:3], v17 offset:16
	s_waitcnt lgkmcnt(1)
	v_cmp_neq_f32_e32 vcc, 0, v4
	v_cmp_neq_f32_e64 s[2:3], 0, v5
	s_or_b64 vcc, vcc, s[2:3]
	s_or_b64 s[2:3], vcc, s[0:1]
	v_cndmask_b32_e32 v4, 1.0, v4, vcc
	s_xor_b64 s[24:25], s[2:3], -1
	v_cndmask_b32_e32 v6, 0, v5, vcc
	s_and_saveexec_b64 s[2:3], s[24:25]
	s_cbranch_execz .LBB43_56
; %bb.53:                               ;   in Loop: Header=BB43_22 Depth=1
	v_mbcnt_lo_u32_b32 v4, exec_lo, 0
	v_mbcnt_hi_u32_b32 v4, exec_hi, v4
	v_cmp_eq_u32_e32 vcc, 0, v4
	s_and_saveexec_b64 s[24:25], vcc
	s_cbranch_execz .LBB43_55
; %bb.54:                               ;   in Loop: Header=BB43_22 Depth=1
	v_mov_b32_e32 v4, s23
	global_atomic_smin v23, v4, s[14:15]
.LBB43_55:                              ;   in Loop: Header=BB43_22 Depth=1
	s_or_b64 exec, exec, s[24:25]
	v_mov_b32_e32 v4, 1.0
	v_mov_b32_e32 v6, 0
.LBB43_56:                              ;   in Loop: Header=BB43_22 Depth=1
	s_or_b64 exec, exec, s[2:3]
	v_mul_f32_e32 v5, v6, v6
	v_fmac_f32_e32 v5, v4, v4
	v_div_scale_f32 v7, s[2:3], v5, v5, 1.0
	v_rcp_f32_e32 v34, v7
	v_div_scale_f32 v35, vcc, 1.0, v5, 1.0
	v_fma_f32 v24, -v7, v34, 1.0
	v_fmac_f32_e32 v34, v24, v34
	v_mul_f32_e32 v36, v35, v34
	v_fma_f32 v24, -v7, v36, v35
	v_fmac_f32_e32 v36, v24, v34
	ds_read_b128 v[24:27], v23 offset:80
	ds_read2_b64 v[28:31], v17 offset1:1
	ds_read_b64 v[32:33], v19 offset:16
	v_fma_f32 v7, -v7, v36, v35
	v_div_fmas_f32 v7, v7, v34, v36
	v_div_fixup_f32 v34, v7, v5, 1.0
	s_waitcnt lgkmcnt(0)
	v_pk_fma_f32 v[32:33], v[24:25], v[28:29], v[32:33] op_sel_hi:[1,0,1]
	v_pk_fma_f32 v[24:25], v[24:25], v[28:29], v[32:33] op_sel:[0,1,1] op_sel_hi:[1,1,0] neg_lo:[0,1,0]
	v_mov_b32_e32 v28, v27
	v_mov_b32_e32 v29, v26
	v_pk_fma_f32 v[24:25], v[28:29], v[30:31], v[24:25] op_sel_hi:[1,0,1]
	v_mov_b32_e32 v28, v31
	v_pk_fma_f32 v[24:25], v[26:27], v[28:29], v[24:25] op_sel_hi:[1,0,1] neg_lo:[0,1,0]
	v_mov_b32_e32 v26, v3
	v_mov_b32_e32 v27, v2
	v_pk_add_f32 v[2:3], v[26:27], v[24:25] neg_lo:[0,1] neg_hi:[0,1]
	v_pk_mul_f32 v[6:7], v[6:7], v[2:3] op_sel:[0,1] op_sel_hi:[0,0] neg_lo:[0,1]
	v_pk_fma_f32 v[2:3], v[2:3], v[4:5], v[6:7] op_sel_hi:[1,0,1]
	v_pk_mul_f32 v[2:3], v[34:35], v[2:3] op_sel_hi:[0,1]
	v_mov_b32_e32 v4, v3
	v_mov_b32_e32 v5, v2
	ds_write_b64 v17, v[4:5] offset:16
	s_waitcnt lgkmcnt(0)
	ds_read_b64 v[4:5], v21 offset:16
	ds_read_b64 v[6:7], v9
	s_waitcnt lgkmcnt(0)
	v_pk_fma_f32 v[6:7], v[2:3], v[4:5], v[6:7] op_sel:[1,0,0] op_sel_hi:[0,0,1]
	v_pk_fma_f32 v[2:3], v[2:3], v[4:5], v[6:7] op_sel:[0,1,0] neg_hi:[0,1,0]
	ds_write_b64 v9, v[2:3]
	s_waitcnt lgkmcnt(0)
	ds_read_b64 v[4:5], v23 offset:144
	ds_read_b64 v[2:3], v17 offset:24
	s_waitcnt lgkmcnt(1)
	v_cmp_neq_f32_e32 vcc, 0, v4
	v_cmp_neq_f32_e64 s[2:3], 0, v5
	s_or_b64 vcc, vcc, s[2:3]
	s_or_b64 s[2:3], vcc, s[0:1]
	v_cndmask_b32_e32 v4, 1.0, v4, vcc
	s_xor_b64 s[24:25], s[2:3], -1
	v_cndmask_b32_e32 v6, 0, v5, vcc
	s_and_saveexec_b64 s[2:3], s[24:25]
	s_cbranch_execz .LBB43_20
; %bb.57:                               ;   in Loop: Header=BB43_22 Depth=1
	v_mbcnt_lo_u32_b32 v4, exec_lo, 0
	v_mbcnt_hi_u32_b32 v4, exec_hi, v4
	v_cmp_eq_u32_e32 vcc, 0, v4
	s_and_saveexec_b64 s[24:25], vcc
	s_cbranch_execz .LBB43_19
; %bb.58:                               ;   in Loop: Header=BB43_22 Depth=1
	v_mov_b32_e32 v4, s23
	global_atomic_smin v23, v4, s[14:15]
	s_branch .LBB43_19
.LBB43_59:
	s_waitcnt lgkmcnt(0)
	s_cmp_eq_u32 s33, 0
	s_cselect_b64 vcc, -1, 0
	v_cndmask_b32_e32 v0, v11, v14, vcc
	v_lshl_add_u32 v0, s30, 4, v0
	v_ashrrev_i32_e32 v1, 31, v0
	v_lshlrev_b64 v[0:1], 3, v[0:1]
	v_mov_b32_e32 v2, s21
	v_add_co_u32_e32 v0, vcc, s20, v0
	v_addc_co_u32_e32 v1, vcc, v2, v1, vcc
	global_load_dwordx2 v[2:3], v[0:1], off
	v_cmp_ne_u32_e64 s[2:3], 0, v13
	v_cmp_eq_u32_e32 vcc, 0, v13
	s_waitcnt vmcnt(0)
	ds_write_b64 v10, v[2:3] offset:320
	s_waitcnt lgkmcnt(0)
	s_and_saveexec_b64 s[4:5], vcc
	s_cbranch_execz .LBB43_67
; %bb.60:
	v_mov_b32_e32 v4, 0
	ds_read2_b64 v[14:17], v4 offset0:40 offset1:60
	s_waitcnt lgkmcnt(0)
	v_sub_f32_e32 v2, v14, v16
	v_sub_f32_e32 v5, v15, v17
	v_cmp_gt_f32_e32 vcc, 0, v2
	v_cndmask_b32_e64 v2, v2, -v2, vcc
	v_cmp_gt_f32_e32 vcc, 0, v5
	v_cndmask_b32_e64 v3, v5, -v5, vcc
	v_cmp_ngt_f32_e32 vcc, v2, v3
	s_cbranch_vccz .LBB43_64
; %bb.61:
	v_cmp_eq_f32_e32 vcc, 0, v5
	s_cbranch_vccnz .LBB43_63
; %bb.62:
	v_div_scale_f32 v4, s[0:1], v3, v3, v2
	v_rcp_f32_e32 v5, v4
	v_div_scale_f32 v6, vcc, v2, v3, v2
	s_mov_b32 s0, 0xf800000
	v_fma_f32 v7, -v4, v5, 1.0
	v_fmac_f32_e32 v5, v7, v5
	v_mul_f32_e32 v7, v6, v5
	v_fma_f32 v11, -v4, v7, v6
	v_fmac_f32_e32 v7, v11, v5
	v_fma_f32 v4, -v4, v7, v6
	v_div_fmas_f32 v4, v4, v5, v7
	v_div_fixup_f32 v4, v4, v3, v2
	v_fma_f32 v4, v4, v4, 1.0
	v_mul_f32_e32 v5, 0x4f800000, v4
	v_cmp_gt_f32_e32 vcc, s0, v4
	v_cndmask_b32_e32 v4, v4, v5, vcc
	v_sqrt_f32_e32 v5, v4
	v_add_u32_e32 v6, -1, v5
	v_fma_f32 v7, -v6, v5, v4
	v_cmp_ge_f32_e64 s[0:1], 0, v7
	v_add_u32_e32 v7, 1, v5
	v_cndmask_b32_e64 v6, v5, v6, s[0:1]
	v_fma_f32 v5, -v7, v5, v4
	v_cmp_lt_f32_e64 s[0:1], 0, v5
	v_cndmask_b32_e64 v5, v6, v7, s[0:1]
	v_mul_f32_e32 v6, 0x37800000, v5
	v_cndmask_b32_e32 v5, v5, v6, vcc
	v_mov_b32_e32 v6, 0x260
	v_cmp_class_f32_e32 vcc, v4, v6
	v_cndmask_b32_e32 v4, v5, v4, vcc
	v_mul_f32_e32 v4, v3, v4
.LBB43_63:
	s_cbranch_execz .LBB43_65
	s_branch .LBB43_66
.LBB43_64:
                                        ; implicit-def: $vgpr4
.LBB43_65:
	v_div_scale_f32 v4, s[0:1], v2, v2, v3
	v_rcp_f32_e32 v5, v4
	v_div_scale_f32 v6, vcc, v3, v2, v3
	s_mov_b32 s0, 0xf800000
	v_fma_f32 v7, -v4, v5, 1.0
	v_fmac_f32_e32 v5, v7, v5
	v_mul_f32_e32 v7, v6, v5
	v_fma_f32 v11, -v4, v7, v6
	v_fmac_f32_e32 v7, v11, v5
	v_fma_f32 v4, -v4, v7, v6
	v_div_fmas_f32 v4, v4, v5, v7
	v_div_fixup_f32 v3, v4, v2, v3
	v_fma_f32 v3, v3, v3, 1.0
	v_mul_f32_e32 v4, 0x4f800000, v3
	v_cmp_gt_f32_e32 vcc, s0, v3
	v_cndmask_b32_e32 v3, v3, v4, vcc
	v_sqrt_f32_e32 v4, v3
	v_add_u32_e32 v5, -1, v4
	v_fma_f32 v6, -v5, v4, v3
	v_cmp_ge_f32_e64 s[0:1], 0, v6
	v_add_u32_e32 v6, 1, v4
	v_cndmask_b32_e64 v5, v4, v5, s[0:1]
	v_fma_f32 v4, -v6, v4, v3
	v_cmp_lt_f32_e64 s[0:1], 0, v4
	v_cndmask_b32_e64 v4, v5, v6, s[0:1]
	v_mul_f32_e32 v5, 0x37800000, v4
	v_cndmask_b32_e32 v4, v4, v5, vcc
	v_mov_b32_e32 v5, 0x260
	v_cmp_class_f32_e32 vcc, v3, v5
	v_cndmask_b32_e32 v3, v4, v3, vcc
	v_mul_f32_e32 v4, v2, v3
.LBB43_66:
	s_mov_b32 s0, 0xf800000
	v_mul_f32_e32 v2, 0x4f800000, v4
	v_cmp_gt_f32_e32 vcc, s0, v4
	v_cndmask_b32_e32 v2, v4, v2, vcc
	v_sqrt_f32_e32 v3, v2
	v_add_u32_e32 v4, -1, v3
	v_fma_f32 v5, -v4, v3, v2
	v_cmp_ge_f32_e64 s[0:1], 0, v5
	v_add_u32_e32 v5, 1, v3
	v_cndmask_b32_e64 v4, v3, v4, s[0:1]
	v_fma_f32 v3, -v5, v3, v2
	v_cmp_lt_f32_e64 s[0:1], 0, v3
	v_cndmask_b32_e64 v3, v4, v5, s[0:1]
	v_mul_f32_e32 v4, 0x37800000, v3
	v_cndmask_b32_e32 v3, v3, v4, vcc
	v_mov_b32_e32 v4, 0x260
	v_cmp_class_f32_e32 vcc, v2, v4
	v_cndmask_b32_e32 v2, v3, v2, vcc
	v_mov_b32_e32 v3, 0
	ds_write_b64 v3, v[2:3] offset:320
.LBB43_67:
	s_or_b64 exec, exec, s[4:5]
	v_mov_b32_e32 v2, 0
	s_waitcnt lgkmcnt(0)
	ds_read_b64 v[4:5], v2 offset:320
	v_cmp_ne_u32_e64 s[0:1], 0, v8
	v_add_u32_e32 v3, 0x140, v10
	s_add_i32 s16, s12, s13
	s_waitcnt lgkmcnt(0)
	v_cmp_neq_f32_e32 vcc, 0, v4
	v_cmp_neq_f32_e64 s[4:5], 0, v5
	s_or_b64 vcc, vcc, s[4:5]
	s_or_b64 s[4:5], vcc, s[0:1]
	v_cndmask_b32_e32 v2, 1.0, v4, vcc
	s_xor_b64 s[8:9], s[4:5], -1
	v_cndmask_b32_e32 v4, 0, v5, vcc
	s_and_saveexec_b64 s[4:5], s[8:9]
	s_cbranch_execz .LBB43_71
; %bb.68:
	v_mbcnt_lo_u32_b32 v2, exec_lo, 0
	v_mbcnt_hi_u32_b32 v2, exec_hi, v2
	v_cmp_eq_u32_e32 vcc, 0, v2
	s_and_saveexec_b64 s[8:9], vcc
	s_cbranch_execz .LBB43_70
; %bb.69:
	v_mov_b32_e32 v2, 0
	v_mov_b32_e32 v4, s16
	global_atomic_smin v2, v4, s[14:15]
.LBB43_70:
	s_or_b64 exec, exec, s[8:9]
	v_mov_b32_e32 v2, 1.0
	v_mov_b32_e32 v4, 0
.LBB43_71:
	s_or_b64 exec, exec, s[4:5]
	s_and_saveexec_b64 s[4:5], s[2:3]
	s_cbranch_execz .LBB43_73
; %bb.72:
	v_mul_f32_e32 v5, v4, v4
	v_fmac_f32_e32 v5, v2, v2
	v_div_scale_f32 v6, s[2:3], v5, v5, 1.0
	v_rcp_f32_e32 v7, v6
	v_mul_u32_u24_e32 v18, 40, v13
	ds_read2_b64 v[14:17], v18 offset0:40 offset1:60
	v_fma_f32 v10, -v6, v7, 1.0
	v_fmac_f32_e32 v7, v10, v7
	v_div_scale_f32 v10, vcc, 1.0, v5, 1.0
	v_mul_f32_e32 v11, v10, v7
	v_fma_f32 v19, -v6, v11, v10
	v_fmac_f32_e32 v11, v19, v7
	v_fma_f32 v6, -v6, v11, v10
	v_div_fmas_f32 v6, v6, v7, v11
	s_waitcnt lgkmcnt(0)
	v_pk_add_f32 v[10:11], v[14:15], v[16:17] op_sel:[1,1] op_sel_hi:[0,0] neg_lo:[0,1] neg_hi:[0,1]
	v_div_fixup_f32 v6, v6, v5, 1.0
	v_pk_mul_f32 v[4:5], v[4:5], v[10:11] op_sel:[0,1] op_sel_hi:[0,0] neg_lo:[0,1]
	v_pk_fma_f32 v[4:5], v[10:11], v[2:3], v[4:5] op_sel_hi:[1,0,1]
	v_pk_mul_f32 v[4:5], v[6:7], v[4:5] op_sel_hi:[0,1]
	v_mul_u32_u24_e32 v19, 40, v12
	v_mov_b32_e32 v6, v5
	v_mov_b32_e32 v7, v4
	ds_write_b64 v18, v[6:7] offset:320
	s_waitcnt lgkmcnt(0)
	ds_read_b64 v[6:7], v19 offset:320
	ds_read_b64 v[10:11], v9
	s_waitcnt lgkmcnt(0)
	v_pk_fma_f32 v[10:11], v[4:5], v[6:7], v[10:11] op_sel:[1,0,0] op_sel_hi:[0,0,1]
	v_pk_fma_f32 v[4:5], v[4:5], v[6:7], v[10:11] op_sel:[0,1,0] neg_hi:[0,1,0]
	ds_write_b64 v9, v[4:5]
.LBB43_73:
	s_or_b64 exec, exec, s[4:5]
	v_cmp_eq_u32_e32 vcc, 1, v13
	s_waitcnt lgkmcnt(0)
	s_and_saveexec_b64 s[4:5], vcc
	s_cbranch_execz .LBB43_81
; %bb.74:
	v_mov_b32_e32 v5, 0
	ds_read2_b64 v[14:17], v5 offset0:46 offset1:66
	s_waitcnt lgkmcnt(0)
	v_sub_f32_e32 v2, v14, v16
	v_sub_f32_e32 v6, v15, v17
	v_cmp_gt_f32_e32 vcc, 0, v2
	v_cndmask_b32_e64 v2, v2, -v2, vcc
	v_cmp_gt_f32_e32 vcc, 0, v6
	v_cndmask_b32_e64 v4, v6, -v6, vcc
	v_cmp_gt_f32_e32 vcc, v2, v4
	s_cbranch_vccnz .LBB43_78
; %bb.75:
	v_cmp_eq_f32_e32 vcc, 0, v6
	s_cbranch_vccnz .LBB43_77
; %bb.76:
	v_div_scale_f32 v5, s[2:3], v4, v4, v2
	v_rcp_f32_e32 v6, v5
	v_div_scale_f32 v7, vcc, v2, v4, v2
	s_mov_b32 s2, 0xf800000
	v_fma_f32 v10, -v5, v6, 1.0
	v_fmac_f32_e32 v6, v10, v6
	v_mul_f32_e32 v10, v7, v6
	v_fma_f32 v11, -v5, v10, v7
	v_fmac_f32_e32 v10, v11, v6
	v_fma_f32 v5, -v5, v10, v7
	v_div_fmas_f32 v5, v5, v6, v10
	v_div_fixup_f32 v5, v5, v4, v2
	v_fma_f32 v5, v5, v5, 1.0
	v_mul_f32_e32 v6, 0x4f800000, v5
	v_cmp_gt_f32_e32 vcc, s2, v5
	v_cndmask_b32_e32 v5, v5, v6, vcc
	v_sqrt_f32_e32 v6, v5
	v_add_u32_e32 v7, -1, v6
	v_fma_f32 v10, -v7, v6, v5
	v_cmp_ge_f32_e64 s[2:3], 0, v10
	v_add_u32_e32 v10, 1, v6
	v_cndmask_b32_e64 v7, v6, v7, s[2:3]
	v_fma_f32 v6, -v10, v6, v5
	v_cmp_lt_f32_e64 s[2:3], 0, v6
	v_cndmask_b32_e64 v6, v7, v10, s[2:3]
	v_mul_f32_e32 v7, 0x37800000, v6
	v_cndmask_b32_e32 v6, v6, v7, vcc
	v_mov_b32_e32 v7, 0x260
	v_cmp_class_f32_e32 vcc, v5, v7
	v_cndmask_b32_e32 v5, v6, v5, vcc
	v_mul_f32_e32 v5, v4, v5
.LBB43_77:
	s_cbranch_execz .LBB43_79
	s_branch .LBB43_80
.LBB43_78:
                                        ; implicit-def: $vgpr5
.LBB43_79:
	v_div_scale_f32 v5, s[2:3], v2, v2, v4
	v_rcp_f32_e32 v6, v5
	v_div_scale_f32 v7, vcc, v4, v2, v4
	s_mov_b32 s2, 0xf800000
	v_fma_f32 v10, -v5, v6, 1.0
	v_fmac_f32_e32 v6, v10, v6
	v_mul_f32_e32 v10, v7, v6
	v_fma_f32 v11, -v5, v10, v7
	v_fmac_f32_e32 v10, v11, v6
	v_fma_f32 v5, -v5, v10, v7
	v_div_fmas_f32 v5, v5, v6, v10
	v_div_fixup_f32 v4, v5, v2, v4
	v_fma_f32 v4, v4, v4, 1.0
	v_mul_f32_e32 v5, 0x4f800000, v4
	v_cmp_gt_f32_e32 vcc, s2, v4
	v_cndmask_b32_e32 v4, v4, v5, vcc
	v_sqrt_f32_e32 v5, v4
	v_add_u32_e32 v6, -1, v5
	v_fma_f32 v7, -v6, v5, v4
	v_cmp_ge_f32_e64 s[2:3], 0, v7
	v_add_u32_e32 v7, 1, v5
	v_cndmask_b32_e64 v6, v5, v6, s[2:3]
	v_fma_f32 v5, -v7, v5, v4
	v_cmp_lt_f32_e64 s[2:3], 0, v5
	v_cndmask_b32_e64 v5, v6, v7, s[2:3]
	v_mul_f32_e32 v6, 0x37800000, v5
	v_cndmask_b32_e32 v5, v5, v6, vcc
	v_mov_b32_e32 v6, 0x260
	v_cmp_class_f32_e32 vcc, v4, v6
	v_cndmask_b32_e32 v4, v5, v4, vcc
	v_mul_f32_e32 v5, v2, v4
.LBB43_80:
	s_mov_b32 s2, 0xf800000
	v_mul_f32_e32 v2, 0x4f800000, v5
	v_cmp_gt_f32_e32 vcc, s2, v5
	v_cndmask_b32_e32 v2, v5, v2, vcc
	v_sqrt_f32_e32 v4, v2
	v_add_u32_e32 v5, -1, v4
	v_fma_f32 v6, -v5, v4, v2
	v_cmp_ge_f32_e64 s[2:3], 0, v6
	v_add_u32_e32 v6, 1, v4
	v_cndmask_b32_e64 v5, v4, v5, s[2:3]
	v_fma_f32 v4, -v6, v4, v2
	v_cmp_lt_f32_e64 s[2:3], 0, v4
	v_cndmask_b32_e64 v4, v5, v6, s[2:3]
	v_mul_f32_e32 v5, 0x37800000, v4
	v_cndmask_b32_e32 v4, v4, v5, vcc
	v_mov_b32_e32 v5, 0x260
	v_cmp_class_f32_e32 vcc, v2, v5
	v_cndmask_b32_e32 v4, v4, v2, vcc
	v_mov_b32_e32 v5, 0
	ds_write_b64 v5, v[4:5] offset:368
.LBB43_81:
	s_or_b64 exec, exec, s[4:5]
	v_mov_b32_e32 v2, 0
	s_waitcnt lgkmcnt(0)
	ds_read_b64 v[4:5], v2 offset:368
	s_waitcnt lgkmcnt(0)
	v_cmp_neq_f32_e32 vcc, 0, v4
	v_cmp_neq_f32_e64 s[2:3], 0, v5
	s_or_b64 vcc, vcc, s[2:3]
	s_or_b64 s[2:3], vcc, s[0:1]
	v_cndmask_b32_e32 v2, 1.0, v4, vcc
	s_xor_b64 s[4:5], s[2:3], -1
	v_cndmask_b32_e32 v4, 0, v5, vcc
	s_and_saveexec_b64 s[2:3], s[4:5]
	s_cbranch_execz .LBB43_85
; %bb.82:
	v_mbcnt_lo_u32_b32 v2, exec_lo, 0
	v_mbcnt_hi_u32_b32 v2, exec_hi, v2
	v_cmp_eq_u32_e32 vcc, 0, v2
	s_and_saveexec_b64 s[4:5], vcc
	s_cbranch_execz .LBB43_84
; %bb.83:
	v_mov_b32_e32 v2, 0
	v_mov_b32_e32 v4, s16
	global_atomic_smin v2, v4, s[14:15]
.LBB43_84:
	s_or_b64 exec, exec, s[4:5]
	v_mov_b32_e32 v2, 1.0
	v_mov_b32_e32 v4, 0
.LBB43_85:
	s_or_b64 exec, exec, s[2:3]
	v_cmp_lt_u32_e32 vcc, 1, v13
	s_and_saveexec_b64 s[2:3], vcc
	s_cbranch_execz .LBB43_87
; %bb.86:
	v_mul_f32_e32 v5, v4, v4
	v_fmac_f32_e32 v5, v2, v2
	v_div_scale_f32 v6, s[4:5], v5, v5, 1.0
	v_rcp_f32_e32 v7, v6
	v_mul_u32_u24_e32 v18, 40, v13
	ds_read2_b64 v[14:17], v18 offset0:41 offset1:61
	v_fma_f32 v10, -v6, v7, 1.0
	v_fmac_f32_e32 v7, v10, v7
	v_div_scale_f32 v10, vcc, 1.0, v5, 1.0
	v_mul_f32_e32 v11, v10, v7
	v_fma_f32 v19, -v6, v11, v10
	v_fmac_f32_e32 v11, v19, v7
	v_fma_f32 v6, -v6, v11, v10
	v_div_fmas_f32 v6, v6, v7, v11
	s_waitcnt lgkmcnt(0)
	v_pk_add_f32 v[10:11], v[14:15], v[16:17] op_sel:[1,1] op_sel_hi:[0,0] neg_lo:[0,1] neg_hi:[0,1]
	v_div_fixup_f32 v6, v6, v5, 1.0
	v_pk_mul_f32 v[4:5], v[4:5], v[10:11] op_sel:[0,1] op_sel_hi:[0,0] neg_lo:[0,1]
	v_pk_fma_f32 v[4:5], v[10:11], v[2:3], v[4:5] op_sel_hi:[1,0,1]
	v_pk_mul_f32 v[4:5], v[6:7], v[4:5] op_sel_hi:[0,1]
	v_mul_u32_u24_e32 v19, 40, v12
	v_mov_b32_e32 v6, v5
	v_mov_b32_e32 v7, v4
	ds_write_b64 v18, v[6:7] offset:328
	s_waitcnt lgkmcnt(0)
	ds_read_b64 v[6:7], v19 offset:328
	ds_read_b64 v[10:11], v9
	s_waitcnt lgkmcnt(0)
	v_pk_fma_f32 v[10:11], v[4:5], v[6:7], v[10:11] op_sel:[1,0,0] op_sel_hi:[0,0,1]
	v_pk_fma_f32 v[4:5], v[4:5], v[6:7], v[10:11] op_sel:[0,1,0] neg_hi:[0,1,0]
	ds_write_b64 v9, v[4:5]
.LBB43_87:
	s_or_b64 exec, exec, s[2:3]
	v_cmp_eq_u32_e32 vcc, 2, v13
	s_waitcnt lgkmcnt(0)
	s_and_saveexec_b64 s[4:5], vcc
	s_cbranch_execz .LBB43_95
; %bb.88:
	v_mov_b32_e32 v5, 0
	ds_read2_b64 v[14:17], v5 offset0:52 offset1:72
	s_waitcnt lgkmcnt(0)
	v_sub_f32_e32 v2, v14, v16
	v_sub_f32_e32 v6, v15, v17
	v_cmp_gt_f32_e32 vcc, 0, v2
	v_cndmask_b32_e64 v2, v2, -v2, vcc
	v_cmp_gt_f32_e32 vcc, 0, v6
	v_cndmask_b32_e64 v4, v6, -v6, vcc
	v_cmp_gt_f32_e32 vcc, v2, v4
	s_cbranch_vccnz .LBB43_92
; %bb.89:
	v_cmp_eq_f32_e32 vcc, 0, v6
	s_cbranch_vccnz .LBB43_91
; %bb.90:
	v_div_scale_f32 v5, s[2:3], v4, v4, v2
	v_rcp_f32_e32 v6, v5
	v_div_scale_f32 v7, vcc, v2, v4, v2
	s_mov_b32 s2, 0xf800000
	v_fma_f32 v10, -v5, v6, 1.0
	v_fmac_f32_e32 v6, v10, v6
	v_mul_f32_e32 v10, v7, v6
	v_fma_f32 v11, -v5, v10, v7
	v_fmac_f32_e32 v10, v11, v6
	v_fma_f32 v5, -v5, v10, v7
	v_div_fmas_f32 v5, v5, v6, v10
	v_div_fixup_f32 v5, v5, v4, v2
	v_fma_f32 v5, v5, v5, 1.0
	v_mul_f32_e32 v6, 0x4f800000, v5
	v_cmp_gt_f32_e32 vcc, s2, v5
	v_cndmask_b32_e32 v5, v5, v6, vcc
	v_sqrt_f32_e32 v6, v5
	v_add_u32_e32 v7, -1, v6
	v_fma_f32 v10, -v7, v6, v5
	v_cmp_ge_f32_e64 s[2:3], 0, v10
	v_add_u32_e32 v10, 1, v6
	v_cndmask_b32_e64 v7, v6, v7, s[2:3]
	v_fma_f32 v6, -v10, v6, v5
	v_cmp_lt_f32_e64 s[2:3], 0, v6
	v_cndmask_b32_e64 v6, v7, v10, s[2:3]
	v_mul_f32_e32 v7, 0x37800000, v6
	v_cndmask_b32_e32 v6, v6, v7, vcc
	v_mov_b32_e32 v7, 0x260
	v_cmp_class_f32_e32 vcc, v5, v7
	v_cndmask_b32_e32 v5, v6, v5, vcc
	v_mul_f32_e32 v5, v4, v5
.LBB43_91:
	s_cbranch_execz .LBB43_93
	s_branch .LBB43_94
.LBB43_92:
                                        ; implicit-def: $vgpr5
.LBB43_93:
	v_div_scale_f32 v5, s[2:3], v2, v2, v4
	v_rcp_f32_e32 v6, v5
	v_div_scale_f32 v7, vcc, v4, v2, v4
	s_mov_b32 s2, 0xf800000
	v_fma_f32 v10, -v5, v6, 1.0
	v_fmac_f32_e32 v6, v10, v6
	v_mul_f32_e32 v10, v7, v6
	v_fma_f32 v11, -v5, v10, v7
	v_fmac_f32_e32 v10, v11, v6
	v_fma_f32 v5, -v5, v10, v7
	v_div_fmas_f32 v5, v5, v6, v10
	v_div_fixup_f32 v4, v5, v2, v4
	v_fma_f32 v4, v4, v4, 1.0
	v_mul_f32_e32 v5, 0x4f800000, v4
	v_cmp_gt_f32_e32 vcc, s2, v4
	v_cndmask_b32_e32 v4, v4, v5, vcc
	v_sqrt_f32_e32 v5, v4
	v_add_u32_e32 v6, -1, v5
	v_fma_f32 v7, -v6, v5, v4
	v_cmp_ge_f32_e64 s[2:3], 0, v7
	v_add_u32_e32 v7, 1, v5
	v_cndmask_b32_e64 v6, v5, v6, s[2:3]
	v_fma_f32 v5, -v7, v5, v4
	v_cmp_lt_f32_e64 s[2:3], 0, v5
	v_cndmask_b32_e64 v5, v6, v7, s[2:3]
	v_mul_f32_e32 v6, 0x37800000, v5
	v_cndmask_b32_e32 v5, v5, v6, vcc
	v_mov_b32_e32 v6, 0x260
	v_cmp_class_f32_e32 vcc, v4, v6
	v_cndmask_b32_e32 v4, v5, v4, vcc
	v_mul_f32_e32 v5, v2, v4
.LBB43_94:
	s_mov_b32 s2, 0xf800000
	v_mul_f32_e32 v2, 0x4f800000, v5
	v_cmp_gt_f32_e32 vcc, s2, v5
	v_cndmask_b32_e32 v2, v5, v2, vcc
	v_sqrt_f32_e32 v4, v2
	v_add_u32_e32 v5, -1, v4
	v_fma_f32 v6, -v5, v4, v2
	v_cmp_ge_f32_e64 s[2:3], 0, v6
	v_add_u32_e32 v6, 1, v4
	v_cndmask_b32_e64 v5, v4, v5, s[2:3]
	v_fma_f32 v4, -v6, v4, v2
	v_cmp_lt_f32_e64 s[2:3], 0, v4
	v_cndmask_b32_e64 v4, v5, v6, s[2:3]
	v_mul_f32_e32 v5, 0x37800000, v4
	v_cndmask_b32_e32 v4, v4, v5, vcc
	v_mov_b32_e32 v5, 0x260
	v_cmp_class_f32_e32 vcc, v2, v5
	v_cndmask_b32_e32 v4, v4, v2, vcc
	v_mov_b32_e32 v5, 0
	ds_write_b64 v5, v[4:5] offset:416
.LBB43_95:
	s_or_b64 exec, exec, s[4:5]
	v_mov_b32_e32 v2, 0
	s_waitcnt lgkmcnt(0)
	ds_read_b64 v[4:5], v2 offset:416
	s_waitcnt lgkmcnt(0)
	v_cmp_neq_f32_e32 vcc, 0, v4
	v_cmp_neq_f32_e64 s[2:3], 0, v5
	s_or_b64 vcc, vcc, s[2:3]
	s_or_b64 s[2:3], vcc, s[0:1]
	v_cndmask_b32_e32 v2, 1.0, v4, vcc
	s_xor_b64 s[4:5], s[2:3], -1
	v_cndmask_b32_e32 v4, 0, v5, vcc
	s_and_saveexec_b64 s[2:3], s[4:5]
	s_cbranch_execz .LBB43_99
; %bb.96:
	v_mbcnt_lo_u32_b32 v2, exec_lo, 0
	v_mbcnt_hi_u32_b32 v2, exec_hi, v2
	v_cmp_eq_u32_e32 vcc, 0, v2
	s_and_saveexec_b64 s[4:5], vcc
	s_cbranch_execz .LBB43_98
; %bb.97:
	v_mov_b32_e32 v2, 0
	v_mov_b32_e32 v4, s16
	global_atomic_smin v2, v4, s[14:15]
.LBB43_98:
	s_or_b64 exec, exec, s[4:5]
	v_mov_b32_e32 v2, 1.0
	v_mov_b32_e32 v4, 0
.LBB43_99:
	s_or_b64 exec, exec, s[2:3]
	v_cmp_lt_u32_e32 vcc, 2, v13
	s_and_saveexec_b64 s[2:3], vcc
	s_cbranch_execz .LBB43_101
; %bb.100:
	v_mul_f32_e32 v5, v4, v4
	v_fmac_f32_e32 v5, v2, v2
	v_div_scale_f32 v6, s[4:5], v5, v5, 1.0
	v_rcp_f32_e32 v7, v6
	v_mul_u32_u24_e32 v18, 40, v13
	ds_read2_b64 v[14:17], v18 offset0:42 offset1:62
	v_fma_f32 v10, -v6, v7, 1.0
	v_fmac_f32_e32 v7, v10, v7
	v_div_scale_f32 v10, vcc, 1.0, v5, 1.0
	v_mul_f32_e32 v11, v10, v7
	v_fma_f32 v19, -v6, v11, v10
	v_fmac_f32_e32 v11, v19, v7
	v_fma_f32 v6, -v6, v11, v10
	v_div_fmas_f32 v6, v6, v7, v11
	s_waitcnt lgkmcnt(0)
	v_pk_add_f32 v[10:11], v[14:15], v[16:17] op_sel:[1,1] op_sel_hi:[0,0] neg_lo:[0,1] neg_hi:[0,1]
	v_div_fixup_f32 v6, v6, v5, 1.0
	v_pk_mul_f32 v[4:5], v[4:5], v[10:11] op_sel:[0,1] op_sel_hi:[0,0] neg_lo:[0,1]
	v_pk_fma_f32 v[4:5], v[10:11], v[2:3], v[4:5] op_sel_hi:[1,0,1]
	v_pk_mul_f32 v[4:5], v[6:7], v[4:5] op_sel_hi:[0,1]
	v_mul_u32_u24_e32 v19, 40, v12
	v_mov_b32_e32 v6, v5
	v_mov_b32_e32 v7, v4
	ds_write_b64 v18, v[6:7] offset:336
	s_waitcnt lgkmcnt(0)
	ds_read_b64 v[6:7], v19 offset:336
	ds_read_b64 v[10:11], v9
	s_waitcnt lgkmcnt(0)
	v_pk_fma_f32 v[10:11], v[4:5], v[6:7], v[10:11] op_sel:[1,0,0] op_sel_hi:[0,0,1]
	v_pk_fma_f32 v[4:5], v[4:5], v[6:7], v[10:11] op_sel:[0,1,0] neg_hi:[0,1,0]
	ds_write_b64 v9, v[4:5]
.LBB43_101:
	s_or_b64 exec, exec, s[2:3]
	v_cmp_eq_u32_e32 vcc, 3, v13
	s_waitcnt lgkmcnt(0)
	s_and_saveexec_b64 s[4:5], vcc
	s_cbranch_execz .LBB43_109
; %bb.102:
	v_mov_b32_e32 v5, 0
	ds_read2_b64 v[14:17], v5 offset0:58 offset1:78
	s_waitcnt lgkmcnt(0)
	v_sub_f32_e32 v2, v14, v16
	v_sub_f32_e32 v6, v15, v17
	v_cmp_gt_f32_e32 vcc, 0, v2
	v_cndmask_b32_e64 v2, v2, -v2, vcc
	v_cmp_gt_f32_e32 vcc, 0, v6
	v_cndmask_b32_e64 v4, v6, -v6, vcc
	v_cmp_gt_f32_e32 vcc, v2, v4
	s_cbranch_vccnz .LBB43_106
; %bb.103:
	v_cmp_eq_f32_e32 vcc, 0, v6
	s_cbranch_vccnz .LBB43_105
; %bb.104:
	v_div_scale_f32 v5, s[2:3], v4, v4, v2
	v_rcp_f32_e32 v6, v5
	v_div_scale_f32 v7, vcc, v2, v4, v2
	s_mov_b32 s2, 0xf800000
	v_fma_f32 v10, -v5, v6, 1.0
	v_fmac_f32_e32 v6, v10, v6
	v_mul_f32_e32 v10, v7, v6
	v_fma_f32 v11, -v5, v10, v7
	v_fmac_f32_e32 v10, v11, v6
	v_fma_f32 v5, -v5, v10, v7
	v_div_fmas_f32 v5, v5, v6, v10
	v_div_fixup_f32 v5, v5, v4, v2
	v_fma_f32 v5, v5, v5, 1.0
	v_mul_f32_e32 v6, 0x4f800000, v5
	v_cmp_gt_f32_e32 vcc, s2, v5
	v_cndmask_b32_e32 v5, v5, v6, vcc
	v_sqrt_f32_e32 v6, v5
	v_add_u32_e32 v7, -1, v6
	v_fma_f32 v10, -v7, v6, v5
	v_cmp_ge_f32_e64 s[2:3], 0, v10
	v_add_u32_e32 v10, 1, v6
	v_cndmask_b32_e64 v7, v6, v7, s[2:3]
	v_fma_f32 v6, -v10, v6, v5
	v_cmp_lt_f32_e64 s[2:3], 0, v6
	v_cndmask_b32_e64 v6, v7, v10, s[2:3]
	v_mul_f32_e32 v7, 0x37800000, v6
	v_cndmask_b32_e32 v6, v6, v7, vcc
	v_mov_b32_e32 v7, 0x260
	v_cmp_class_f32_e32 vcc, v5, v7
	v_cndmask_b32_e32 v5, v6, v5, vcc
	v_mul_f32_e32 v5, v4, v5
.LBB43_105:
	s_cbranch_execz .LBB43_107
	s_branch .LBB43_108
.LBB43_106:
                                        ; implicit-def: $vgpr5
.LBB43_107:
	v_div_scale_f32 v5, s[2:3], v2, v2, v4
	v_rcp_f32_e32 v6, v5
	v_div_scale_f32 v7, vcc, v4, v2, v4
	s_mov_b32 s2, 0xf800000
	v_fma_f32 v10, -v5, v6, 1.0
	v_fmac_f32_e32 v6, v10, v6
	v_mul_f32_e32 v10, v7, v6
	v_fma_f32 v11, -v5, v10, v7
	v_fmac_f32_e32 v10, v11, v6
	v_fma_f32 v5, -v5, v10, v7
	v_div_fmas_f32 v5, v5, v6, v10
	v_div_fixup_f32 v4, v5, v2, v4
	v_fma_f32 v4, v4, v4, 1.0
	v_mul_f32_e32 v5, 0x4f800000, v4
	v_cmp_gt_f32_e32 vcc, s2, v4
	v_cndmask_b32_e32 v4, v4, v5, vcc
	v_sqrt_f32_e32 v5, v4
	v_add_u32_e32 v6, -1, v5
	v_fma_f32 v7, -v6, v5, v4
	v_cmp_ge_f32_e64 s[2:3], 0, v7
	v_add_u32_e32 v7, 1, v5
	v_cndmask_b32_e64 v6, v5, v6, s[2:3]
	v_fma_f32 v5, -v7, v5, v4
	v_cmp_lt_f32_e64 s[2:3], 0, v5
	v_cndmask_b32_e64 v5, v6, v7, s[2:3]
	v_mul_f32_e32 v6, 0x37800000, v5
	v_cndmask_b32_e32 v5, v5, v6, vcc
	v_mov_b32_e32 v6, 0x260
	v_cmp_class_f32_e32 vcc, v4, v6
	v_cndmask_b32_e32 v4, v5, v4, vcc
	v_mul_f32_e32 v5, v2, v4
.LBB43_108:
	s_mov_b32 s2, 0xf800000
	v_mul_f32_e32 v2, 0x4f800000, v5
	v_cmp_gt_f32_e32 vcc, s2, v5
	v_cndmask_b32_e32 v2, v5, v2, vcc
	v_sqrt_f32_e32 v4, v2
	v_add_u32_e32 v5, -1, v4
	v_fma_f32 v6, -v5, v4, v2
	v_cmp_ge_f32_e64 s[2:3], 0, v6
	v_add_u32_e32 v6, 1, v4
	v_cndmask_b32_e64 v5, v4, v5, s[2:3]
	v_fma_f32 v4, -v6, v4, v2
	v_cmp_lt_f32_e64 s[2:3], 0, v4
	v_cndmask_b32_e64 v4, v5, v6, s[2:3]
	v_mul_f32_e32 v5, 0x37800000, v4
	v_cndmask_b32_e32 v4, v4, v5, vcc
	v_mov_b32_e32 v5, 0x260
	v_cmp_class_f32_e32 vcc, v2, v5
	v_cndmask_b32_e32 v4, v4, v2, vcc
	v_mov_b32_e32 v5, 0
	ds_write_b64 v5, v[4:5] offset:464
.LBB43_109:
	s_or_b64 exec, exec, s[4:5]
	v_mov_b32_e32 v2, 0
	s_waitcnt lgkmcnt(0)
	ds_read_b64 v[4:5], v2 offset:464
	s_waitcnt lgkmcnt(0)
	v_cmp_neq_f32_e32 vcc, 0, v4
	v_cmp_neq_f32_e64 s[2:3], 0, v5
	s_or_b64 vcc, vcc, s[2:3]
	s_or_b64 s[0:1], vcc, s[0:1]
	v_cndmask_b32_e32 v2, 1.0, v4, vcc
	s_xor_b64 s[2:3], s[0:1], -1
	v_cndmask_b32_e32 v4, 0, v5, vcc
	s_and_saveexec_b64 s[0:1], s[2:3]
	s_cbranch_execz .LBB43_113
; %bb.110:
	v_mbcnt_lo_u32_b32 v2, exec_lo, 0
	v_mbcnt_hi_u32_b32 v2, exec_hi, v2
	v_cmp_eq_u32_e32 vcc, 0, v2
	s_and_saveexec_b64 s[2:3], vcc
	s_cbranch_execz .LBB43_112
; %bb.111:
	v_mov_b32_e32 v2, 0
	v_mov_b32_e32 v4, s16
	global_atomic_smin v2, v4, s[14:15]
.LBB43_112:
	s_or_b64 exec, exec, s[2:3]
	v_mov_b32_e32 v2, 1.0
	v_mov_b32_e32 v4, 0
.LBB43_113:
	s_or_b64 exec, exec, s[0:1]
	v_cmp_lt_u32_e32 vcc, 3, v13
	s_and_saveexec_b64 s[0:1], vcc
	s_cbranch_execz .LBB43_115
; %bb.114:
	v_mul_f32_e32 v5, v4, v4
	v_fmac_f32_e32 v5, v2, v2
	v_div_scale_f32 v6, s[2:3], v5, v5, 1.0
	v_rcp_f32_e32 v7, v6
	v_mul_u32_u24_e32 v18, 40, v13
	ds_read2_b64 v[14:17], v18 offset0:43 offset1:63
	v_fma_f32 v10, -v6, v7, 1.0
	v_fmac_f32_e32 v7, v10, v7
	v_div_scale_f32 v10, vcc, 1.0, v5, 1.0
	v_mul_f32_e32 v11, v10, v7
	v_fma_f32 v19, -v6, v11, v10
	v_fmac_f32_e32 v11, v19, v7
	v_fma_f32 v6, -v6, v11, v10
	v_div_fmas_f32 v6, v6, v7, v11
	s_waitcnt lgkmcnt(0)
	v_pk_add_f32 v[10:11], v[14:15], v[16:17] op_sel:[1,1] op_sel_hi:[0,0] neg_lo:[0,1] neg_hi:[0,1]
	v_div_fixup_f32 v6, v6, v5, 1.0
	v_pk_mul_f32 v[4:5], v[4:5], v[10:11] op_sel:[0,1] op_sel_hi:[0,0] neg_lo:[0,1]
	v_pk_fma_f32 v[4:5], v[10:11], v[2:3], v[4:5] op_sel_hi:[1,0,1]
	v_pk_mul_f32 v[4:5], v[6:7], v[4:5] op_sel_hi:[0,1]
	v_mul_u32_u24_e32 v19, 40, v12
	v_mov_b32_e32 v6, v5
	v_mov_b32_e32 v7, v4
	ds_write_b64 v18, v[6:7] offset:344
	s_waitcnt lgkmcnt(0)
	ds_read_b64 v[6:7], v19 offset:344
	ds_read_b64 v[10:11], v9
	s_waitcnt lgkmcnt(0)
	v_pk_fma_f32 v[10:11], v[4:5], v[6:7], v[10:11] op_sel:[1,0,0] op_sel_hi:[0,0,1]
	v_pk_fma_f32 v[4:5], v[4:5], v[6:7], v[10:11] op_sel:[0,1,0] neg_hi:[0,1,0]
	ds_write_b64 v9, v[4:5]
.LBB43_115:
	s_or_b64 exec, exec, s[0:1]
	s_waitcnt lgkmcnt(0)
	ds_read_b64 v[2:3], v3
	v_cmp_eq_u32_e64 s[0:1], 0, v8
	s_waitcnt lgkmcnt(0)
	global_store_dwordx2 v[0:1], v[2:3], off
	s_branch .LBB43_121
.LBB43_116:
	v_or_b32_e32 v0, v12, v13
	v_cmp_eq_u32_e32 vcc, 0, v0
	s_and_saveexec_b64 s[2:3], vcc
	s_cbranch_execz .LBB43_120
; %bb.117:
	v_mbcnt_lo_u32_b32 v0, exec_lo, 0
	v_mbcnt_hi_u32_b32 v0, exec_hi, v0
	v_cmp_eq_u32_e32 vcc, 0, v0
	s_and_saveexec_b64 s[4:5], vcc
	s_cbranch_execz .LBB43_119
; %bb.118:
	s_add_i32 s8, s12, s13
	v_mov_b32_e32 v0, 0
	v_mov_b32_e32 v1, s8
	global_atomic_smin v0, v1, s[14:15]
.LBB43_119:
	s_or_b64 exec, exec, s[4:5]
	s_or_b64 s[0:1], s[0:1], exec
.LBB43_120:
	s_or_b64 exec, exec, s[2:3]
.LBB43_121:
	s_and_saveexec_b64 s[2:3], s[0:1]
	s_cbranch_execnz .LBB43_123
; %bb.122:
	s_endpgm
.LBB43_123:
	s_add_u32 s0, s10, s6
	s_addc_u32 s1, s11, s7
	v_mov_b32_e32 v0, 0
	v_mov_b32_e32 v1, 1
	s_waitcnt vmcnt(0)
	global_store_dword v0, v1, s[0:1]
	s_endpgm
	.section	.rodata,"a",@progbits
	.p2align	6, 0x0
	.amdhsa_kernel _ZN9rocsparseL26bsric0_2_8_unrolled_kernelILi16ELi32ELi4E21rocsparse_complex_numIfEEEv20rocsparse_direction_iiPKiS5_PT2_S5_PiS5_S8_21rocsparse_index_base_
		.amdhsa_group_segment_fixed_size 1024
		.amdhsa_private_segment_fixed_size 0
		.amdhsa_kernarg_size 76
		.amdhsa_user_sgpr_count 6
		.amdhsa_user_sgpr_private_segment_buffer 1
		.amdhsa_user_sgpr_dispatch_ptr 0
		.amdhsa_user_sgpr_queue_ptr 0
		.amdhsa_user_sgpr_kernarg_segment_ptr 1
		.amdhsa_user_sgpr_dispatch_id 0
		.amdhsa_user_sgpr_flat_scratch_init 0
		.amdhsa_user_sgpr_kernarg_preload_length 0
		.amdhsa_user_sgpr_kernarg_preload_offset 0
		.amdhsa_user_sgpr_private_segment_size 0
		.amdhsa_uses_dynamic_stack 0
		.amdhsa_system_sgpr_private_segment_wavefront_offset 0
		.amdhsa_system_sgpr_workgroup_id_x 1
		.amdhsa_system_sgpr_workgroup_id_y 0
		.amdhsa_system_sgpr_workgroup_id_z 0
		.amdhsa_system_sgpr_workgroup_info 0
		.amdhsa_system_vgpr_workitem_id 1
		.amdhsa_next_free_vgpr 72
		.amdhsa_next_free_sgpr 40
		.amdhsa_accum_offset 72
		.amdhsa_reserve_vcc 1
		.amdhsa_reserve_flat_scratch 0
		.amdhsa_float_round_mode_32 0
		.amdhsa_float_round_mode_16_64 0
		.amdhsa_float_denorm_mode_32 3
		.amdhsa_float_denorm_mode_16_64 3
		.amdhsa_dx10_clamp 1
		.amdhsa_ieee_mode 1
		.amdhsa_fp16_overflow 0
		.amdhsa_tg_split 0
		.amdhsa_exception_fp_ieee_invalid_op 0
		.amdhsa_exception_fp_denorm_src 0
		.amdhsa_exception_fp_ieee_div_zero 0
		.amdhsa_exception_fp_ieee_overflow 0
		.amdhsa_exception_fp_ieee_underflow 0
		.amdhsa_exception_fp_ieee_inexact 0
		.amdhsa_exception_int_div_zero 0
	.end_amdhsa_kernel
	.section	.text._ZN9rocsparseL26bsric0_2_8_unrolled_kernelILi16ELi32ELi4E21rocsparse_complex_numIfEEEv20rocsparse_direction_iiPKiS5_PT2_S5_PiS5_S8_21rocsparse_index_base_,"axG",@progbits,_ZN9rocsparseL26bsric0_2_8_unrolled_kernelILi16ELi32ELi4E21rocsparse_complex_numIfEEEv20rocsparse_direction_iiPKiS5_PT2_S5_PiS5_S8_21rocsparse_index_base_,comdat
.Lfunc_end43:
	.size	_ZN9rocsparseL26bsric0_2_8_unrolled_kernelILi16ELi32ELi4E21rocsparse_complex_numIfEEEv20rocsparse_direction_iiPKiS5_PT2_S5_PiS5_S8_21rocsparse_index_base_, .Lfunc_end43-_ZN9rocsparseL26bsric0_2_8_unrolled_kernelILi16ELi32ELi4E21rocsparse_complex_numIfEEEv20rocsparse_direction_iiPKiS5_PT2_S5_PiS5_S8_21rocsparse_index_base_
                                        ; -- End function
	.section	.AMDGPU.csdata,"",@progbits
; Kernel info:
; codeLenInByte = 8444
; NumSgprs: 44
; NumVgprs: 72
; NumAgprs: 0
; TotalNumVgprs: 72
; ScratchSize: 0
; MemoryBound: 0
; FloatMode: 240
; IeeeMode: 1
; LDSByteSize: 1024 bytes/workgroup (compile time only)
; SGPRBlocks: 5
; VGPRBlocks: 8
; NumSGPRsForWavesPerEU: 44
; NumVGPRsForWavesPerEU: 72
; AccumOffset: 72
; Occupancy: 7
; WaveLimiterHint : 1
; COMPUTE_PGM_RSRC2:SCRATCH_EN: 0
; COMPUTE_PGM_RSRC2:USER_SGPR: 6
; COMPUTE_PGM_RSRC2:TRAP_HANDLER: 0
; COMPUTE_PGM_RSRC2:TGID_X_EN: 1
; COMPUTE_PGM_RSRC2:TGID_Y_EN: 0
; COMPUTE_PGM_RSRC2:TGID_Z_EN: 0
; COMPUTE_PGM_RSRC2:TIDIG_COMP_CNT: 1
; COMPUTE_PGM_RSRC3_GFX90A:ACCUM_OFFSET: 17
; COMPUTE_PGM_RSRC3_GFX90A:TG_SPLIT: 0
	.section	.text._ZN9rocsparseL26bsric0_2_8_unrolled_kernelILi25ELi32ELi5E21rocsparse_complex_numIfEEEv20rocsparse_direction_iiPKiS5_PT2_S5_PiS5_S8_21rocsparse_index_base_,"axG",@progbits,_ZN9rocsparseL26bsric0_2_8_unrolled_kernelILi25ELi32ELi5E21rocsparse_complex_numIfEEEv20rocsparse_direction_iiPKiS5_PT2_S5_PiS5_S8_21rocsparse_index_base_,comdat
	.globl	_ZN9rocsparseL26bsric0_2_8_unrolled_kernelILi25ELi32ELi5E21rocsparse_complex_numIfEEEv20rocsparse_direction_iiPKiS5_PT2_S5_PiS5_S8_21rocsparse_index_base_ ; -- Begin function _ZN9rocsparseL26bsric0_2_8_unrolled_kernelILi25ELi32ELi5E21rocsparse_complex_numIfEEEv20rocsparse_direction_iiPKiS5_PT2_S5_PiS5_S8_21rocsparse_index_base_
	.p2align	8
	.type	_ZN9rocsparseL26bsric0_2_8_unrolled_kernelILi25ELi32ELi5E21rocsparse_complex_numIfEEEv20rocsparse_direction_iiPKiS5_PT2_S5_PiS5_S8_21rocsparse_index_base_,@function
_ZN9rocsparseL26bsric0_2_8_unrolled_kernelILi25ELi32ELi5E21rocsparse_complex_numIfEEEv20rocsparse_direction_iiPKiS5_PT2_S5_PiS5_S8_21rocsparse_index_base_: ; @_ZN9rocsparseL26bsric0_2_8_unrolled_kernelILi25ELi32ELi5E21rocsparse_complex_numIfEEEv20rocsparse_direction_iiPKiS5_PT2_S5_PiS5_S8_21rocsparse_index_base_
; %bb.0:
	s_load_dwordx8 s[8:15], s[4:5], 0x28
	s_mov_b32 s7, 0
	s_lshl_b64 s[0:1], s[6:7], 2
	v_and_b32_e32 v12, 0x3ff, v0
	v_bfe_u32 v13, v0, 10, 10
	s_waitcnt lgkmcnt(0)
	s_add_u32 s0, s12, s0
	s_addc_u32 s1, s13, s1
	s_load_dword s12, s[0:1], 0x0
	s_waitcnt lgkmcnt(0)
	s_ashr_i32 s13, s12, 31
	s_lshl_b64 s[6:7], s[12:13], 2
	s_add_u32 s0, s8, s6
	s_addc_u32 s1, s9, s7
	s_load_dword s30, s[0:1], 0x0
	s_load_dword s13, s[4:5], 0x48
	s_waitcnt lgkmcnt(0)
	s_cmp_lg_u32 s30, -1
	s_cbranch_scc0 .LBB44_67
; %bb.1:
	s_load_dwordx4 s[16:19], s[4:5], 0x10
	s_load_dwordx2 s[20:21], s[4:5], 0x20
	v_mad_u32_u24 v14, v13, 5, v12
	v_mul_u32_u24_e32 v15, 5, v13
	s_waitcnt lgkmcnt(0)
	s_add_u32 s0, s16, s6
	s_addc_u32 s1, s17, s7
	s_load_dword s26, s[0:1], 0x0
	s_waitcnt lgkmcnt(0)
	s_sub_i32 s31, s26, s13
	v_add_u32_e32 v0, s31, v14
	v_cmp_ge_i32_e32 vcc, s30, v0
	s_and_saveexec_b64 s[2:3], vcc
	s_cbranch_execz .LBB44_14
; %bb.2:
	v_add_u32_e32 v1, s26, v12
	v_add_u32_e32 v2, v1, v15
	v_subrev_u32_e32 v2, s13, v2
	v_add_u32_e32 v2, 25, v2
	s_add_i32 s0, s30, 1
	v_max_i32_e32 v2, s0, v2
	v_add_u32_e32 v2, s13, v2
	v_sub_u32_e32 v1, v2, v1
	v_subrev_u32_e32 v1, 25, v1
	v_cmp_ne_u32_e32 vcc, v1, v15
	v_addc_co_u32_e64 v2, s[0:1], 0, v15, vcc
	v_sub_u32_e32 v1, v1, v2
	s_mov_b32 s0, 0x51eb851f
	v_mul_hi_u32 v1, v1, s0
	v_lshrrev_b32_e32 v1, 3, v1
	v_addc_co_u32_e32 v16, vcc, 0, v1, vcc
	v_cmp_ne_u32_e32 vcc, 0, v16
	s_mov_b64 s[22:23], -1
	s_and_saveexec_b64 s[0:1], vcc
	s_cbranch_execz .LBB44_11
; %bb.3:
	v_add_u32_e32 v2, -1, v16
	v_add_u32_e32 v1, 25, v0
	v_lshrrev_b32_e32 v2, 1, v2
	v_add_u32_e32 v17, 1, v2
	v_cmp_lt_u32_e32 vcc, 14, v16
	v_pk_mov_b32 v[2:3], v[0:1], v[0:1] op_sel:[0,1]
	s_and_saveexec_b64 s[22:23], vcc
	s_cbranch_execz .LBB44_7
; %bb.4:
	v_and_b32_e32 v18, -8, v17
	s_mov_b64 s[24:25], 0
	v_mov_b32_e32 v19, s19
	v_pk_mov_b32 v[2:3], v[0:1], v[0:1] op_sel:[0,1]
.LBB44_5:                               ; =>This Inner Loop Header: Depth=1
	v_ashrrev_i32_e32 v23, 31, v2
	v_mov_b32_e32 v22, v2
	v_lshlrev_b64 v[22:23], 2, v[22:23]
	v_ashrrev_i32_e32 v21, 31, v3
	v_mov_b32_e32 v20, v3
	v_add_co_u32_e32 v22, vcc, s18, v22
	v_add_u32_e32 v4, 50, v2
	v_lshlrev_b64 v[20:21], 2, v[20:21]
	v_addc_co_u32_e32 v23, vcc, v19, v23, vcc
	v_ashrrev_i32_e32 v5, 31, v4
	v_add_co_u32_e32 v20, vcc, s18, v20
	v_add_u32_e32 v6, 50, v3
	v_addc_co_u32_e32 v21, vcc, v19, v21, vcc
	v_lshlrev_b64 v[42:43], 2, v[4:5]
	v_ashrrev_i32_e32 v7, 31, v6
	v_add_co_u32_e32 v42, vcc, s18, v42
	v_add_u32_e32 v8, 0x64, v2
	v_lshlrev_b64 v[44:45], 2, v[6:7]
	v_addc_co_u32_e32 v43, vcc, v19, v43, vcc
	v_ashrrev_i32_e32 v9, 31, v8
	v_add_co_u32_e32 v44, vcc, s18, v44
	v_add_u32_e32 v10, 0x64, v3
	v_lshlrev_b64 v[46:47], 2, v[8:9]
	v_addc_co_u32_e32 v45, vcc, v19, v45, vcc
	;; [unrolled: 5-line block ×11, first 2 shown]
	v_ashrrev_i32_e32 v41, 31, v40
	v_add_co_u32_e32 v64, vcc, s18, v64
	v_addc_co_u32_e32 v65, vcc, v19, v65, vcc
	v_lshlrev_b64 v[66:67], 2, v[40:41]
	v_add_u32_e32 v68, 0x15e, v3
	v_add_co_u32_e32 v66, vcc, s18, v66
	v_ashrrev_i32_e32 v69, 31, v68
	v_addc_co_u32_e32 v67, vcc, v19, v67, vcc
	v_lshlrev_b64 v[70:71], 2, v[68:69]
	v_add_co_u32_e32 v70, vcc, s18, v70
	v_addc_co_u32_e32 v71, vcc, v19, v71, vcc
	global_load_dword v1, v[20:21], off
	global_load_dword v5, v[22:23], off
	;; [unrolled: 1-line block ×15, first 2 shown]
                                        ; kill: killed $vgpr48 killed $vgpr49
                                        ; kill: killed $vgpr50 killed $vgpr51
                                        ; kill: killed $vgpr44 killed $vgpr45
                                        ; kill: killed $vgpr46 killed $vgpr47
                                        ; kill: killed $vgpr70 killed $vgpr71
                                        ; kill: killed $vgpr42 killed $vgpr43
                                        ; kill: killed $vgpr64 killed $vgpr65
                                        ; kill: killed $vgpr62 killed $vgpr63
                                        ; kill: killed $vgpr60 killed $vgpr61
                                        ; kill: killed $vgpr20 killed $vgpr21
                                        ; kill: killed $vgpr56 killed $vgpr57
                                        ; kill: killed $vgpr58 killed $vgpr59
                                        ; kill: killed $vgpr22 killed $vgpr23
                                        ; kill: killed $vgpr52 killed $vgpr53
                                        ; kill: killed $vgpr54 killed $vgpr55
	global_load_dword v20, v[66:67], off
	v_subrev_u32_e32 v22, s31, v2
	v_add_u32_e32 v18, -8, v18
	v_subrev_u32_e32 v21, s31, v3
	v_lshlrev_b32_e32 v22, 2, v22
	v_subrev_u32_e32 v4, s31, v4
	v_cmp_eq_u32_e32 vcc, 0, v18
	v_add_u32_e32 v3, 0x190, v3
	v_add_u32_e32 v2, 0x190, v2
	v_lshlrev_b32_e32 v21, 2, v21
	v_subrev_u32_e32 v6, s31, v6
	v_subrev_u32_e32 v10, s31, v10
	v_subrev_u32_e32 v8, s31, v8
	v_subrev_u32_e32 v23, s31, v26
	v_subrev_u32_e32 v24, s31, v24
	v_subrev_u32_e32 v26, s31, v30
	v_subrev_u32_e32 v28, s31, v28
	v_subrev_u32_e32 v30, s31, v34
	v_subrev_u32_e32 v32, s31, v32
	v_subrev_u32_e32 v34, s31, v38
	v_subrev_u32_e32 v36, s31, v36
	v_subrev_u32_e32 v38, s31, v68
	v_subrev_u32_e32 v40, s31, v40
	v_lshlrev_b32_e32 v4, 2, v4
	s_or_b64 s[24:25], vcc, s[24:25]
	v_lshlrev_b32_e32 v6, 2, v6
	v_lshlrev_b32_e32 v8, 2, v8
	;; [unrolled: 1-line block ×13, first 2 shown]
	s_waitcnt vmcnt(15)
	v_subrev_u32_e32 v1, s13, v1
	s_waitcnt vmcnt(14)
	v_subrev_u32_e32 v5, s13, v5
	ds_write_b32 v22, v5 offset:1216
	ds_write_b32 v21, v1 offset:1216
	s_waitcnt vmcnt(12)
	v_subrev_u32_e32 v5, s13, v9
	v_subrev_u32_e32 v1, s13, v7
	s_waitcnt vmcnt(11)
	v_subrev_u32_e32 v7, s13, v11
	s_waitcnt vmcnt(10)
	;; [unrolled: 2-line block ×12, first 2 shown]
	v_subrev_u32_e32 v20, s13, v20
	ds_write_b32 v4, v5 offset:1216
	ds_write_b32 v6, v1 offset:1216
	;; [unrolled: 1-line block ×14, first 2 shown]
	s_andn2_b64 exec, exec, s[24:25]
	s_cbranch_execnz .LBB44_5
; %bb.6:
	s_or_b64 exec, exec, s[24:25]
.LBB44_7:
	s_or_b64 exec, exec, s[22:23]
	v_and_b32_e32 v1, 7, v17
	v_cmp_ne_u32_e32 vcc, 0, v1
	s_and_saveexec_b64 s[22:23], vcc
	s_cbranch_execz .LBB44_10
; %bb.8:
	v_sub_u32_e32 v1, 0, v1
	s_mov_b64 s[24:25], 0
	v_mov_b32_e32 v4, s19
.LBB44_9:                               ; =>This Inner Loop Header: Depth=1
	v_ashrrev_i32_e32 v9, 31, v2
	v_mov_b32_e32 v8, v2
	v_lshlrev_b64 v[8:9], 2, v[8:9]
	v_ashrrev_i32_e32 v7, 31, v3
	v_mov_b32_e32 v6, v3
	v_add_co_u32_e32 v8, vcc, s18, v8
	v_lshlrev_b64 v[6:7], 2, v[6:7]
	v_addc_co_u32_e32 v9, vcc, v4, v9, vcc
	v_add_co_u32_e32 v6, vcc, s18, v6
	v_addc_co_u32_e32 v7, vcc, v4, v7, vcc
	global_load_dword v5, v[6:7], off
	global_load_dword v10, v[8:9], off
	v_subrev_u32_e32 v7, s31, v2
	v_add_co_u32_e32 v1, vcc, 1, v1
	v_subrev_u32_e32 v6, s31, v3
	v_add_u32_e32 v3, 50, v3
	v_add_u32_e32 v2, 50, v2
	v_lshlrev_b32_e32 v7, 2, v7
	s_or_b64 s[24:25], vcc, s[24:25]
	v_lshlrev_b32_e32 v6, 2, v6
	s_waitcnt vmcnt(1)
	v_subrev_u32_e32 v5, s13, v5
	s_waitcnt vmcnt(0)
	v_subrev_u32_e32 v8, s13, v10
	ds_write_b32 v7, v8 offset:1216
	ds_write_b32 v6, v5 offset:1216
	s_andn2_b64 exec, exec, s[24:25]
	s_cbranch_execnz .LBB44_9
.LBB44_10:
	s_or_b64 exec, exec, s[22:23]
	v_add_u32_e32 v2, 1, v16
	v_and_b32_e32 v3, 0x3ffffffe, v2
	v_mad_u64_u32 v[0:1], s[22:23], v3, 25, v[0:1]
	v_cmp_ne_u32_e32 vcc, v2, v3
	s_orn2_b64 s[22:23], vcc, exec
.LBB44_11:
	s_or_b64 exec, exec, s[0:1]
	s_and_b64 exec, exec, s[22:23]
	s_cbranch_execz .LBB44_14
; %bb.12:
	v_add_u32_e32 v1, s13, v0
	v_subrev_u32_e32 v1, s26, v1
	v_mov_b32_e32 v2, 0x4c0
	v_lshl_add_u32 v4, v1, 2, v2
	v_ashrrev_i32_e32 v1, 31, v0
	v_lshlrev_b64 v[2:3], 2, v[0:1]
	v_mov_b32_e32 v1, s19
	v_add_co_u32_e32 v2, vcc, s18, v2
	v_addc_co_u32_e32 v3, vcc, v1, v3, vcc
	s_mov_b64 s[0:1], 0
.LBB44_13:                              ; =>This Inner Loop Header: Depth=1
	global_load_dword v1, v[2:3], off
	v_add_co_u32_e32 v2, vcc, 0x64, v2
	v_add_u32_e32 v0, 25, v0
	v_addc_co_u32_e32 v3, vcc, 0, v3, vcc
	v_cmp_lt_i32_e32 vcc, s30, v0
	s_or_b64 s[0:1], vcc, s[0:1]
	s_waitcnt vmcnt(0)
	v_subrev_u32_e32 v1, s13, v1
	ds_write_b32 v4, v1
	v_add_u32_e32 v4, 0x64, v4
	s_andn2_b64 exec, exec, s[0:1]
	s_cbranch_execnz .LBB44_13
.LBB44_14:
	s_or_b64 exec, exec, s[2:3]
	s_load_dword s33, s[4:5], 0x0
	v_lshlrev_b32_e32 v2, 3, v12
	v_mov_b32_e32 v0, 0
	v_mad_u32_u24 v16, v13, 48, v2
	v_mov_b32_e32 v1, v0
	v_add_u32_e32 v3, 0x2d0, v16
	ds_write_b64 v16, v[0:1] offset:720
	s_cmp_ge_i32 s31, s30
	v_mad_u32_u24 v1, v12, 5, v13
	s_waitcnt lgkmcnt(0)
	s_cbranch_scc1 .LBB44_60
; %bb.15:
	v_mov_b32_e32 v5, 0x1e0
	v_mov_b32_e32 v6, 0xf0
	s_cmp_eq_u32 s33, 0
	v_mad_u32_u24 v18, v13, 48, v5
	v_mad_u32_u24 v20, v13, 48, v6
	;; [unrolled: 1-line block ×3, first 2 shown]
	s_cselect_b64 vcc, -1, 0
	s_cmp_lg_u32 s33, 0
	v_add_u32_e32 v19, v18, v2
	v_add_u32_e32 v21, v20, v2
	v_or_b32_e32 v2, v12, v13
	s_cselect_b64 s[4:5], -1, 0
	v_mul_u32_u24_e32 v17, 5, v12
	v_cmp_ne_u32_e64 s[0:1], 0, v2
	v_mad_u32_u24 v22, v12, 48, v5
	v_cndmask_b32_e32 v2, v4, v14, vcc
	s_mov_b32 s22, s31
	s_branch .LBB44_19
.LBB44_16:                              ;   in Loop: Header=BB44_19 Depth=1
	s_or_b64 exec, exec, s[24:25]
	v_mov_b32_e32 v8, 1.0
	v_mov_b32_e32 v10, 0
.LBB44_17:                              ;   in Loop: Header=BB44_19 Depth=1
	s_or_b64 exec, exec, s[2:3]
	ds_read_b128 v[24:27], v0 offset:192
	ds_read_b64 v[40:41], v20 offset:32
	v_mul_f32_e32 v9, v10, v10
	ds_read_b128 v[28:31], v18
	v_fmac_f32_e32 v9, v8, v8
	v_div_scale_f32 v11, s[2:3], v9, v9, 1.0
	v_rcp_f32_e32 v23, v11
	ds_read_b128 v[32:35], v18 offset:16
	ds_read_b128 v[36:39], v0 offset:208
	s_waitcnt lgkmcnt(2)
	v_pk_fma_f32 v[40:41], v[24:25], v[28:29], v[40:41] op_sel_hi:[1,0,1]
	v_pk_fma_f32 v[24:25], v[24:25], v[28:29], v[40:41] op_sel:[0,1,1] op_sel_hi:[1,1,0] neg_lo:[0,1,0]
	v_mov_b32_e32 v28, v27
	v_mov_b32_e32 v29, v26
	v_fma_f32 v42, -v11, v23, 1.0
	v_pk_fma_f32 v[24:25], v[28:29], v[30:31], v[24:25] op_sel_hi:[1,0,1]
	v_mov_b32_e32 v28, v31
	v_fmac_f32_e32 v23, v42, v23
	v_div_scale_f32 v42, vcc, 1.0, v9, 1.0
	v_pk_fma_f32 v[24:25], v[26:27], v[28:29], v[24:25] op_sel_hi:[1,0,1] neg_lo:[0,1,0]
	v_mul_f32_e32 v43, v42, v23
	s_waitcnt lgkmcnt(0)
	v_pk_fma_f32 v[24:25], v[36:37], v[32:33], v[24:25] op_sel:[1,0,0] op_sel_hi:[0,0,1]
	v_fma_f32 v44, -v11, v43, v42
	v_pk_fma_f32 v[24:25], v[36:37], v[32:33], v[24:25] op_sel:[0,1,0] neg_lo:[0,1,0]
	v_mov_b32_e32 v26, v39
	v_mov_b32_e32 v27, v38
	v_fmac_f32_e32 v43, v44, v23
	v_pk_fma_f32 v[24:25], v[26:27], v[34:35], v[24:25] op_sel_hi:[1,0,1]
	v_mov_b32_e32 v26, v35
	v_fma_f32 v11, -v11, v43, v42
	v_pk_fma_f32 v[24:25], v[38:39], v[26:27], v[24:25] op_sel_hi:[1,0,1] neg_lo:[0,1,0]
	v_mov_b32_e32 v26, v7
	v_mov_b32_e32 v27, v6
	v_div_fmas_f32 v11, v11, v23, v43
	v_pk_add_f32 v[6:7], v[26:27], v[24:25] neg_lo:[0,1] neg_hi:[0,1]
	v_div_fixup_f32 v42, v11, v9, 1.0
	v_pk_mul_f32 v[10:11], v[10:11], v[6:7] op_sel:[0,1] op_sel_hi:[0,0] neg_lo:[0,1]
	v_pk_fma_f32 v[6:7], v[6:7], v[8:9], v[10:11] op_sel_hi:[1,0,1]
	v_pk_mul_f32 v[6:7], v[42:43], v[6:7] op_sel_hi:[0,1]
	v_mov_b32_e32 v8, v7
	v_mov_b32_e32 v9, v6
	ds_write_b64 v18, v[8:9] offset:32
	s_waitcnt lgkmcnt(0)
	ds_read_b64 v[8:9], v22 offset:32
	ds_read_b64 v[10:11], v3
	s_add_i32 s22, s22, 1
	s_cmp_ge_i32 s22, s30
	s_cselect_b64 s[26:27], -1, 0
	s_waitcnt lgkmcnt(0)
	v_pk_fma_f32 v[10:11], v[6:7], v[8:9], v[10:11] op_sel:[1,0,0] op_sel_hi:[0,0,1]
	v_pk_fma_f32 v[6:7], v[6:7], v[8:9], v[10:11] op_sel:[0,1,0] neg_hi:[0,1,0]
	ds_write_b64 v3, v[6:7]
	s_waitcnt lgkmcnt(0)
	ds_read_b64 v[6:7], v19
	s_waitcnt lgkmcnt(0)
	global_store_dwordx2 v[4:5], v[6:7], off
	s_waitcnt vmcnt(0)
	buffer_wbinvl1_vol
.LBB44_18:                              ;   in Loop: Header=BB44_19 Depth=1
	s_and_b64 vcc, exec, s[26:27]
	s_cbranch_vccnz .LBB44_60
.LBB44_19:                              ; =>This Loop Header: Depth=1
                                        ;     Child Loop BB44_22 Depth 2
                                        ;     Child Loop BB44_33 Depth 2
	;; [unrolled: 1-line block ×3, first 2 shown]
	s_ashr_i32 s23, s22, 31
	s_lshl_b64 s[2:3], s[22:23], 2
	s_add_u32 s2, s18, s2
	s_addc_u32 s3, s19, s3
	s_load_dword s23, s[2:3], 0x0
	s_waitcnt lgkmcnt(0)
	s_sub_i32 s24, s23, s13
	s_ashr_i32 s25, s24, 31
	s_lshl_b64 s[2:3], s[24:25], 2
	s_add_u32 s26, s8, s2
	s_addc_u32 s27, s9, s3
	s_load_dword s25, s[26:27], 0x0
	s_mov_b64 s[26:27], -1
	s_waitcnt lgkmcnt(0)
	s_cmp_eq_u32 s25, -1
	s_cbranch_scc1 .LBB44_18
; %bb.20:                               ;   in Loop: Header=BB44_19 Depth=1
	v_mad_u64_u32 v[4:5], s[26:27], s22, 25, v[2:3]
	v_ashrrev_i32_e32 v5, 31, v4
	v_lshlrev_b64 v[4:5], 3, v[4:5]
	v_mov_b32_e32 v6, s21
	v_add_co_u32_e32 v4, vcc, s20, v4
	v_addc_co_u32_e32 v5, vcc, v6, v5, vcc
	global_load_dwordx2 v[6:7], v[4:5], off
	s_add_u32 s26, s16, s2
	s_addc_u32 s27, s17, s3
	s_load_dword s26, s[26:27], 0x0
	ds_read_b32 v8, v0 offset:1216
	s_mov_b32 s27, 0
	s_waitcnt lgkmcnt(0)
	s_sub_i32 s26, s26, s13
	s_cmp_le_i32 s26, s25
	v_cmp_ge_i32_e32 vcc, s24, v8
	s_cselect_b64 s[28:29], -1, 0
	s_and_b64 s[28:29], s[28:29], vcc
	s_andn2_b64 vcc, exec, s[28:29]
	s_waitcnt vmcnt(0)
	ds_write_b64 v19, v[6:7]
	s_cbranch_vccnz .LBB44_32
; %bb.21:                               ;   in Loop: Header=BB44_19 Depth=1
	s_mov_b32 s34, 0
	s_mov_b32 s35, 0
.LBB44_22:                              ;   Parent Loop BB44_19 Depth=1
                                        ; =>  This Inner Loop Header: Depth=2
	s_ashr_i32 s27, s26, 31
	s_lshl_b64 s[28:29], s[26:27], 2
	s_add_u32 s28, s18, s28
	s_addc_u32 s29, s19, s29
	s_load_dword s27, s[28:29], 0x0
	s_lshl_b32 s28, s35, 2
	v_mov_b32_e32 v6, s28
	ds_read_b32 v6, v6 offset:1216
	s_mov_b64 s[28:29], -1
	s_waitcnt lgkmcnt(0)
	s_sub_i32 s39, s27, s13
                                        ; implicit-def: $sgpr27
                                        ; implicit-def: $sgpr38
                                        ; implicit-def: $sgpr37
	v_cmp_ge_i32_e32 vcc, s39, v6
	v_readfirstlane_b32 s36, v6
	s_cbranch_vccz .LBB44_28
; %bb.23:                               ;   in Loop: Header=BB44_22 Depth=2
	s_cmp_le_i32 s39, s36
                                        ; implicit-def: $sgpr27
                                        ; implicit-def: $sgpr38
                                        ; implicit-def: $sgpr37
	s_cbranch_scc0 .LBB44_25
; %bb.24:                               ;   in Loop: Header=BB44_22 Depth=2
	s_add_i32 s27, s35, s31
	s_mul_i32 s27, s27, 25
	s_lshl_b32 s28, s34, 2
	v_mov_b32_e32 v6, s28
	v_mov_b32_e32 v7, s27
	s_mul_i32 s27, s26, 25
	v_mov_b32_e32 v8, s27
	v_add_u32_e32 v6, 0x200, v6
	ds_write2_b32 v6, v8, v7 offset0:112 offset1:144
	s_add_i32 s37, s35, 1
	s_add_i32 s38, s26, 1
	;; [unrolled: 1-line block ×3, first 2 shown]
	s_mov_b64 s[28:29], 0
.LBB44_25:                              ;   in Loop: Header=BB44_22 Depth=2
	s_andn2_b64 vcc, exec, s[28:29]
	s_cbranch_vccnz .LBB44_27
; %bb.26:                               ;   in Loop: Header=BB44_22 Depth=2
	s_add_i32 s37, s35, 1
	s_mov_b32 s27, s34
	s_mov_b32 s38, s26
.LBB44_27:                              ;   in Loop: Header=BB44_22 Depth=2
	s_mov_b64 s[28:29], 0
.LBB44_28:                              ;   in Loop: Header=BB44_22 Depth=2
	s_andn2_b64 vcc, exec, s[28:29]
	s_cbranch_vccnz .LBB44_30
; %bb.29:                               ;   in Loop: Header=BB44_22 Depth=2
	s_add_i32 s38, s26, 1
	s_mov_b32 s37, s35
	s_mov_b32 s27, s34
.LBB44_30:                              ;   in Loop: Header=BB44_22 Depth=2
	s_cmp_le_i32 s38, s25
	s_cselect_b64 s[28:29], -1, 0
	s_cmp_le_i32 s36, s24
	s_cselect_b64 s[34:35], -1, 0
	s_and_b64 s[28:29], s[28:29], s[34:35]
	s_and_b64 vcc, exec, s[28:29]
	s_cbranch_vccz .LBB44_32
; %bb.31:                               ;   in Loop: Header=BB44_22 Depth=2
	s_mov_b32 s34, s27
	s_mov_b32 s26, s38
	;; [unrolled: 1-line block ×3, first 2 shown]
	s_branch .LBB44_22
.LBB44_32:                              ;   in Loop: Header=BB44_19 Depth=1
	s_add_u32 s2, s10, s2
	s_addc_u32 s3, s11, s3
	s_waitcnt lgkmcnt(0)
.LBB44_33:                              ;   Parent Loop BB44_19 Depth=1
                                        ; =>  This Inner Loop Header: Depth=2
	global_load_dword v6, v0, s[2:3] glc
	s_waitcnt vmcnt(0)
	v_cmp_eq_u32_e32 vcc, 0, v6
	s_cbranch_vccnz .LBB44_33
; %bb.34:                               ;   in Loop: Header=BB44_19 Depth=1
	v_mad_u64_u32 v[6:7], s[2:3], s25, 25, v[2:3]
	v_ashrrev_i32_e32 v7, 31, v6
	v_lshlrev_b64 v[6:7], 3, v[6:7]
	v_mov_b32_e32 v8, s21
	v_add_co_u32_e32 v6, vcc, s20, v6
	v_addc_co_u32_e32 v7, vcc, v8, v7, vcc
	buffer_wbinvl1_vol
	global_load_dwordx2 v[6:7], v[6:7], off
	v_mov_b32_e32 v11, 0
	s_cmp_lt_i32 s27, 2
	v_mov_b32_e32 v10, v11
	s_waitcnt vmcnt(0)
	ds_write_b64 v16, v[6:7]
	s_waitcnt lgkmcnt(0)
	s_cbranch_scc1 .LBB44_41
; %bb.35:                               ;   in Loop: Header=BB44_19 Depth=1
	v_mov_b32_e32 v10, 0
	s_add_i32 s24, s27, -1
	s_movk_i32 s25, 0x3c0
	v_mov_b32_e32 v11, v10
	s_branch .LBB44_37
.LBB44_36:                              ;   in Loop: Header=BB44_37 Depth=2
	s_add_i32 s24, s24, -1
	s_add_i32 s25, s25, 4
	s_cmp_eq_u32 s24, 0
	s_cbranch_scc1 .LBB44_41
.LBB44_37:                              ;   Parent Loop BB44_19 Depth=1
                                        ; =>  This Inner Loop Header: Depth=2
	v_mov_b32_e32 v7, s25
	s_waitcnt lgkmcnt(0)
	ds_read2_b32 v[8:9], v7 offset1:32
	v_mov_b32_e32 v6, v10
	v_mov_b32_e32 v7, v11
	s_and_b64 vcc, exec, s[4:5]
	s_cbranch_vccz .LBB44_39
; %bb.38:                               ;   in Loop: Header=BB44_37 Depth=2
	s_waitcnt lgkmcnt(0)
	v_add_u32_e32 v10, v8, v12
	v_ashrrev_i32_e32 v11, 31, v10
	v_lshlrev_b64 v[24:25], 3, v[10:11]
	v_add_u32_e32 v26, v9, v13
	v_mov_b32_e32 v23, s21
	v_add_co_u32_e32 v24, vcc, s20, v24
	v_ashrrev_i32_e32 v27, 31, v26
	v_addc_co_u32_e32 v25, vcc, v23, v25, vcc
	v_lshlrev_b64 v[28:29], 3, v[26:27]
	v_add_u32_e32 v30, 5, v10
	v_add_co_u32_e32 v28, vcc, s20, v28
	v_ashrrev_i32_e32 v31, 31, v30
	v_addc_co_u32_e32 v29, vcc, v23, v29, vcc
	v_lshlrev_b64 v[30:31], 3, v[30:31]
	v_add_u32_e32 v32, 5, v26
	v_add_co_u32_e32 v30, vcc, s20, v30
	v_ashrrev_i32_e32 v33, 31, v32
	v_addc_co_u32_e32 v31, vcc, v23, v31, vcc
	v_lshlrev_b64 v[32:33], 3, v[32:33]
	v_add_co_u32_e32 v32, vcc, s20, v32
	v_addc_co_u32_e32 v33, vcc, v23, v33, vcc
	global_load_dwordx2 v[34:35], v[32:33], off
	global_load_dwordx2 v[36:37], v[30:31], off
	global_load_dwordx2 v[38:39], v[28:29], off
	global_load_dwordx2 v[40:41], v[24:25], off
	v_add_u32_e32 v24, 10, v10
	v_ashrrev_i32_e32 v25, 31, v24
	v_lshlrev_b64 v[24:25], 3, v[24:25]
	v_add_u32_e32 v28, 10, v26
	v_add_co_u32_e32 v24, vcc, s20, v24
	v_ashrrev_i32_e32 v29, 31, v28
	v_addc_co_u32_e32 v25, vcc, v23, v25, vcc
	v_lshlrev_b64 v[28:29], 3, v[28:29]
	v_add_u32_e32 v30, 15, v10
	v_add_co_u32_e32 v28, vcc, s20, v28
	v_ashrrev_i32_e32 v31, 31, v30
	v_addc_co_u32_e32 v29, vcc, v23, v29, vcc
	;; [unrolled: 5-line block ×4, first 2 shown]
	v_lshlrev_b64 v[10:11], 3, v[10:11]
	v_add_u32_e32 v26, 20, v26
	v_add_co_u32_e32 v10, vcc, s20, v10
	v_ashrrev_i32_e32 v27, 31, v26
	global_load_dwordx2 v[42:43], v[32:33], off
	global_load_dwordx2 v[44:45], v[30:31], off
	;; [unrolled: 1-line block ×4, first 2 shown]
	v_addc_co_u32_e32 v11, vcc, v23, v11, vcc
	v_lshlrev_b64 v[26:27], 3, v[26:27]
	v_add_co_u32_e32 v24, vcc, s20, v26
	v_addc_co_u32_e32 v25, vcc, v23, v27, vcc
	global_load_dwordx2 v[26:27], v[24:25], off
	global_load_dwordx2 v[28:29], v[10:11], off
	s_waitcnt vmcnt(6)
	v_pk_fma_f32 v[10:11], v[40:41], v[38:39], v[6:7] op_sel_hi:[1,0,1]
	v_pk_fma_f32 v[10:11], v[40:41], v[38:39], v[10:11] op_sel:[1,1,0] op_sel_hi:[0,1,1] neg_hi:[0,1,0]
	v_pk_fma_f32 v[10:11], v[36:37], v[34:35], v[10:11] op_sel_hi:[1,0,1]
	v_pk_fma_f32 v[10:11], v[36:37], v[34:35], v[10:11] op_sel:[1,1,0] op_sel_hi:[0,1,1] neg_hi:[0,1,0]
	s_waitcnt vmcnt(2)
	v_pk_fma_f32 v[10:11], v[48:49], v[46:47], v[10:11] op_sel_hi:[1,0,1]
	v_pk_fma_f32 v[10:11], v[48:49], v[46:47], v[10:11] op_sel:[1,1,0] op_sel_hi:[0,1,1] neg_hi:[0,1,0]
	v_pk_fma_f32 v[10:11], v[44:45], v[42:43], v[10:11] op_sel_hi:[1,0,1]
	v_pk_fma_f32 v[10:11], v[44:45], v[42:43], v[10:11] op_sel:[1,1,0] op_sel_hi:[0,1,1] neg_hi:[0,1,0]
	s_waitcnt vmcnt(0)
	v_pk_fma_f32 v[10:11], v[28:29], v[26:27], v[10:11] op_sel_hi:[1,0,1]
	v_pk_fma_f32 v[10:11], v[28:29], v[26:27], v[10:11] op_sel:[1,1,0] op_sel_hi:[0,1,1] neg_hi:[0,1,0]
	s_cbranch_execnz .LBB44_36
	s_branch .LBB44_40
.LBB44_39:                              ;   in Loop: Header=BB44_37 Depth=2
                                        ; implicit-def: $vgpr11
.LBB44_40:                              ;   in Loop: Header=BB44_37 Depth=2
	s_waitcnt lgkmcnt(0)
	v_add_u32_e32 v10, v8, v17
	v_ashrrev_i32_e32 v11, 31, v10
	v_lshlrev_b64 v[10:11], 3, v[10:11]
	v_add_u32_e32 v8, v9, v15
	v_mov_b32_e32 v23, s21
	v_add_co_u32_e32 v36, vcc, s20, v10
	v_ashrrev_i32_e32 v9, 31, v8
	v_addc_co_u32_e32 v37, vcc, v23, v11, vcc
	v_lshlrev_b64 v[8:9], 3, v[8:9]
	v_add_co_u32_e32 v38, vcc, s20, v8
	v_addc_co_u32_e32 v39, vcc, v23, v9, vcc
	global_load_dwordx4 v[8:11], v[38:39], off
	global_load_dwordx4 v[24:27], v[36:37], off
	global_load_dwordx4 v[28:31], v[36:37], off offset:16
	global_load_dwordx4 v[32:35], v[38:39], off offset:16
	global_load_dwordx2 v[40:41], v[38:39], off offset:32
	global_load_dwordx2 v[42:43], v[36:37], off offset:32
	s_waitcnt vmcnt(5)
	v_mov_b32_e32 v38, v11
	s_waitcnt vmcnt(4)
	v_pk_fma_f32 v[6:7], v[24:25], v[8:9], v[6:7] op_sel_hi:[1,0,1]
	v_pk_fma_f32 v[6:7], v[24:25], v[8:9], v[6:7] op_sel:[1,1,0] op_sel_hi:[0,1,1] neg_hi:[0,1,0]
	v_mov_b32_e32 v36, v27
	v_mov_b32_e32 v37, v26
	v_pk_fma_f32 v[6:7], v[26:27], v[10:11], v[6:7] op_sel_hi:[1,0,1]
	v_pk_fma_f32 v[6:7], v[36:37], v[38:39], v[6:7] op_sel_hi:[1,0,1] neg_hi:[0,1,0]
	s_waitcnt vmcnt(2)
	v_pk_fma_f32 v[6:7], v[28:29], v[32:33], v[6:7] op_sel_hi:[1,0,1]
	v_pk_fma_f32 v[6:7], v[28:29], v[32:33], v[6:7] op_sel:[1,1,0] op_sel_hi:[0,1,1] neg_hi:[0,1,0]
	v_mov_b32_e32 v44, v31
	v_mov_b32_e32 v45, v30
	v_pk_fma_f32 v[6:7], v[30:31], v[34:35], v[6:7] op_sel_hi:[1,0,1]
	v_mov_b32_e32 v8, v35
	v_pk_fma_f32 v[6:7], v[44:45], v[8:9], v[6:7] op_sel_hi:[1,0,1] neg_hi:[0,1,0]
	s_waitcnt vmcnt(0)
	v_pk_fma_f32 v[6:7], v[42:43], v[40:41], v[6:7] op_sel_hi:[1,0,1]
	v_pk_fma_f32 v[10:11], v[42:43], v[40:41], v[6:7] op_sel:[1,1,0] op_sel_hi:[0,1,1] neg_hi:[0,1,0]
	s_branch .LBB44_36
.LBB44_41:                              ;   in Loop: Header=BB44_19 Depth=1
	ds_write_b64 v21, v[10:11]
	s_waitcnt lgkmcnt(0)
	ds_read_b64 v[8:9], v0
	ds_read_b64 v[6:7], v18
	s_waitcnt lgkmcnt(1)
	v_cmp_neq_f32_e32 vcc, 0, v8
	v_cmp_neq_f32_e64 s[2:3], 0, v9
	s_or_b64 vcc, vcc, s[2:3]
	s_or_b64 s[2:3], vcc, s[0:1]
	v_cndmask_b32_e32 v8, 1.0, v8, vcc
	s_xor_b64 s[24:25], s[2:3], -1
	v_cndmask_b32_e32 v10, 0, v9, vcc
	s_and_saveexec_b64 s[2:3], s[24:25]
	s_cbranch_execz .LBB44_45
; %bb.42:                               ;   in Loop: Header=BB44_19 Depth=1
	v_mbcnt_lo_u32_b32 v8, exec_lo, 0
	v_mbcnt_hi_u32_b32 v8, exec_hi, v8
	v_cmp_eq_u32_e32 vcc, 0, v8
	s_and_saveexec_b64 s[24:25], vcc
	s_cbranch_execz .LBB44_44
; %bb.43:                               ;   in Loop: Header=BB44_19 Depth=1
	v_mov_b32_e32 v8, s23
	global_atomic_smin v0, v8, s[14:15]
.LBB44_44:                              ;   in Loop: Header=BB44_19 Depth=1
	s_or_b64 exec, exec, s[24:25]
	v_mov_b32_e32 v8, 1.0
	v_mov_b32_e32 v10, 0
.LBB44_45:                              ;   in Loop: Header=BB44_19 Depth=1
	s_or_b64 exec, exec, s[2:3]
	v_mul_f32_e32 v9, v10, v10
	v_fmac_f32_e32 v9, v8, v8
	v_div_scale_f32 v11, s[2:3], v9, v9, 1.0
	v_rcp_f32_e32 v23, v11
	v_div_scale_f32 v24, vcc, 1.0, v9, 1.0
	s_waitcnt lgkmcnt(0)
	v_mov_b32_e32 v28, v7
	v_fma_f32 v25, -v11, v23, 1.0
	v_fmac_f32_e32 v23, v25, v23
	v_mul_f32_e32 v26, v24, v23
	v_fma_f32 v25, -v11, v26, v24
	v_fmac_f32_e32 v26, v25, v23
	v_fma_f32 v11, -v11, v26, v24
	ds_read_b64 v[24:25], v20
	v_mov_b32_e32 v29, v6
	v_div_fmas_f32 v11, v11, v23, v26
	v_div_fixup_f32 v26, v11, v9, 1.0
	s_waitcnt lgkmcnt(0)
	v_pk_add_f32 v[6:7], v[28:29], v[24:25] op_sel:[0,1] op_sel_hi:[1,0] neg_lo:[0,1] neg_hi:[0,1]
	v_pk_mul_f32 v[10:11], v[10:11], v[6:7] op_sel:[0,1] op_sel_hi:[0,0] neg_lo:[0,1]
	v_pk_fma_f32 v[6:7], v[6:7], v[8:9], v[10:11] op_sel_hi:[1,0,1]
	v_pk_mul_f32 v[6:7], v[26:27], v[6:7] op_sel_hi:[0,1]
	v_mov_b32_e32 v8, v7
	v_mov_b32_e32 v9, v6
	ds_write_b64 v18, v[8:9]
	s_waitcnt lgkmcnt(0)
	ds_read_b64 v[8:9], v22
	ds_read_b64 v[10:11], v3
	s_waitcnt lgkmcnt(0)
	v_pk_fma_f32 v[10:11], v[6:7], v[8:9], v[10:11] op_sel:[1,0,0] op_sel_hi:[0,0,1]
	v_pk_fma_f32 v[6:7], v[6:7], v[8:9], v[10:11] op_sel:[0,1,0] neg_hi:[0,1,0]
	ds_write_b64 v3, v[6:7]
	s_waitcnt lgkmcnt(0)
	ds_read_b64 v[8:9], v0 offset:56
	ds_read_b64 v[6:7], v18 offset:8
	s_waitcnt lgkmcnt(1)
	v_cmp_neq_f32_e32 vcc, 0, v8
	v_cmp_neq_f32_e64 s[2:3], 0, v9
	s_or_b64 vcc, vcc, s[2:3]
	s_or_b64 s[2:3], vcc, s[0:1]
	v_cndmask_b32_e32 v8, 1.0, v8, vcc
	s_xor_b64 s[24:25], s[2:3], -1
	v_cndmask_b32_e32 v10, 0, v9, vcc
	s_and_saveexec_b64 s[2:3], s[24:25]
	s_cbranch_execz .LBB44_49
; %bb.46:                               ;   in Loop: Header=BB44_19 Depth=1
	v_mbcnt_lo_u32_b32 v8, exec_lo, 0
	v_mbcnt_hi_u32_b32 v8, exec_hi, v8
	v_cmp_eq_u32_e32 vcc, 0, v8
	s_and_saveexec_b64 s[24:25], vcc
	s_cbranch_execz .LBB44_48
; %bb.47:                               ;   in Loop: Header=BB44_19 Depth=1
	v_mov_b32_e32 v8, s23
	global_atomic_smin v0, v8, s[14:15]
.LBB44_48:                              ;   in Loop: Header=BB44_19 Depth=1
	s_or_b64 exec, exec, s[24:25]
	v_mov_b32_e32 v8, 1.0
	v_mov_b32_e32 v10, 0
.LBB44_49:                              ;   in Loop: Header=BB44_19 Depth=1
	s_or_b64 exec, exec, s[2:3]
	v_mul_f32_e32 v9, v10, v10
	v_fmac_f32_e32 v9, v8, v8
	v_div_scale_f32 v11, s[2:3], v9, v9, 1.0
	v_rcp_f32_e32 v23, v11
	v_div_scale_f32 v30, vcc, 1.0, v9, 1.0
	ds_read_b64 v[24:25], v18
	v_fma_f32 v26, -v11, v23, 1.0
	v_fmac_f32_e32 v23, v26, v23
	v_mul_f32_e32 v31, v30, v23
	v_fma_f32 v26, -v11, v31, v30
	v_fmac_f32_e32 v31, v26, v23
	ds_read_b64 v[26:27], v0 offset:48
	ds_read_b64 v[28:29], v20 offset:8
	v_fma_f32 v11, -v11, v31, v30
	v_div_fmas_f32 v11, v11, v23, v31
	v_div_fixup_f32 v30, v11, v9, 1.0
	s_waitcnt lgkmcnt(0)
	v_pk_fma_f32 v[28:29], v[26:27], v[24:25], v[28:29] op_sel_hi:[1,0,1]
	v_pk_fma_f32 v[24:25], v[26:27], v[24:25], v[28:29] op_sel:[0,1,1] op_sel_hi:[1,1,0] neg_lo:[0,1,0]
	v_mov_b32_e32 v26, v7
	v_mov_b32_e32 v27, v6
	v_pk_add_f32 v[6:7], v[26:27], v[24:25] neg_lo:[0,1] neg_hi:[0,1]
	v_pk_mul_f32 v[10:11], v[10:11], v[6:7] op_sel:[0,1] op_sel_hi:[0,0] neg_lo:[0,1]
	v_pk_fma_f32 v[6:7], v[6:7], v[8:9], v[10:11] op_sel_hi:[1,0,1]
	v_pk_mul_f32 v[6:7], v[30:31], v[6:7] op_sel_hi:[0,1]
	v_mov_b32_e32 v8, v7
	v_mov_b32_e32 v9, v6
	ds_write_b64 v18, v[8:9] offset:8
	s_waitcnt lgkmcnt(0)
	ds_read_b64 v[8:9], v22 offset:8
	ds_read_b64 v[10:11], v3
	s_waitcnt lgkmcnt(0)
	v_pk_fma_f32 v[10:11], v[6:7], v[8:9], v[10:11] op_sel:[1,0,0] op_sel_hi:[0,0,1]
	v_pk_fma_f32 v[6:7], v[6:7], v[8:9], v[10:11] op_sel:[0,1,0] neg_hi:[0,1,0]
	ds_write_b64 v3, v[6:7]
	s_waitcnt lgkmcnt(0)
	ds_read_b64 v[8:9], v0 offset:112
	ds_read_b64 v[6:7], v18 offset:16
	s_waitcnt lgkmcnt(1)
	v_cmp_neq_f32_e32 vcc, 0, v8
	v_cmp_neq_f32_e64 s[2:3], 0, v9
	s_or_b64 vcc, vcc, s[2:3]
	s_or_b64 s[2:3], vcc, s[0:1]
	v_cndmask_b32_e32 v8, 1.0, v8, vcc
	s_xor_b64 s[24:25], s[2:3], -1
	v_cndmask_b32_e32 v10, 0, v9, vcc
	s_and_saveexec_b64 s[2:3], s[24:25]
	s_cbranch_execz .LBB44_53
; %bb.50:                               ;   in Loop: Header=BB44_19 Depth=1
	v_mbcnt_lo_u32_b32 v8, exec_lo, 0
	v_mbcnt_hi_u32_b32 v8, exec_hi, v8
	v_cmp_eq_u32_e32 vcc, 0, v8
	s_and_saveexec_b64 s[24:25], vcc
	s_cbranch_execz .LBB44_52
; %bb.51:                               ;   in Loop: Header=BB44_19 Depth=1
	v_mov_b32_e32 v8, s23
	global_atomic_smin v0, v8, s[14:15]
.LBB44_52:                              ;   in Loop: Header=BB44_19 Depth=1
	s_or_b64 exec, exec, s[24:25]
	v_mov_b32_e32 v8, 1.0
	v_mov_b32_e32 v10, 0
.LBB44_53:                              ;   in Loop: Header=BB44_19 Depth=1
	s_or_b64 exec, exec, s[2:3]
	v_mul_f32_e32 v9, v10, v10
	v_fmac_f32_e32 v9, v8, v8
	v_div_scale_f32 v11, s[2:3], v9, v9, 1.0
	v_rcp_f32_e32 v23, v11
	v_div_scale_f32 v34, vcc, 1.0, v9, 1.0
	v_fma_f32 v24, -v11, v23, 1.0
	v_fmac_f32_e32 v23, v24, v23
	v_mul_f32_e32 v35, v34, v23
	v_fma_f32 v24, -v11, v35, v34
	v_fmac_f32_e32 v35, v24, v23
	ds_read_b128 v[24:27], v0 offset:96
	ds_read_b128 v[28:31], v18
	ds_read_b64 v[32:33], v20 offset:16
	v_fma_f32 v11, -v11, v35, v34
	v_div_fmas_f32 v11, v11, v23, v35
	v_div_fixup_f32 v34, v11, v9, 1.0
	s_waitcnt lgkmcnt(0)
	v_pk_fma_f32 v[32:33], v[24:25], v[28:29], v[32:33] op_sel_hi:[1,0,1]
	v_pk_fma_f32 v[24:25], v[24:25], v[28:29], v[32:33] op_sel:[0,1,1] op_sel_hi:[1,1,0] neg_lo:[0,1,0]
	v_mov_b32_e32 v28, v27
	v_mov_b32_e32 v29, v26
	v_pk_fma_f32 v[24:25], v[28:29], v[30:31], v[24:25] op_sel_hi:[1,0,1]
	v_mov_b32_e32 v28, v31
	v_pk_fma_f32 v[24:25], v[26:27], v[28:29], v[24:25] op_sel_hi:[1,0,1] neg_lo:[0,1,0]
	v_mov_b32_e32 v26, v7
	v_mov_b32_e32 v27, v6
	v_pk_add_f32 v[6:7], v[26:27], v[24:25] neg_lo:[0,1] neg_hi:[0,1]
	v_pk_mul_f32 v[10:11], v[10:11], v[6:7] op_sel:[0,1] op_sel_hi:[0,0] neg_lo:[0,1]
	v_pk_fma_f32 v[6:7], v[6:7], v[8:9], v[10:11] op_sel_hi:[1,0,1]
	v_pk_mul_f32 v[6:7], v[34:35], v[6:7] op_sel_hi:[0,1]
	v_mov_b32_e32 v8, v7
	v_mov_b32_e32 v9, v6
	ds_write_b64 v18, v[8:9] offset:16
	s_waitcnt lgkmcnt(0)
	ds_read_b64 v[8:9], v22 offset:16
	ds_read_b64 v[10:11], v3
	s_waitcnt lgkmcnt(0)
	v_pk_fma_f32 v[10:11], v[6:7], v[8:9], v[10:11] op_sel:[1,0,0] op_sel_hi:[0,0,1]
	v_pk_fma_f32 v[6:7], v[6:7], v[8:9], v[10:11] op_sel:[0,1,0] neg_hi:[0,1,0]
	ds_write_b64 v3, v[6:7]
	s_waitcnt lgkmcnt(0)
	ds_read_b64 v[8:9], v0 offset:168
	ds_read_b64 v[6:7], v18 offset:24
	s_waitcnt lgkmcnt(1)
	v_cmp_neq_f32_e32 vcc, 0, v8
	v_cmp_neq_f32_e64 s[2:3], 0, v9
	s_or_b64 vcc, vcc, s[2:3]
	s_or_b64 s[2:3], vcc, s[0:1]
	v_cndmask_b32_e32 v8, 1.0, v8, vcc
	s_xor_b64 s[24:25], s[2:3], -1
	v_cndmask_b32_e32 v10, 0, v9, vcc
	s_and_saveexec_b64 s[2:3], s[24:25]
	s_cbranch_execz .LBB44_57
; %bb.54:                               ;   in Loop: Header=BB44_19 Depth=1
	v_mbcnt_lo_u32_b32 v8, exec_lo, 0
	v_mbcnt_hi_u32_b32 v8, exec_hi, v8
	v_cmp_eq_u32_e32 vcc, 0, v8
	s_and_saveexec_b64 s[24:25], vcc
	s_cbranch_execz .LBB44_56
; %bb.55:                               ;   in Loop: Header=BB44_19 Depth=1
	v_mov_b32_e32 v8, s23
	global_atomic_smin v0, v8, s[14:15]
.LBB44_56:                              ;   in Loop: Header=BB44_19 Depth=1
	s_or_b64 exec, exec, s[24:25]
	v_mov_b32_e32 v8, 1.0
	v_mov_b32_e32 v10, 0
.LBB44_57:                              ;   in Loop: Header=BB44_19 Depth=1
	s_or_b64 exec, exec, s[2:3]
	v_mul_f32_e32 v9, v10, v10
	v_fmac_f32_e32 v9, v8, v8
	v_div_scale_f32 v11, s[2:3], v9, v9, 1.0
	v_rcp_f32_e32 v23, v11
	ds_read_b128 v[24:27], v18
	ds_read_b64 v[32:33], v18 offset:16
	v_fma_f32 v28, -v11, v23, 1.0
	v_fmac_f32_e32 v23, v28, v23
	v_div_scale_f32 v28, vcc, 1.0, v9, 1.0
	v_mul_f32_e32 v36, v28, v23
	v_fma_f32 v29, -v11, v36, v28
	v_fmac_f32_e32 v36, v29, v23
	v_fma_f32 v11, -v11, v36, v28
	ds_read_b128 v[28:31], v0 offset:144
	ds_read_b64 v[34:35], v20 offset:24
	ds_read_b64 v[38:39], v0 offset:160
	v_div_fmas_f32 v11, v11, v23, v36
	v_div_fixup_f32 v36, v11, v9, 1.0
	s_waitcnt lgkmcnt(1)
	v_pk_fma_f32 v[34:35], v[28:29], v[24:25], v[34:35] op_sel_hi:[1,0,1]
	v_pk_fma_f32 v[24:25], v[28:29], v[24:25], v[34:35] op_sel:[0,1,1] op_sel_hi:[1,1,0] neg_lo:[0,1,0]
	v_mov_b32_e32 v28, v31
	v_mov_b32_e32 v29, v30
	v_pk_fma_f32 v[24:25], v[28:29], v[26:27], v[24:25] op_sel_hi:[1,0,1]
	v_mov_b32_e32 v26, v27
	v_pk_fma_f32 v[24:25], v[30:31], v[26:27], v[24:25] op_sel_hi:[1,0,1] neg_lo:[0,1,0]
	s_waitcnt lgkmcnt(0)
	v_pk_fma_f32 v[24:25], v[38:39], v[32:33], v[24:25] op_sel:[1,0,0] op_sel_hi:[0,0,1]
	v_pk_fma_f32 v[24:25], v[38:39], v[32:33], v[24:25] op_sel:[0,1,0] neg_lo:[0,1,0]
	v_mov_b32_e32 v26, v7
	v_mov_b32_e32 v27, v6
	v_pk_add_f32 v[6:7], v[26:27], v[24:25] neg_lo:[0,1] neg_hi:[0,1]
	v_pk_mul_f32 v[10:11], v[10:11], v[6:7] op_sel:[0,1] op_sel_hi:[0,0] neg_lo:[0,1]
	v_pk_fma_f32 v[6:7], v[6:7], v[8:9], v[10:11] op_sel_hi:[1,0,1]
	v_pk_mul_f32 v[6:7], v[36:37], v[6:7] op_sel_hi:[0,1]
	v_mov_b32_e32 v8, v7
	v_mov_b32_e32 v9, v6
	ds_write_b64 v18, v[8:9] offset:24
	s_waitcnt lgkmcnt(0)
	ds_read_b64 v[8:9], v22 offset:24
	ds_read_b64 v[10:11], v3
	s_waitcnt lgkmcnt(0)
	v_pk_fma_f32 v[10:11], v[6:7], v[8:9], v[10:11] op_sel:[1,0,0] op_sel_hi:[0,0,1]
	v_pk_fma_f32 v[6:7], v[6:7], v[8:9], v[10:11] op_sel:[0,1,0] neg_hi:[0,1,0]
	ds_write_b64 v3, v[6:7]
	s_waitcnt lgkmcnt(0)
	ds_read_b64 v[8:9], v0 offset:224
	ds_read_b64 v[6:7], v18 offset:32
	s_waitcnt lgkmcnt(1)
	v_cmp_neq_f32_e32 vcc, 0, v8
	v_cmp_neq_f32_e64 s[2:3], 0, v9
	s_or_b64 vcc, vcc, s[2:3]
	s_or_b64 s[2:3], vcc, s[0:1]
	v_cndmask_b32_e32 v8, 1.0, v8, vcc
	s_xor_b64 s[24:25], s[2:3], -1
	v_cndmask_b32_e32 v10, 0, v9, vcc
	s_and_saveexec_b64 s[2:3], s[24:25]
	s_cbranch_execz .LBB44_17
; %bb.58:                               ;   in Loop: Header=BB44_19 Depth=1
	v_mbcnt_lo_u32_b32 v8, exec_lo, 0
	v_mbcnt_hi_u32_b32 v8, exec_hi, v8
	v_cmp_eq_u32_e32 vcc, 0, v8
	s_and_saveexec_b64 s[24:25], vcc
	s_cbranch_execz .LBB44_16
; %bb.59:                               ;   in Loop: Header=BB44_19 Depth=1
	v_mov_b32_e32 v8, s23
	global_atomic_smin v0, v8, s[14:15]
	s_branch .LBB44_16
.LBB44_60:
	s_cmp_lg_u32 s33, 0
	s_cselect_b64 s[8:9], -1, 0
	s_cmp_eq_u32 s33, 0
	v_mov_b32_e32 v0, v14
	s_cbranch_scc1 .LBB44_62
; %bb.61:
	v_mad_u32_u24 v0, v12, 5, v13
.LBB44_62:
	s_mul_i32 s30, s30, 25
	v_add_u32_e32 v4, s30, v0
	v_ashrrev_i32_e32 v5, 31, v4
	v_lshlrev_b64 v[4:5], 3, v[4:5]
	v_mov_b32_e32 v0, s21
	v_add_co_u32_e32 v4, vcc, s20, v4
	v_addc_co_u32_e32 v5, vcc, v0, v5, vcc
	global_load_dwordx2 v[4:5], v[4:5], off
	v_cmp_ne_u32_e64 s[2:3], 0, v13
	v_cmp_eq_u32_e32 vcc, 0, v13
	s_waitcnt vmcnt(0)
	ds_write_b64 v16, v[4:5] offset:480
	s_waitcnt lgkmcnt(0)
	s_and_saveexec_b64 s[4:5], vcc
	s_cbranch_execz .LBB44_71
; %bb.63:
	v_mov_b32_e32 v4, 0
	ds_read2_b64 v[6:9], v4 offset0:60 offset1:90
	s_waitcnt lgkmcnt(0)
	v_sub_f32_e32 v0, v6, v8
	v_sub_f32_e32 v5, v7, v9
	v_cmp_gt_f32_e32 vcc, 0, v0
	v_cndmask_b32_e64 v0, v0, -v0, vcc
	v_cmp_gt_f32_e32 vcc, 0, v5
	v_cndmask_b32_e64 v2, v5, -v5, vcc
	v_cmp_ngt_f32_e32 vcc, v0, v2
	s_cbranch_vccz .LBB44_68
; %bb.64:
	v_cmp_eq_f32_e32 vcc, 0, v5
	s_cbranch_vccnz .LBB44_66
; %bb.65:
	v_div_scale_f32 v4, s[0:1], v2, v2, v0
	v_rcp_f32_e32 v5, v4
	v_div_scale_f32 v6, vcc, v0, v2, v0
	s_mov_b32 s0, 0xf800000
	v_fma_f32 v7, -v4, v5, 1.0
	v_fmac_f32_e32 v5, v7, v5
	v_mul_f32_e32 v7, v6, v5
	v_fma_f32 v8, -v4, v7, v6
	v_fmac_f32_e32 v7, v8, v5
	v_fma_f32 v4, -v4, v7, v6
	v_div_fmas_f32 v4, v4, v5, v7
	v_div_fixup_f32 v4, v4, v2, v0
	v_fma_f32 v4, v4, v4, 1.0
	v_mul_f32_e32 v5, 0x4f800000, v4
	v_cmp_gt_f32_e32 vcc, s0, v4
	v_cndmask_b32_e32 v4, v4, v5, vcc
	v_sqrt_f32_e32 v5, v4
	v_add_u32_e32 v6, -1, v5
	v_fma_f32 v7, -v6, v5, v4
	v_cmp_ge_f32_e64 s[0:1], 0, v7
	v_add_u32_e32 v7, 1, v5
	v_cndmask_b32_e64 v6, v5, v6, s[0:1]
	v_fma_f32 v5, -v7, v5, v4
	v_cmp_lt_f32_e64 s[0:1], 0, v5
	v_cndmask_b32_e64 v5, v6, v7, s[0:1]
	v_mul_f32_e32 v6, 0x37800000, v5
	v_cndmask_b32_e32 v5, v5, v6, vcc
	v_mov_b32_e32 v6, 0x260
	v_cmp_class_f32_e32 vcc, v4, v6
	v_cndmask_b32_e32 v4, v5, v4, vcc
	v_mul_f32_e32 v4, v2, v4
.LBB44_66:
	s_cbranch_execz .LBB44_69
	s_branch .LBB44_70
.LBB44_67:
	s_mov_b64 s[0:1], 0
	s_cbranch_execnz .LBB44_132
	s_branch .LBB44_137
.LBB44_68:
                                        ; implicit-def: $vgpr4
.LBB44_69:
	v_div_scale_f32 v4, s[0:1], v0, v0, v2
	v_rcp_f32_e32 v5, v4
	v_div_scale_f32 v6, vcc, v2, v0, v2
	s_mov_b32 s0, 0xf800000
	v_fma_f32 v7, -v4, v5, 1.0
	v_fmac_f32_e32 v5, v7, v5
	v_mul_f32_e32 v7, v6, v5
	v_fma_f32 v8, -v4, v7, v6
	v_fmac_f32_e32 v7, v8, v5
	v_fma_f32 v4, -v4, v7, v6
	v_div_fmas_f32 v4, v4, v5, v7
	v_div_fixup_f32 v2, v4, v0, v2
	v_fma_f32 v2, v2, v2, 1.0
	v_mul_f32_e32 v4, 0x4f800000, v2
	v_cmp_gt_f32_e32 vcc, s0, v2
	v_cndmask_b32_e32 v2, v2, v4, vcc
	v_sqrt_f32_e32 v4, v2
	v_add_u32_e32 v5, -1, v4
	v_fma_f32 v6, -v5, v4, v2
	v_cmp_ge_f32_e64 s[0:1], 0, v6
	v_add_u32_e32 v6, 1, v4
	v_cndmask_b32_e64 v5, v4, v5, s[0:1]
	v_fma_f32 v4, -v6, v4, v2
	v_cmp_lt_f32_e64 s[0:1], 0, v4
	v_cndmask_b32_e64 v4, v5, v6, s[0:1]
	v_mul_f32_e32 v5, 0x37800000, v4
	v_cndmask_b32_e32 v4, v4, v5, vcc
	v_mov_b32_e32 v5, 0x260
	v_cmp_class_f32_e32 vcc, v2, v5
	v_cndmask_b32_e32 v2, v4, v2, vcc
	v_mul_f32_e32 v4, v0, v2
.LBB44_70:
	s_mov_b32 s0, 0xf800000
	v_mul_f32_e32 v0, 0x4f800000, v4
	v_cmp_gt_f32_e32 vcc, s0, v4
	v_cndmask_b32_e32 v0, v4, v0, vcc
	v_sqrt_f32_e32 v2, v0
	v_add_u32_e32 v4, -1, v2
	v_fma_f32 v5, -v4, v2, v0
	v_cmp_ge_f32_e64 s[0:1], 0, v5
	v_add_u32_e32 v5, 1, v2
	v_cndmask_b32_e64 v4, v2, v4, s[0:1]
	v_fma_f32 v2, -v5, v2, v0
	v_cmp_lt_f32_e64 s[0:1], 0, v2
	v_cndmask_b32_e64 v2, v4, v5, s[0:1]
	v_mul_f32_e32 v4, 0x37800000, v2
	v_cndmask_b32_e32 v2, v2, v4, vcc
	v_mov_b32_e32 v4, 0x260
	v_cmp_class_f32_e32 vcc, v0, v4
	v_cndmask_b32_e32 v4, v2, v0, vcc
	v_mov_b32_e32 v5, 0
	ds_write_b64 v5, v[4:5] offset:480
.LBB44_71:
	s_or_b64 exec, exec, s[4:5]
	v_mov_b32_e32 v0, 0
	s_waitcnt lgkmcnt(0)
	ds_read_b64 v[6:7], v0 offset:480
	v_or_b32_e32 v5, v12, v13
	v_cmp_ne_u32_e64 s[0:1], 0, v5
	v_add_u32_e32 v4, 0x1e0, v16
	s_add_i32 s18, s12, s13
	s_waitcnt lgkmcnt(0)
	v_cmp_neq_f32_e32 vcc, 0, v6
	v_cmp_neq_f32_e64 s[4:5], 0, v7
	s_or_b64 vcc, vcc, s[4:5]
	s_or_b64 s[4:5], vcc, s[0:1]
	v_cndmask_b32_e32 v0, 1.0, v6, vcc
	s_xor_b64 s[16:17], s[4:5], -1
	v_cndmask_b32_e32 v2, 0, v7, vcc
	s_and_saveexec_b64 s[4:5], s[16:17]
	s_cbranch_execz .LBB44_75
; %bb.72:
	v_mbcnt_lo_u32_b32 v0, exec_lo, 0
	v_mbcnt_hi_u32_b32 v0, exec_hi, v0
	v_cmp_eq_u32_e32 vcc, 0, v0
	s_and_saveexec_b64 s[16:17], vcc
	s_cbranch_execz .LBB44_74
; %bb.73:
	v_mov_b32_e32 v0, 0
	v_mov_b32_e32 v2, s18
	global_atomic_smin v0, v2, s[14:15]
.LBB44_74:
	s_or_b64 exec, exec, s[16:17]
	v_mov_b32_e32 v0, 1.0
	v_mov_b32_e32 v2, 0
.LBB44_75:
	s_or_b64 exec, exec, s[4:5]
	s_and_saveexec_b64 s[4:5], s[2:3]
	s_cbranch_execz .LBB44_77
; %bb.76:
	v_mul_f32_e32 v10, v2, v2
	v_fmac_f32_e32 v10, v0, v0
	v_div_scale_f32 v11, s[2:3], v10, v10, 1.0
	v_rcp_f32_e32 v15, v11
	v_mul_u32_u24_e32 v16, 48, v13
	ds_read2_b64 v[6:9], v16 offset0:60 offset1:90
	v_fma_f32 v17, -v11, v15, 1.0
	v_fmac_f32_e32 v15, v17, v15
	v_div_scale_f32 v17, vcc, 1.0, v10, 1.0
	v_mul_f32_e32 v18, v17, v15
	v_fma_f32 v19, -v11, v18, v17
	v_fmac_f32_e32 v18, v19, v15
	v_fma_f32 v11, -v11, v18, v17
	s_waitcnt lgkmcnt(0)
	v_pk_add_f32 v[6:7], v[6:7], v[8:9] op_sel:[1,1] op_sel_hi:[0,0] neg_lo:[0,1] neg_hi:[0,1]
	v_div_fmas_f32 v11, v11, v15, v18
	v_pk_mul_f32 v[8:9], v[2:3], v[6:7] op_sel:[0,1] op_sel_hi:[0,0] neg_lo:[0,1]
	v_div_fixup_f32 v10, v11, v10, 1.0
	v_mul_u32_u24_e32 v11, 48, v12
	v_pk_fma_f32 v[6:7], v[6:7], v[0:1], v[8:9] op_sel_hi:[1,0,1]
	v_pk_mul_f32 v[6:7], v[10:11], v[6:7] op_sel_hi:[0,1]
	v_mov_b32_e32 v8, v7
	v_mov_b32_e32 v9, v6
	ds_write_b64 v16, v[8:9] offset:480
	s_waitcnt lgkmcnt(0)
	ds_read_b64 v[8:9], v11 offset:480
	ds_read_b64 v[10:11], v3
	s_waitcnt lgkmcnt(0)
	v_pk_fma_f32 v[10:11], v[6:7], v[8:9], v[10:11] op_sel:[1,0,0] op_sel_hi:[0,0,1]
	v_pk_fma_f32 v[6:7], v[6:7], v[8:9], v[10:11] op_sel:[0,1,0] neg_hi:[0,1,0]
	ds_write_b64 v3, v[6:7]
.LBB44_77:
	s_or_b64 exec, exec, s[4:5]
	v_cmp_eq_u32_e32 vcc, 1, v13
	s_waitcnt lgkmcnt(0)
	s_and_saveexec_b64 s[4:5], vcc
	s_cbranch_execz .LBB44_85
; %bb.78:
	v_mov_b32_e32 v6, 0
	ds_read2_b64 v[8:11], v6 offset0:67 offset1:97
	s_waitcnt lgkmcnt(0)
	v_sub_f32_e32 v0, v8, v10
	v_sub_f32_e32 v7, v9, v11
	v_cmp_gt_f32_e32 vcc, 0, v0
	v_cndmask_b32_e64 v0, v0, -v0, vcc
	v_cmp_gt_f32_e32 vcc, 0, v7
	v_cndmask_b32_e64 v2, v7, -v7, vcc
	v_cmp_gt_f32_e32 vcc, v0, v2
	s_cbranch_vccnz .LBB44_82
; %bb.79:
	v_cmp_eq_f32_e32 vcc, 0, v7
	s_cbranch_vccnz .LBB44_81
; %bb.80:
	v_div_scale_f32 v6, s[2:3], v2, v2, v0
	v_rcp_f32_e32 v7, v6
	v_div_scale_f32 v8, vcc, v0, v2, v0
	s_mov_b32 s2, 0xf800000
	v_fma_f32 v9, -v6, v7, 1.0
	v_fmac_f32_e32 v7, v9, v7
	v_mul_f32_e32 v9, v8, v7
	v_fma_f32 v10, -v6, v9, v8
	v_fmac_f32_e32 v9, v10, v7
	v_fma_f32 v6, -v6, v9, v8
	v_div_fmas_f32 v6, v6, v7, v9
	v_div_fixup_f32 v6, v6, v2, v0
	v_fma_f32 v6, v6, v6, 1.0
	v_mul_f32_e32 v7, 0x4f800000, v6
	v_cmp_gt_f32_e32 vcc, s2, v6
	v_cndmask_b32_e32 v6, v6, v7, vcc
	v_sqrt_f32_e32 v7, v6
	v_add_u32_e32 v8, -1, v7
	v_fma_f32 v9, -v8, v7, v6
	v_cmp_ge_f32_e64 s[2:3], 0, v9
	v_add_u32_e32 v9, 1, v7
	v_cndmask_b32_e64 v8, v7, v8, s[2:3]
	v_fma_f32 v7, -v9, v7, v6
	v_cmp_lt_f32_e64 s[2:3], 0, v7
	v_cndmask_b32_e64 v7, v8, v9, s[2:3]
	v_mul_f32_e32 v8, 0x37800000, v7
	v_cndmask_b32_e32 v7, v7, v8, vcc
	v_mov_b32_e32 v8, 0x260
	v_cmp_class_f32_e32 vcc, v6, v8
	v_cndmask_b32_e32 v6, v7, v6, vcc
	v_mul_f32_e32 v6, v2, v6
.LBB44_81:
	s_cbranch_execz .LBB44_83
	s_branch .LBB44_84
.LBB44_82:
                                        ; implicit-def: $vgpr6
.LBB44_83:
	v_div_scale_f32 v6, s[2:3], v0, v0, v2
	v_rcp_f32_e32 v7, v6
	v_div_scale_f32 v8, vcc, v2, v0, v2
	s_mov_b32 s2, 0xf800000
	v_fma_f32 v9, -v6, v7, 1.0
	v_fmac_f32_e32 v7, v9, v7
	v_mul_f32_e32 v9, v8, v7
	v_fma_f32 v10, -v6, v9, v8
	v_fmac_f32_e32 v9, v10, v7
	v_fma_f32 v6, -v6, v9, v8
	v_div_fmas_f32 v6, v6, v7, v9
	v_div_fixup_f32 v2, v6, v0, v2
	v_fma_f32 v2, v2, v2, 1.0
	v_mul_f32_e32 v6, 0x4f800000, v2
	v_cmp_gt_f32_e32 vcc, s2, v2
	v_cndmask_b32_e32 v2, v2, v6, vcc
	v_sqrt_f32_e32 v6, v2
	v_add_u32_e32 v7, -1, v6
	v_fma_f32 v8, -v7, v6, v2
	v_cmp_ge_f32_e64 s[2:3], 0, v8
	v_add_u32_e32 v8, 1, v6
	v_cndmask_b32_e64 v7, v6, v7, s[2:3]
	v_fma_f32 v6, -v8, v6, v2
	v_cmp_lt_f32_e64 s[2:3], 0, v6
	v_cndmask_b32_e64 v6, v7, v8, s[2:3]
	v_mul_f32_e32 v7, 0x37800000, v6
	v_cndmask_b32_e32 v6, v6, v7, vcc
	v_mov_b32_e32 v7, 0x260
	v_cmp_class_f32_e32 vcc, v2, v7
	v_cndmask_b32_e32 v2, v6, v2, vcc
	v_mul_f32_e32 v6, v0, v2
.LBB44_84:
	s_mov_b32 s2, 0xf800000
	v_mul_f32_e32 v0, 0x4f800000, v6
	v_cmp_gt_f32_e32 vcc, s2, v6
	v_cndmask_b32_e32 v0, v6, v0, vcc
	v_sqrt_f32_e32 v2, v0
	v_add_u32_e32 v6, -1, v2
	v_fma_f32 v7, -v6, v2, v0
	v_cmp_ge_f32_e64 s[2:3], 0, v7
	v_add_u32_e32 v7, 1, v2
	v_cndmask_b32_e64 v6, v2, v6, s[2:3]
	v_fma_f32 v2, -v7, v2, v0
	v_cmp_lt_f32_e64 s[2:3], 0, v2
	v_cndmask_b32_e64 v2, v6, v7, s[2:3]
	v_mul_f32_e32 v6, 0x37800000, v2
	v_cndmask_b32_e32 v2, v2, v6, vcc
	v_mov_b32_e32 v6, 0x260
	v_cmp_class_f32_e32 vcc, v0, v6
	v_cndmask_b32_e32 v6, v2, v0, vcc
	v_mov_b32_e32 v7, 0
	ds_write_b64 v7, v[6:7] offset:536
.LBB44_85:
	s_or_b64 exec, exec, s[4:5]
	v_mov_b32_e32 v0, 0
	s_waitcnt lgkmcnt(0)
	ds_read_b64 v[6:7], v0 offset:536
	s_waitcnt lgkmcnt(0)
	v_cmp_neq_f32_e32 vcc, 0, v6
	v_cmp_neq_f32_e64 s[2:3], 0, v7
	s_or_b64 vcc, vcc, s[2:3]
	s_or_b64 s[2:3], vcc, s[0:1]
	v_cndmask_b32_e32 v0, 1.0, v6, vcc
	s_xor_b64 s[4:5], s[2:3], -1
	v_cndmask_b32_e32 v2, 0, v7, vcc
	s_and_saveexec_b64 s[2:3], s[4:5]
	s_cbranch_execz .LBB44_89
; %bb.86:
	v_mbcnt_lo_u32_b32 v0, exec_lo, 0
	v_mbcnt_hi_u32_b32 v0, exec_hi, v0
	v_cmp_eq_u32_e32 vcc, 0, v0
	s_and_saveexec_b64 s[4:5], vcc
	s_cbranch_execz .LBB44_88
; %bb.87:
	v_mov_b32_e32 v0, 0
	v_mov_b32_e32 v2, s18
	global_atomic_smin v0, v2, s[14:15]
.LBB44_88:
	s_or_b64 exec, exec, s[4:5]
	v_mov_b32_e32 v0, 1.0
	v_mov_b32_e32 v2, 0
.LBB44_89:
	s_or_b64 exec, exec, s[2:3]
	v_cmp_lt_u32_e32 vcc, 1, v13
	s_and_saveexec_b64 s[2:3], vcc
	s_cbranch_execz .LBB44_91
; %bb.90:
	v_mul_f32_e32 v10, v2, v2
	v_fmac_f32_e32 v10, v0, v0
	v_div_scale_f32 v11, s[4:5], v10, v10, 1.0
	v_rcp_f32_e32 v15, v11
	v_mul_u32_u24_e32 v16, 48, v13
	ds_read2_b64 v[6:9], v16 offset0:61 offset1:91
	v_fma_f32 v17, -v11, v15, 1.0
	v_fmac_f32_e32 v15, v17, v15
	v_div_scale_f32 v17, vcc, 1.0, v10, 1.0
	v_mul_f32_e32 v18, v17, v15
	v_fma_f32 v19, -v11, v18, v17
	v_fmac_f32_e32 v18, v19, v15
	v_fma_f32 v11, -v11, v18, v17
	s_waitcnt lgkmcnt(0)
	v_pk_add_f32 v[6:7], v[6:7], v[8:9] op_sel:[1,1] op_sel_hi:[0,0] neg_lo:[0,1] neg_hi:[0,1]
	v_div_fmas_f32 v11, v11, v15, v18
	v_pk_mul_f32 v[8:9], v[2:3], v[6:7] op_sel:[0,1] op_sel_hi:[0,0] neg_lo:[0,1]
	v_div_fixup_f32 v10, v11, v10, 1.0
	v_mul_u32_u24_e32 v11, 48, v12
	v_pk_fma_f32 v[6:7], v[6:7], v[0:1], v[8:9] op_sel_hi:[1,0,1]
	v_pk_mul_f32 v[6:7], v[10:11], v[6:7] op_sel_hi:[0,1]
	v_mov_b32_e32 v8, v7
	v_mov_b32_e32 v9, v6
	ds_write_b64 v16, v[8:9] offset:488
	s_waitcnt lgkmcnt(0)
	ds_read_b64 v[8:9], v11 offset:488
	ds_read_b64 v[10:11], v3
	s_waitcnt lgkmcnt(0)
	v_pk_fma_f32 v[10:11], v[6:7], v[8:9], v[10:11] op_sel:[1,0,0] op_sel_hi:[0,0,1]
	v_pk_fma_f32 v[6:7], v[6:7], v[8:9], v[10:11] op_sel:[0,1,0] neg_hi:[0,1,0]
	ds_write_b64 v3, v[6:7]
.LBB44_91:
	s_or_b64 exec, exec, s[2:3]
	v_cmp_eq_u32_e32 vcc, 2, v13
	s_waitcnt lgkmcnt(0)
	s_and_saveexec_b64 s[4:5], vcc
	s_cbranch_execz .LBB44_99
; %bb.92:
	v_mov_b32_e32 v6, 0
	ds_read2_b64 v[8:11], v6 offset0:74 offset1:104
	s_waitcnt lgkmcnt(0)
	v_sub_f32_e32 v0, v8, v10
	v_sub_f32_e32 v7, v9, v11
	v_cmp_gt_f32_e32 vcc, 0, v0
	v_cndmask_b32_e64 v0, v0, -v0, vcc
	v_cmp_gt_f32_e32 vcc, 0, v7
	v_cndmask_b32_e64 v2, v7, -v7, vcc
	v_cmp_gt_f32_e32 vcc, v0, v2
	s_cbranch_vccnz .LBB44_96
; %bb.93:
	v_cmp_eq_f32_e32 vcc, 0, v7
	s_cbranch_vccnz .LBB44_95
; %bb.94:
	v_div_scale_f32 v6, s[2:3], v2, v2, v0
	v_rcp_f32_e32 v7, v6
	v_div_scale_f32 v8, vcc, v0, v2, v0
	s_mov_b32 s2, 0xf800000
	v_fma_f32 v9, -v6, v7, 1.0
	v_fmac_f32_e32 v7, v9, v7
	v_mul_f32_e32 v9, v8, v7
	v_fma_f32 v10, -v6, v9, v8
	v_fmac_f32_e32 v9, v10, v7
	v_fma_f32 v6, -v6, v9, v8
	v_div_fmas_f32 v6, v6, v7, v9
	v_div_fixup_f32 v6, v6, v2, v0
	v_fma_f32 v6, v6, v6, 1.0
	v_mul_f32_e32 v7, 0x4f800000, v6
	v_cmp_gt_f32_e32 vcc, s2, v6
	v_cndmask_b32_e32 v6, v6, v7, vcc
	v_sqrt_f32_e32 v7, v6
	v_add_u32_e32 v8, -1, v7
	v_fma_f32 v9, -v8, v7, v6
	v_cmp_ge_f32_e64 s[2:3], 0, v9
	v_add_u32_e32 v9, 1, v7
	v_cndmask_b32_e64 v8, v7, v8, s[2:3]
	v_fma_f32 v7, -v9, v7, v6
	v_cmp_lt_f32_e64 s[2:3], 0, v7
	v_cndmask_b32_e64 v7, v8, v9, s[2:3]
	v_mul_f32_e32 v8, 0x37800000, v7
	v_cndmask_b32_e32 v7, v7, v8, vcc
	v_mov_b32_e32 v8, 0x260
	v_cmp_class_f32_e32 vcc, v6, v8
	v_cndmask_b32_e32 v6, v7, v6, vcc
	v_mul_f32_e32 v6, v2, v6
.LBB44_95:
	s_cbranch_execz .LBB44_97
	s_branch .LBB44_98
.LBB44_96:
                                        ; implicit-def: $vgpr6
.LBB44_97:
	v_div_scale_f32 v6, s[2:3], v0, v0, v2
	v_rcp_f32_e32 v7, v6
	v_div_scale_f32 v8, vcc, v2, v0, v2
	s_mov_b32 s2, 0xf800000
	v_fma_f32 v9, -v6, v7, 1.0
	v_fmac_f32_e32 v7, v9, v7
	v_mul_f32_e32 v9, v8, v7
	v_fma_f32 v10, -v6, v9, v8
	v_fmac_f32_e32 v9, v10, v7
	v_fma_f32 v6, -v6, v9, v8
	v_div_fmas_f32 v6, v6, v7, v9
	v_div_fixup_f32 v2, v6, v0, v2
	v_fma_f32 v2, v2, v2, 1.0
	v_mul_f32_e32 v6, 0x4f800000, v2
	v_cmp_gt_f32_e32 vcc, s2, v2
	v_cndmask_b32_e32 v2, v2, v6, vcc
	v_sqrt_f32_e32 v6, v2
	v_add_u32_e32 v7, -1, v6
	v_fma_f32 v8, -v7, v6, v2
	v_cmp_ge_f32_e64 s[2:3], 0, v8
	v_add_u32_e32 v8, 1, v6
	v_cndmask_b32_e64 v7, v6, v7, s[2:3]
	v_fma_f32 v6, -v8, v6, v2
	v_cmp_lt_f32_e64 s[2:3], 0, v6
	v_cndmask_b32_e64 v6, v7, v8, s[2:3]
	v_mul_f32_e32 v7, 0x37800000, v6
	v_cndmask_b32_e32 v6, v6, v7, vcc
	v_mov_b32_e32 v7, 0x260
	v_cmp_class_f32_e32 vcc, v2, v7
	v_cndmask_b32_e32 v2, v6, v2, vcc
	v_mul_f32_e32 v6, v0, v2
.LBB44_98:
	s_mov_b32 s2, 0xf800000
	v_mul_f32_e32 v0, 0x4f800000, v6
	v_cmp_gt_f32_e32 vcc, s2, v6
	v_cndmask_b32_e32 v0, v6, v0, vcc
	v_sqrt_f32_e32 v2, v0
	v_add_u32_e32 v6, -1, v2
	v_fma_f32 v7, -v6, v2, v0
	v_cmp_ge_f32_e64 s[2:3], 0, v7
	v_add_u32_e32 v7, 1, v2
	v_cndmask_b32_e64 v6, v2, v6, s[2:3]
	v_fma_f32 v2, -v7, v2, v0
	v_cmp_lt_f32_e64 s[2:3], 0, v2
	v_cndmask_b32_e64 v2, v6, v7, s[2:3]
	v_mul_f32_e32 v6, 0x37800000, v2
	v_cndmask_b32_e32 v2, v2, v6, vcc
	v_mov_b32_e32 v6, 0x260
	v_cmp_class_f32_e32 vcc, v0, v6
	v_cndmask_b32_e32 v6, v2, v0, vcc
	v_mov_b32_e32 v7, 0
	ds_write_b64 v7, v[6:7] offset:592
.LBB44_99:
	s_or_b64 exec, exec, s[4:5]
	v_mov_b32_e32 v0, 0
	s_waitcnt lgkmcnt(0)
	ds_read_b64 v[6:7], v0 offset:592
	s_waitcnt lgkmcnt(0)
	v_cmp_neq_f32_e32 vcc, 0, v6
	v_cmp_neq_f32_e64 s[2:3], 0, v7
	s_or_b64 vcc, vcc, s[2:3]
	s_or_b64 s[2:3], vcc, s[0:1]
	v_cndmask_b32_e32 v0, 1.0, v6, vcc
	s_xor_b64 s[4:5], s[2:3], -1
	v_cndmask_b32_e32 v2, 0, v7, vcc
	s_and_saveexec_b64 s[2:3], s[4:5]
	s_cbranch_execz .LBB44_103
; %bb.100:
	v_mbcnt_lo_u32_b32 v0, exec_lo, 0
	v_mbcnt_hi_u32_b32 v0, exec_hi, v0
	v_cmp_eq_u32_e32 vcc, 0, v0
	s_and_saveexec_b64 s[4:5], vcc
	s_cbranch_execz .LBB44_102
; %bb.101:
	v_mov_b32_e32 v0, 0
	v_mov_b32_e32 v2, s18
	global_atomic_smin v0, v2, s[14:15]
.LBB44_102:
	s_or_b64 exec, exec, s[4:5]
	v_mov_b32_e32 v0, 1.0
	v_mov_b32_e32 v2, 0
.LBB44_103:
	s_or_b64 exec, exec, s[2:3]
	v_cmp_lt_u32_e32 vcc, 2, v13
	s_and_saveexec_b64 s[2:3], vcc
	s_cbranch_execz .LBB44_105
; %bb.104:
	v_mul_f32_e32 v10, v2, v2
	v_fmac_f32_e32 v10, v0, v0
	v_div_scale_f32 v11, s[4:5], v10, v10, 1.0
	v_rcp_f32_e32 v15, v11
	v_mul_u32_u24_e32 v16, 48, v13
	ds_read2_b64 v[6:9], v16 offset0:62 offset1:92
	v_fma_f32 v17, -v11, v15, 1.0
	v_fmac_f32_e32 v15, v17, v15
	v_div_scale_f32 v17, vcc, 1.0, v10, 1.0
	v_mul_f32_e32 v18, v17, v15
	v_fma_f32 v19, -v11, v18, v17
	v_fmac_f32_e32 v18, v19, v15
	v_fma_f32 v11, -v11, v18, v17
	s_waitcnt lgkmcnt(0)
	v_pk_add_f32 v[6:7], v[6:7], v[8:9] op_sel:[1,1] op_sel_hi:[0,0] neg_lo:[0,1] neg_hi:[0,1]
	v_div_fmas_f32 v11, v11, v15, v18
	v_pk_mul_f32 v[8:9], v[2:3], v[6:7] op_sel:[0,1] op_sel_hi:[0,0] neg_lo:[0,1]
	v_div_fixup_f32 v10, v11, v10, 1.0
	v_mul_u32_u24_e32 v11, 48, v12
	v_pk_fma_f32 v[6:7], v[6:7], v[0:1], v[8:9] op_sel_hi:[1,0,1]
	v_pk_mul_f32 v[6:7], v[10:11], v[6:7] op_sel_hi:[0,1]
	v_mov_b32_e32 v8, v7
	v_mov_b32_e32 v9, v6
	ds_write_b64 v16, v[8:9] offset:496
	s_waitcnt lgkmcnt(0)
	ds_read_b64 v[8:9], v11 offset:496
	ds_read_b64 v[10:11], v3
	s_waitcnt lgkmcnt(0)
	v_pk_fma_f32 v[10:11], v[6:7], v[8:9], v[10:11] op_sel:[1,0,0] op_sel_hi:[0,0,1]
	v_pk_fma_f32 v[6:7], v[6:7], v[8:9], v[10:11] op_sel:[0,1,0] neg_hi:[0,1,0]
	ds_write_b64 v3, v[6:7]
.LBB44_105:
	s_or_b64 exec, exec, s[2:3]
	v_cmp_eq_u32_e32 vcc, 3, v13
	s_waitcnt lgkmcnt(0)
	s_and_saveexec_b64 s[4:5], vcc
	s_cbranch_execz .LBB44_113
; %bb.106:
	v_mov_b32_e32 v6, 0
	ds_read2_b64 v[8:11], v6 offset0:81 offset1:111
	s_waitcnt lgkmcnt(0)
	v_sub_f32_e32 v0, v8, v10
	v_sub_f32_e32 v7, v9, v11
	v_cmp_gt_f32_e32 vcc, 0, v0
	v_cndmask_b32_e64 v0, v0, -v0, vcc
	v_cmp_gt_f32_e32 vcc, 0, v7
	v_cndmask_b32_e64 v2, v7, -v7, vcc
	v_cmp_gt_f32_e32 vcc, v0, v2
	s_cbranch_vccnz .LBB44_110
; %bb.107:
	v_cmp_eq_f32_e32 vcc, 0, v7
	s_cbranch_vccnz .LBB44_109
; %bb.108:
	v_div_scale_f32 v6, s[2:3], v2, v2, v0
	v_rcp_f32_e32 v7, v6
	v_div_scale_f32 v8, vcc, v0, v2, v0
	s_mov_b32 s2, 0xf800000
	v_fma_f32 v9, -v6, v7, 1.0
	v_fmac_f32_e32 v7, v9, v7
	v_mul_f32_e32 v9, v8, v7
	v_fma_f32 v10, -v6, v9, v8
	v_fmac_f32_e32 v9, v10, v7
	v_fma_f32 v6, -v6, v9, v8
	v_div_fmas_f32 v6, v6, v7, v9
	v_div_fixup_f32 v6, v6, v2, v0
	v_fma_f32 v6, v6, v6, 1.0
	v_mul_f32_e32 v7, 0x4f800000, v6
	v_cmp_gt_f32_e32 vcc, s2, v6
	v_cndmask_b32_e32 v6, v6, v7, vcc
	v_sqrt_f32_e32 v7, v6
	v_add_u32_e32 v8, -1, v7
	v_fma_f32 v9, -v8, v7, v6
	v_cmp_ge_f32_e64 s[2:3], 0, v9
	v_add_u32_e32 v9, 1, v7
	v_cndmask_b32_e64 v8, v7, v8, s[2:3]
	v_fma_f32 v7, -v9, v7, v6
	v_cmp_lt_f32_e64 s[2:3], 0, v7
	v_cndmask_b32_e64 v7, v8, v9, s[2:3]
	v_mul_f32_e32 v8, 0x37800000, v7
	v_cndmask_b32_e32 v7, v7, v8, vcc
	v_mov_b32_e32 v8, 0x260
	v_cmp_class_f32_e32 vcc, v6, v8
	v_cndmask_b32_e32 v6, v7, v6, vcc
	v_mul_f32_e32 v6, v2, v6
.LBB44_109:
	s_cbranch_execz .LBB44_111
	s_branch .LBB44_112
.LBB44_110:
                                        ; implicit-def: $vgpr6
.LBB44_111:
	v_div_scale_f32 v6, s[2:3], v0, v0, v2
	v_rcp_f32_e32 v7, v6
	v_div_scale_f32 v8, vcc, v2, v0, v2
	s_mov_b32 s2, 0xf800000
	v_fma_f32 v9, -v6, v7, 1.0
	v_fmac_f32_e32 v7, v9, v7
	v_mul_f32_e32 v9, v8, v7
	v_fma_f32 v10, -v6, v9, v8
	v_fmac_f32_e32 v9, v10, v7
	v_fma_f32 v6, -v6, v9, v8
	v_div_fmas_f32 v6, v6, v7, v9
	v_div_fixup_f32 v2, v6, v0, v2
	v_fma_f32 v2, v2, v2, 1.0
	v_mul_f32_e32 v6, 0x4f800000, v2
	v_cmp_gt_f32_e32 vcc, s2, v2
	v_cndmask_b32_e32 v2, v2, v6, vcc
	v_sqrt_f32_e32 v6, v2
	v_add_u32_e32 v7, -1, v6
	v_fma_f32 v8, -v7, v6, v2
	v_cmp_ge_f32_e64 s[2:3], 0, v8
	v_add_u32_e32 v8, 1, v6
	v_cndmask_b32_e64 v7, v6, v7, s[2:3]
	v_fma_f32 v6, -v8, v6, v2
	v_cmp_lt_f32_e64 s[2:3], 0, v6
	v_cndmask_b32_e64 v6, v7, v8, s[2:3]
	v_mul_f32_e32 v7, 0x37800000, v6
	v_cndmask_b32_e32 v6, v6, v7, vcc
	v_mov_b32_e32 v7, 0x260
	v_cmp_class_f32_e32 vcc, v2, v7
	v_cndmask_b32_e32 v2, v6, v2, vcc
	v_mul_f32_e32 v6, v0, v2
.LBB44_112:
	s_mov_b32 s2, 0xf800000
	v_mul_f32_e32 v0, 0x4f800000, v6
	v_cmp_gt_f32_e32 vcc, s2, v6
	v_cndmask_b32_e32 v0, v6, v0, vcc
	v_sqrt_f32_e32 v2, v0
	v_add_u32_e32 v6, -1, v2
	v_fma_f32 v7, -v6, v2, v0
	v_cmp_ge_f32_e64 s[2:3], 0, v7
	v_add_u32_e32 v7, 1, v2
	v_cndmask_b32_e64 v6, v2, v6, s[2:3]
	v_fma_f32 v2, -v7, v2, v0
	v_cmp_lt_f32_e64 s[2:3], 0, v2
	v_cndmask_b32_e64 v2, v6, v7, s[2:3]
	v_mul_f32_e32 v6, 0x37800000, v2
	v_cndmask_b32_e32 v2, v2, v6, vcc
	v_mov_b32_e32 v6, 0x260
	v_cmp_class_f32_e32 vcc, v0, v6
	v_cndmask_b32_e32 v6, v2, v0, vcc
	v_mov_b32_e32 v7, 0
	ds_write_b64 v7, v[6:7] offset:648
.LBB44_113:
	s_or_b64 exec, exec, s[4:5]
	v_mov_b32_e32 v0, 0
	s_waitcnt lgkmcnt(0)
	ds_read_b64 v[6:7], v0 offset:648
	s_waitcnt lgkmcnt(0)
	v_cmp_neq_f32_e32 vcc, 0, v6
	v_cmp_neq_f32_e64 s[2:3], 0, v7
	s_or_b64 vcc, vcc, s[2:3]
	s_or_b64 s[2:3], vcc, s[0:1]
	v_cndmask_b32_e32 v0, 1.0, v6, vcc
	s_xor_b64 s[4:5], s[2:3], -1
	v_cndmask_b32_e32 v2, 0, v7, vcc
	s_and_saveexec_b64 s[2:3], s[4:5]
	s_cbranch_execz .LBB44_117
; %bb.114:
	v_mbcnt_lo_u32_b32 v0, exec_lo, 0
	v_mbcnt_hi_u32_b32 v0, exec_hi, v0
	v_cmp_eq_u32_e32 vcc, 0, v0
	s_and_saveexec_b64 s[4:5], vcc
	s_cbranch_execz .LBB44_116
; %bb.115:
	v_mov_b32_e32 v0, 0
	v_mov_b32_e32 v2, s18
	global_atomic_smin v0, v2, s[14:15]
.LBB44_116:
	s_or_b64 exec, exec, s[4:5]
	v_mov_b32_e32 v0, 1.0
	v_mov_b32_e32 v2, 0
.LBB44_117:
	s_or_b64 exec, exec, s[2:3]
	v_cmp_lt_u32_e32 vcc, 3, v13
	s_and_saveexec_b64 s[2:3], vcc
	s_cbranch_execz .LBB44_119
; %bb.118:
	v_mul_f32_e32 v10, v2, v2
	v_fmac_f32_e32 v10, v0, v0
	v_div_scale_f32 v11, s[4:5], v10, v10, 1.0
	v_rcp_f32_e32 v15, v11
	v_mul_u32_u24_e32 v16, 48, v13
	ds_read2_b64 v[6:9], v16 offset0:63 offset1:93
	v_fma_f32 v17, -v11, v15, 1.0
	v_fmac_f32_e32 v15, v17, v15
	v_div_scale_f32 v17, vcc, 1.0, v10, 1.0
	v_mul_f32_e32 v18, v17, v15
	v_fma_f32 v19, -v11, v18, v17
	v_fmac_f32_e32 v18, v19, v15
	v_fma_f32 v11, -v11, v18, v17
	s_waitcnt lgkmcnt(0)
	v_pk_add_f32 v[6:7], v[6:7], v[8:9] op_sel:[1,1] op_sel_hi:[0,0] neg_lo:[0,1] neg_hi:[0,1]
	v_div_fmas_f32 v11, v11, v15, v18
	v_pk_mul_f32 v[8:9], v[2:3], v[6:7] op_sel:[0,1] op_sel_hi:[0,0] neg_lo:[0,1]
	v_div_fixup_f32 v10, v11, v10, 1.0
	v_mul_u32_u24_e32 v11, 48, v12
	v_pk_fma_f32 v[6:7], v[6:7], v[0:1], v[8:9] op_sel_hi:[1,0,1]
	v_pk_mul_f32 v[6:7], v[10:11], v[6:7] op_sel_hi:[0,1]
	v_mov_b32_e32 v8, v7
	v_mov_b32_e32 v9, v6
	ds_write_b64 v16, v[8:9] offset:504
	s_waitcnt lgkmcnt(0)
	ds_read_b64 v[8:9], v11 offset:504
	ds_read_b64 v[10:11], v3
	s_waitcnt lgkmcnt(0)
	v_pk_fma_f32 v[10:11], v[6:7], v[8:9], v[10:11] op_sel:[1,0,0] op_sel_hi:[0,0,1]
	v_pk_fma_f32 v[6:7], v[6:7], v[8:9], v[10:11] op_sel:[0,1,0] neg_hi:[0,1,0]
	ds_write_b64 v3, v[6:7]
.LBB44_119:
	s_or_b64 exec, exec, s[2:3]
	v_cmp_eq_u32_e32 vcc, 4, v13
	s_waitcnt lgkmcnt(0)
	s_and_saveexec_b64 s[4:5], vcc
	s_cbranch_execz .LBB44_127
; %bb.120:
	v_mov_b32_e32 v6, 0
	ds_read2_b64 v[8:11], v6 offset0:88 offset1:118
	s_waitcnt lgkmcnt(0)
	v_sub_f32_e32 v0, v8, v10
	v_sub_f32_e32 v7, v9, v11
	v_cmp_gt_f32_e32 vcc, 0, v0
	v_cndmask_b32_e64 v0, v0, -v0, vcc
	v_cmp_gt_f32_e32 vcc, 0, v7
	v_cndmask_b32_e64 v2, v7, -v7, vcc
	v_cmp_gt_f32_e32 vcc, v0, v2
	s_cbranch_vccnz .LBB44_124
; %bb.121:
	v_cmp_eq_f32_e32 vcc, 0, v7
	s_cbranch_vccnz .LBB44_123
; %bb.122:
	v_div_scale_f32 v6, s[2:3], v2, v2, v0
	v_rcp_f32_e32 v7, v6
	v_div_scale_f32 v8, vcc, v0, v2, v0
	s_mov_b32 s2, 0xf800000
	v_fma_f32 v9, -v6, v7, 1.0
	v_fmac_f32_e32 v7, v9, v7
	v_mul_f32_e32 v9, v8, v7
	v_fma_f32 v10, -v6, v9, v8
	v_fmac_f32_e32 v9, v10, v7
	v_fma_f32 v6, -v6, v9, v8
	v_div_fmas_f32 v6, v6, v7, v9
	v_div_fixup_f32 v6, v6, v2, v0
	v_fma_f32 v6, v6, v6, 1.0
	v_mul_f32_e32 v7, 0x4f800000, v6
	v_cmp_gt_f32_e32 vcc, s2, v6
	v_cndmask_b32_e32 v6, v6, v7, vcc
	v_sqrt_f32_e32 v7, v6
	v_add_u32_e32 v8, -1, v7
	v_fma_f32 v9, -v8, v7, v6
	v_cmp_ge_f32_e64 s[2:3], 0, v9
	v_add_u32_e32 v9, 1, v7
	v_cndmask_b32_e64 v8, v7, v8, s[2:3]
	v_fma_f32 v7, -v9, v7, v6
	v_cmp_lt_f32_e64 s[2:3], 0, v7
	v_cndmask_b32_e64 v7, v8, v9, s[2:3]
	v_mul_f32_e32 v8, 0x37800000, v7
	v_cndmask_b32_e32 v7, v7, v8, vcc
	v_mov_b32_e32 v8, 0x260
	v_cmp_class_f32_e32 vcc, v6, v8
	v_cndmask_b32_e32 v6, v7, v6, vcc
	v_mul_f32_e32 v6, v2, v6
.LBB44_123:
	s_cbranch_execz .LBB44_125
	s_branch .LBB44_126
.LBB44_124:
                                        ; implicit-def: $vgpr6
.LBB44_125:
	v_div_scale_f32 v6, s[2:3], v0, v0, v2
	v_rcp_f32_e32 v7, v6
	v_div_scale_f32 v8, vcc, v2, v0, v2
	s_mov_b32 s2, 0xf800000
	v_fma_f32 v9, -v6, v7, 1.0
	v_fmac_f32_e32 v7, v9, v7
	v_mul_f32_e32 v9, v8, v7
	v_fma_f32 v10, -v6, v9, v8
	v_fmac_f32_e32 v9, v10, v7
	v_fma_f32 v6, -v6, v9, v8
	v_div_fmas_f32 v6, v6, v7, v9
	v_div_fixup_f32 v2, v6, v0, v2
	v_fma_f32 v2, v2, v2, 1.0
	v_mul_f32_e32 v6, 0x4f800000, v2
	v_cmp_gt_f32_e32 vcc, s2, v2
	v_cndmask_b32_e32 v2, v2, v6, vcc
	v_sqrt_f32_e32 v6, v2
	v_add_u32_e32 v7, -1, v6
	v_fma_f32 v8, -v7, v6, v2
	v_cmp_ge_f32_e64 s[2:3], 0, v8
	v_add_u32_e32 v8, 1, v6
	v_cndmask_b32_e64 v7, v6, v7, s[2:3]
	v_fma_f32 v6, -v8, v6, v2
	v_cmp_lt_f32_e64 s[2:3], 0, v6
	v_cndmask_b32_e64 v6, v7, v8, s[2:3]
	v_mul_f32_e32 v7, 0x37800000, v6
	v_cndmask_b32_e32 v6, v6, v7, vcc
	v_mov_b32_e32 v7, 0x260
	v_cmp_class_f32_e32 vcc, v2, v7
	v_cndmask_b32_e32 v2, v6, v2, vcc
	v_mul_f32_e32 v6, v0, v2
.LBB44_126:
	s_mov_b32 s2, 0xf800000
	v_mul_f32_e32 v0, 0x4f800000, v6
	v_cmp_gt_f32_e32 vcc, s2, v6
	v_cndmask_b32_e32 v0, v6, v0, vcc
	v_sqrt_f32_e32 v2, v0
	v_add_u32_e32 v6, -1, v2
	v_fma_f32 v7, -v6, v2, v0
	v_cmp_ge_f32_e64 s[2:3], 0, v7
	v_add_u32_e32 v7, 1, v2
	v_cndmask_b32_e64 v6, v2, v6, s[2:3]
	v_fma_f32 v2, -v7, v2, v0
	v_cmp_lt_f32_e64 s[2:3], 0, v2
	v_cndmask_b32_e64 v2, v6, v7, s[2:3]
	v_mul_f32_e32 v6, 0x37800000, v2
	v_cndmask_b32_e32 v2, v2, v6, vcc
	v_mov_b32_e32 v6, 0x260
	v_cmp_class_f32_e32 vcc, v0, v6
	v_cndmask_b32_e32 v6, v2, v0, vcc
	v_mov_b32_e32 v7, 0
	ds_write_b64 v7, v[6:7] offset:704
.LBB44_127:
	s_or_b64 exec, exec, s[4:5]
	v_mov_b32_e32 v0, 0
	s_waitcnt lgkmcnt(0)
	ds_read_b64 v[6:7], v0 offset:704
	s_waitcnt lgkmcnt(0)
	v_cmp_neq_f32_e32 vcc, 0, v6
	v_cmp_neq_f32_e64 s[2:3], 0, v7
	s_or_b64 vcc, vcc, s[2:3]
	s_or_b64 s[0:1], vcc, s[0:1]
	v_cndmask_b32_e32 v0, 1.0, v6, vcc
	s_xor_b64 s[2:3], s[0:1], -1
	v_cndmask_b32_e32 v2, 0, v7, vcc
	s_and_saveexec_b64 s[0:1], s[2:3]
	s_cbranch_execnz .LBB44_140
; %bb.128:
	s_or_b64 exec, exec, s[0:1]
	v_cmp_lt_u32_e32 vcc, 4, v13
	s_and_saveexec_b64 s[0:1], vcc
	s_cbranch_execnz .LBB44_143
.LBB44_129:
	s_or_b64 exec, exec, s[0:1]
	s_andn2_b64 vcc, exec, s[8:9]
	s_cbranch_vccnz .LBB44_131
.LBB44_130:
	v_mov_b32_e32 v14, v1
.LBB44_131:
	v_add_u32_e32 v0, s30, v14
	ds_read_b64 v[2:3], v4
	v_ashrrev_i32_e32 v1, 31, v0
	v_lshlrev_b64 v[0:1], 3, v[0:1]
	v_mov_b32_e32 v6, s21
	v_add_co_u32_e32 v0, vcc, s20, v0
	v_addc_co_u32_e32 v1, vcc, v6, v1, vcc
	s_waitcnt lgkmcnt(0)
	global_store_dwordx2 v[0:1], v[2:3], off
	v_cmp_eq_u32_e64 s[0:1], 0, v5
	s_branch .LBB44_137
.LBB44_132:
	v_or_b32_e32 v0, v12, v13
	v_cmp_eq_u32_e32 vcc, 0, v0
	s_and_saveexec_b64 s[2:3], vcc
	s_cbranch_execz .LBB44_136
; %bb.133:
	v_mbcnt_lo_u32_b32 v0, exec_lo, 0
	v_mbcnt_hi_u32_b32 v0, exec_hi, v0
	v_cmp_eq_u32_e32 vcc, 0, v0
	s_and_saveexec_b64 s[4:5], vcc
	s_cbranch_execz .LBB44_135
; %bb.134:
	s_add_i32 s8, s12, s13
	v_mov_b32_e32 v0, 0
	v_mov_b32_e32 v1, s8
	global_atomic_smin v0, v1, s[14:15]
.LBB44_135:
	s_or_b64 exec, exec, s[4:5]
	s_or_b64 s[0:1], s[0:1], exec
.LBB44_136:
	s_or_b64 exec, exec, s[2:3]
.LBB44_137:
	s_and_saveexec_b64 s[2:3], s[0:1]
	s_cbranch_execnz .LBB44_139
; %bb.138:
	s_endpgm
.LBB44_139:
	s_add_u32 s0, s10, s6
	s_addc_u32 s1, s11, s7
	v_mov_b32_e32 v0, 0
	v_mov_b32_e32 v1, 1
	s_waitcnt vmcnt(0)
	global_store_dword v0, v1, s[0:1]
	s_endpgm
.LBB44_140:
	v_mbcnt_lo_u32_b32 v0, exec_lo, 0
	v_mbcnt_hi_u32_b32 v0, exec_hi, v0
	v_cmp_eq_u32_e32 vcc, 0, v0
	s_and_saveexec_b64 s[2:3], vcc
	s_cbranch_execz .LBB44_142
; %bb.141:
	v_mov_b32_e32 v0, 0
	v_mov_b32_e32 v2, s18
	global_atomic_smin v0, v2, s[14:15]
.LBB44_142:
	s_or_b64 exec, exec, s[2:3]
	v_mov_b32_e32 v0, 1.0
	v_mov_b32_e32 v2, 0
	s_or_b64 exec, exec, s[0:1]
	v_cmp_lt_u32_e32 vcc, 4, v13
	s_and_saveexec_b64 s[0:1], vcc
	s_cbranch_execz .LBB44_129
.LBB44_143:
	v_mul_f32_e32 v10, v2, v2
	v_fmac_f32_e32 v10, v0, v0
	v_div_scale_f32 v11, s[2:3], v10, v10, 1.0
	v_rcp_f32_e32 v15, v11
	v_mul_u32_u24_e32 v16, 48, v13
	ds_read2_b64 v[6:9], v16 offset0:64 offset1:94
	v_fma_f32 v17, -v11, v15, 1.0
	v_fmac_f32_e32 v15, v17, v15
	v_div_scale_f32 v17, vcc, 1.0, v10, 1.0
	v_mul_f32_e32 v18, v17, v15
	v_fma_f32 v19, -v11, v18, v17
	v_fmac_f32_e32 v18, v19, v15
	v_fma_f32 v11, -v11, v18, v17
	s_waitcnt lgkmcnt(0)
	v_pk_add_f32 v[6:7], v[6:7], v[8:9] op_sel:[1,1] op_sel_hi:[0,0] neg_lo:[0,1] neg_hi:[0,1]
	v_div_fmas_f32 v11, v11, v15, v18
	v_pk_mul_f32 v[8:9], v[2:3], v[6:7] op_sel:[0,1] op_sel_hi:[0,0] neg_lo:[0,1]
	v_div_fixup_f32 v10, v11, v10, 1.0
	v_mul_u32_u24_e32 v11, 48, v12
	v_pk_fma_f32 v[6:7], v[6:7], v[0:1], v[8:9] op_sel_hi:[1,0,1]
	v_pk_mul_f32 v[6:7], v[10:11], v[6:7] op_sel_hi:[0,1]
	v_mov_b32_e32 v8, v7
	v_mov_b32_e32 v9, v6
	ds_write_b64 v16, v[8:9] offset:512
	s_waitcnt lgkmcnt(0)
	ds_read_b64 v[8:9], v11 offset:512
	ds_read_b64 v[10:11], v3
	s_waitcnt lgkmcnt(0)
	v_pk_fma_f32 v[10:11], v[6:7], v[8:9], v[10:11] op_sel:[1,0,0] op_sel_hi:[0,0,1]
	v_pk_fma_f32 v[6:7], v[6:7], v[8:9], v[10:11] op_sel:[0,1,0] neg_hi:[0,1,0]
	ds_write_b64 v3, v[6:7]
	s_or_b64 exec, exec, s[0:1]
	s_andn2_b64 vcc, exec, s[8:9]
	s_waitcnt lgkmcnt(0)
	s_cbranch_vccz .LBB44_130
	s_branch .LBB44_131
	.section	.rodata,"a",@progbits
	.p2align	6, 0x0
	.amdhsa_kernel _ZN9rocsparseL26bsric0_2_8_unrolled_kernelILi25ELi32ELi5E21rocsparse_complex_numIfEEEv20rocsparse_direction_iiPKiS5_PT2_S5_PiS5_S8_21rocsparse_index_base_
		.amdhsa_group_segment_fixed_size 1344
		.amdhsa_private_segment_fixed_size 0
		.amdhsa_kernarg_size 76
		.amdhsa_user_sgpr_count 6
		.amdhsa_user_sgpr_private_segment_buffer 1
		.amdhsa_user_sgpr_dispatch_ptr 0
		.amdhsa_user_sgpr_queue_ptr 0
		.amdhsa_user_sgpr_kernarg_segment_ptr 1
		.amdhsa_user_sgpr_dispatch_id 0
		.amdhsa_user_sgpr_flat_scratch_init 0
		.amdhsa_user_sgpr_kernarg_preload_length 0
		.amdhsa_user_sgpr_kernarg_preload_offset 0
		.amdhsa_user_sgpr_private_segment_size 0
		.amdhsa_uses_dynamic_stack 0
		.amdhsa_system_sgpr_private_segment_wavefront_offset 0
		.amdhsa_system_sgpr_workgroup_id_x 1
		.amdhsa_system_sgpr_workgroup_id_y 0
		.amdhsa_system_sgpr_workgroup_id_z 0
		.amdhsa_system_sgpr_workgroup_info 0
		.amdhsa_system_vgpr_workitem_id 1
		.amdhsa_next_free_vgpr 72
		.amdhsa_next_free_sgpr 40
		.amdhsa_accum_offset 72
		.amdhsa_reserve_vcc 1
		.amdhsa_reserve_flat_scratch 0
		.amdhsa_float_round_mode_32 0
		.amdhsa_float_round_mode_16_64 0
		.amdhsa_float_denorm_mode_32 3
		.amdhsa_float_denorm_mode_16_64 3
		.amdhsa_dx10_clamp 1
		.amdhsa_ieee_mode 1
		.amdhsa_fp16_overflow 0
		.amdhsa_tg_split 0
		.amdhsa_exception_fp_ieee_invalid_op 0
		.amdhsa_exception_fp_denorm_src 0
		.amdhsa_exception_fp_ieee_div_zero 0
		.amdhsa_exception_fp_ieee_overflow 0
		.amdhsa_exception_fp_ieee_underflow 0
		.amdhsa_exception_fp_ieee_inexact 0
		.amdhsa_exception_int_div_zero 0
	.end_amdhsa_kernel
	.section	.text._ZN9rocsparseL26bsric0_2_8_unrolled_kernelILi25ELi32ELi5E21rocsparse_complex_numIfEEEv20rocsparse_direction_iiPKiS5_PT2_S5_PiS5_S8_21rocsparse_index_base_,"axG",@progbits,_ZN9rocsparseL26bsric0_2_8_unrolled_kernelILi25ELi32ELi5E21rocsparse_complex_numIfEEEv20rocsparse_direction_iiPKiS5_PT2_S5_PiS5_S8_21rocsparse_index_base_,comdat
.Lfunc_end44:
	.size	_ZN9rocsparseL26bsric0_2_8_unrolled_kernelILi25ELi32ELi5E21rocsparse_complex_numIfEEEv20rocsparse_direction_iiPKiS5_PT2_S5_PiS5_S8_21rocsparse_index_base_, .Lfunc_end44-_ZN9rocsparseL26bsric0_2_8_unrolled_kernelILi25ELi32ELi5E21rocsparse_complex_numIfEEEv20rocsparse_direction_iiPKiS5_PT2_S5_PiS5_S8_21rocsparse_index_base_
                                        ; -- End function
	.section	.AMDGPU.csdata,"",@progbits
; Kernel info:
; codeLenInByte = 10056
; NumSgprs: 44
; NumVgprs: 72
; NumAgprs: 0
; TotalNumVgprs: 72
; ScratchSize: 0
; MemoryBound: 0
; FloatMode: 240
; IeeeMode: 1
; LDSByteSize: 1344 bytes/workgroup (compile time only)
; SGPRBlocks: 5
; VGPRBlocks: 8
; NumSGPRsForWavesPerEU: 44
; NumVGPRsForWavesPerEU: 72
; AccumOffset: 72
; Occupancy: 7
; WaveLimiterHint : 1
; COMPUTE_PGM_RSRC2:SCRATCH_EN: 0
; COMPUTE_PGM_RSRC2:USER_SGPR: 6
; COMPUTE_PGM_RSRC2:TRAP_HANDLER: 0
; COMPUTE_PGM_RSRC2:TGID_X_EN: 1
; COMPUTE_PGM_RSRC2:TGID_Y_EN: 0
; COMPUTE_PGM_RSRC2:TGID_Z_EN: 0
; COMPUTE_PGM_RSRC2:TIDIG_COMP_CNT: 1
; COMPUTE_PGM_RSRC3_GFX90A:ACCUM_OFFSET: 17
; COMPUTE_PGM_RSRC3_GFX90A:TG_SPLIT: 0
	.section	.text._ZN9rocsparseL26bsric0_2_8_unrolled_kernelILi36ELi32ELi6E21rocsparse_complex_numIfEEEv20rocsparse_direction_iiPKiS5_PT2_S5_PiS5_S8_21rocsparse_index_base_,"axG",@progbits,_ZN9rocsparseL26bsric0_2_8_unrolled_kernelILi36ELi32ELi6E21rocsparse_complex_numIfEEEv20rocsparse_direction_iiPKiS5_PT2_S5_PiS5_S8_21rocsparse_index_base_,comdat
	.globl	_ZN9rocsparseL26bsric0_2_8_unrolled_kernelILi36ELi32ELi6E21rocsparse_complex_numIfEEEv20rocsparse_direction_iiPKiS5_PT2_S5_PiS5_S8_21rocsparse_index_base_ ; -- Begin function _ZN9rocsparseL26bsric0_2_8_unrolled_kernelILi36ELi32ELi6E21rocsparse_complex_numIfEEEv20rocsparse_direction_iiPKiS5_PT2_S5_PiS5_S8_21rocsparse_index_base_
	.p2align	8
	.type	_ZN9rocsparseL26bsric0_2_8_unrolled_kernelILi36ELi32ELi6E21rocsparse_complex_numIfEEEv20rocsparse_direction_iiPKiS5_PT2_S5_PiS5_S8_21rocsparse_index_base_,@function
_ZN9rocsparseL26bsric0_2_8_unrolled_kernelILi36ELi32ELi6E21rocsparse_complex_numIfEEEv20rocsparse_direction_iiPKiS5_PT2_S5_PiS5_S8_21rocsparse_index_base_: ; @_ZN9rocsparseL26bsric0_2_8_unrolled_kernelILi36ELi32ELi6E21rocsparse_complex_numIfEEEv20rocsparse_direction_iiPKiS5_PT2_S5_PiS5_S8_21rocsparse_index_base_
; %bb.0:
	s_load_dwordx8 s[8:15], s[4:5], 0x28
	s_mov_b32 s7, 0
	s_lshl_b64 s[0:1], s[6:7], 2
	v_and_b32_e32 v12, 0x3ff, v0
	v_bfe_u32 v13, v0, 10, 10
	s_waitcnt lgkmcnt(0)
	s_add_u32 s0, s12, s0
	s_addc_u32 s1, s13, s1
	s_load_dword s12, s[0:1], 0x0
	s_waitcnt lgkmcnt(0)
	s_ashr_i32 s13, s12, 31
	s_lshl_b64 s[6:7], s[12:13], 2
	s_add_u32 s0, s8, s6
	s_addc_u32 s1, s9, s7
	s_load_dword s30, s[0:1], 0x0
	s_load_dword s13, s[4:5], 0x48
	s_waitcnt lgkmcnt(0)
	s_cmp_lg_u32 s30, -1
	s_cbranch_scc0 .LBB45_71
; %bb.1:
	s_load_dwordx4 s[16:19], s[4:5], 0x10
	s_load_dwordx2 s[20:21], s[4:5], 0x20
	v_mad_u32_u24 v14, v13, 6, v12
	v_mul_u32_u24_e32 v15, 6, v13
	s_waitcnt lgkmcnt(0)
	s_add_u32 s0, s16, s6
	s_addc_u32 s1, s17, s7
	s_load_dword s26, s[0:1], 0x0
	s_waitcnt lgkmcnt(0)
	s_sub_i32 s31, s26, s13
	v_add_u32_e32 v0, s31, v14
	v_cmp_ge_i32_e32 vcc, s30, v0
	s_and_saveexec_b64 s[0:1], vcc
	s_cbranch_execz .LBB45_14
; %bb.2:
	v_add_u32_e32 v1, s26, v12
	v_add_u32_e32 v2, v1, v15
	v_subrev_u32_e32 v2, s13, v2
	v_add_u32_e32 v2, 36, v2
	s_add_i32 s2, s30, 1
	v_max_i32_e32 v2, s2, v2
	v_add_u32_e32 v2, s13, v2
	v_sub_u32_e32 v1, v2, v1
	v_subrev_u32_e32 v1, 36, v1
	v_cmp_ne_u32_e32 vcc, v1, v15
	v_cndmask_b32_e64 v2, 0, 1, vcc
	v_or_b32_e32 v2, v15, v2
	v_sub_u32_e32 v1, v1, v2
	s_mov_b32 s2, 0x38e38e39
	v_mul_hi_u32 v1, v1, s2
	v_lshrrev_b32_e32 v1, 3, v1
	v_addc_co_u32_e32 v16, vcc, 0, v1, vcc
	v_cmp_ne_u32_e32 vcc, 0, v16
	s_mov_b64 s[22:23], -1
	s_and_saveexec_b64 s[2:3], vcc
	s_cbranch_execz .LBB45_11
; %bb.3:
	v_add_u32_e32 v2, -1, v16
	v_add_u32_e32 v1, 36, v0
	v_lshrrev_b32_e32 v2, 1, v2
	v_add_u32_e32 v17, 1, v2
	v_cmp_lt_u32_e32 vcc, 14, v16
	v_pk_mov_b32 v[2:3], v[0:1], v[0:1] op_sel:[0,1]
	s_and_saveexec_b64 s[22:23], vcc
	s_cbranch_execz .LBB45_7
; %bb.4:
	v_and_b32_e32 v18, -8, v17
	s_mov_b64 s[24:25], 0
	v_mov_b32_e32 v19, s19
	v_pk_mov_b32 v[2:3], v[0:1], v[0:1] op_sel:[0,1]
.LBB45_5:                               ; =>This Inner Loop Header: Depth=1
	v_ashrrev_i32_e32 v23, 31, v2
	v_mov_b32_e32 v22, v2
	v_lshlrev_b64 v[22:23], 2, v[22:23]
	v_ashrrev_i32_e32 v21, 31, v3
	v_mov_b32_e32 v20, v3
	v_add_co_u32_e32 v22, vcc, s18, v22
	v_add_u32_e32 v4, 0x48, v2
	v_lshlrev_b64 v[20:21], 2, v[20:21]
	v_addc_co_u32_e32 v23, vcc, v19, v23, vcc
	v_ashrrev_i32_e32 v5, 31, v4
	v_add_co_u32_e32 v20, vcc, s18, v20
	v_add_u32_e32 v6, 0x48, v3
	v_addc_co_u32_e32 v21, vcc, v19, v21, vcc
	v_lshlrev_b64 v[42:43], 2, v[4:5]
	v_ashrrev_i32_e32 v7, 31, v6
	v_add_co_u32_e32 v42, vcc, s18, v42
	v_add_u32_e32 v8, 0x90, v2
	v_lshlrev_b64 v[44:45], 2, v[6:7]
	v_addc_co_u32_e32 v43, vcc, v19, v43, vcc
	v_ashrrev_i32_e32 v9, 31, v8
	v_add_co_u32_e32 v44, vcc, s18, v44
	v_add_u32_e32 v10, 0x90, v3
	v_lshlrev_b64 v[46:47], 2, v[8:9]
	v_addc_co_u32_e32 v45, vcc, v19, v45, vcc
	;; [unrolled: 5-line block ×11, first 2 shown]
	v_ashrrev_i32_e32 v41, 31, v40
	v_add_co_u32_e32 v64, vcc, s18, v64
	v_addc_co_u32_e32 v65, vcc, v19, v65, vcc
	v_lshlrev_b64 v[66:67], 2, v[40:41]
	v_add_u32_e32 v68, 0x1f8, v3
	v_add_co_u32_e32 v66, vcc, s18, v66
	v_ashrrev_i32_e32 v69, 31, v68
	v_addc_co_u32_e32 v67, vcc, v19, v67, vcc
	v_lshlrev_b64 v[70:71], 2, v[68:69]
	v_add_co_u32_e32 v70, vcc, s18, v70
	v_addc_co_u32_e32 v71, vcc, v19, v71, vcc
	global_load_dword v1, v[20:21], off
	global_load_dword v5, v[22:23], off
	;; [unrolled: 1-line block ×15, first 2 shown]
                                        ; kill: killed $vgpr42 killed $vgpr43
                                        ; kill: killed $vgpr64 killed $vgpr65
                                        ; kill: killed $vgpr62 killed $vgpr63
                                        ; kill: killed $vgpr60 killed $vgpr61
                                        ; kill: killed $vgpr20 killed $vgpr21
                                        ; kill: killed $vgpr56 killed $vgpr57
                                        ; kill: killed $vgpr58 killed $vgpr59
                                        ; kill: killed $vgpr22 killed $vgpr23
                                        ; kill: killed $vgpr52 killed $vgpr53
                                        ; kill: killed $vgpr54 killed $vgpr55
                                        ; kill: killed $vgpr48 killed $vgpr49
                                        ; kill: killed $vgpr50 killed $vgpr51
                                        ; kill: killed $vgpr44 killed $vgpr45
                                        ; kill: killed $vgpr46 killed $vgpr47
                                        ; kill: killed $vgpr70 killed $vgpr71
	global_load_dword v20, v[66:67], off
	v_subrev_u32_e32 v22, s31, v2
	v_add_u32_e32 v18, -8, v18
	v_subrev_u32_e32 v21, s31, v3
	v_lshlrev_b32_e32 v22, 2, v22
	v_subrev_u32_e32 v4, s31, v4
	v_cmp_eq_u32_e32 vcc, 0, v18
	v_add_u32_e32 v3, 0x240, v3
	v_add_u32_e32 v2, 0x240, v2
	v_lshlrev_b32_e32 v21, 2, v21
	v_subrev_u32_e32 v6, s31, v6
	v_subrev_u32_e32 v10, s31, v10
	;; [unrolled: 1-line block ×13, first 2 shown]
	v_lshlrev_b32_e32 v4, 2, v4
	s_or_b64 s[24:25], vcc, s[24:25]
	v_lshlrev_b32_e32 v6, 2, v6
	v_lshlrev_b32_e32 v8, 2, v8
	;; [unrolled: 1-line block ×13, first 2 shown]
	s_waitcnt vmcnt(15)
	v_subrev_u32_e32 v1, s13, v1
	s_waitcnt vmcnt(14)
	v_subrev_u32_e32 v5, s13, v5
	ds_write_b32 v22, v5 offset:1600
	ds_write_b32 v21, v1 offset:1600
	s_waitcnt vmcnt(12)
	v_subrev_u32_e32 v5, s13, v9
	v_subrev_u32_e32 v1, s13, v7
	s_waitcnt vmcnt(11)
	v_subrev_u32_e32 v7, s13, v11
	s_waitcnt vmcnt(10)
	;; [unrolled: 2-line block ×12, first 2 shown]
	v_subrev_u32_e32 v20, s13, v20
	ds_write_b32 v4, v5 offset:1600
	ds_write_b32 v6, v1 offset:1600
	;; [unrolled: 1-line block ×14, first 2 shown]
	s_andn2_b64 exec, exec, s[24:25]
	s_cbranch_execnz .LBB45_5
; %bb.6:
	s_or_b64 exec, exec, s[24:25]
.LBB45_7:
	s_or_b64 exec, exec, s[22:23]
	v_and_b32_e32 v1, 7, v17
	v_cmp_ne_u32_e32 vcc, 0, v1
	s_and_saveexec_b64 s[22:23], vcc
	s_cbranch_execz .LBB45_10
; %bb.8:
	v_sub_u32_e32 v1, 0, v1
	s_mov_b64 s[24:25], 0
	v_mov_b32_e32 v4, s19
.LBB45_9:                               ; =>This Inner Loop Header: Depth=1
	v_ashrrev_i32_e32 v9, 31, v2
	v_mov_b32_e32 v8, v2
	v_lshlrev_b64 v[8:9], 2, v[8:9]
	v_ashrrev_i32_e32 v7, 31, v3
	v_mov_b32_e32 v6, v3
	v_add_co_u32_e32 v8, vcc, s18, v8
	v_lshlrev_b64 v[6:7], 2, v[6:7]
	v_addc_co_u32_e32 v9, vcc, v4, v9, vcc
	v_add_co_u32_e32 v6, vcc, s18, v6
	v_addc_co_u32_e32 v7, vcc, v4, v7, vcc
	global_load_dword v5, v[6:7], off
	global_load_dword v10, v[8:9], off
	v_subrev_u32_e32 v7, s31, v2
	v_add_co_u32_e32 v1, vcc, 1, v1
	v_subrev_u32_e32 v6, s31, v3
	v_add_u32_e32 v3, 0x48, v3
	v_add_u32_e32 v2, 0x48, v2
	v_lshlrev_b32_e32 v7, 2, v7
	s_or_b64 s[24:25], vcc, s[24:25]
	v_lshlrev_b32_e32 v6, 2, v6
	s_waitcnt vmcnt(1)
	v_subrev_u32_e32 v5, s13, v5
	s_waitcnt vmcnt(0)
	v_subrev_u32_e32 v8, s13, v10
	ds_write_b32 v7, v8 offset:1600
	ds_write_b32 v6, v5 offset:1600
	s_andn2_b64 exec, exec, s[24:25]
	s_cbranch_execnz .LBB45_9
.LBB45_10:
	s_or_b64 exec, exec, s[22:23]
	v_add_u32_e32 v2, 1, v16
	v_and_b32_e32 v3, 0x1ffffffe, v2
	v_mad_u64_u32 v[0:1], s[22:23], v3, 36, v[0:1]
	v_cmp_ne_u32_e32 vcc, v2, v3
	s_orn2_b64 s[22:23], vcc, exec
.LBB45_11:
	s_or_b64 exec, exec, s[2:3]
	s_and_b64 exec, exec, s[22:23]
	s_cbranch_execz .LBB45_14
; %bb.12:
	v_add_u32_e32 v1, s13, v0
	v_subrev_u32_e32 v1, s26, v1
	v_mov_b32_e32 v2, 0x640
	v_lshl_add_u32 v4, v1, 2, v2
	v_ashrrev_i32_e32 v1, 31, v0
	v_lshlrev_b64 v[2:3], 2, v[0:1]
	v_mov_b32_e32 v1, s19
	v_add_co_u32_e32 v2, vcc, s18, v2
	v_addc_co_u32_e32 v3, vcc, v1, v3, vcc
	s_mov_b64 s[2:3], 0
.LBB45_13:                              ; =>This Inner Loop Header: Depth=1
	global_load_dword v1, v[2:3], off
	v_add_co_u32_e32 v2, vcc, 0x90, v2
	v_add_u32_e32 v0, 36, v0
	v_addc_co_u32_e32 v3, vcc, 0, v3, vcc
	v_cmp_lt_i32_e32 vcc, s30, v0
	s_or_b64 s[2:3], vcc, s[2:3]
	s_waitcnt vmcnt(0)
	v_subrev_u32_e32 v1, s13, v1
	ds_write_b32 v4, v1
	v_add_u32_e32 v4, 0x90, v4
	s_andn2_b64 exec, exec, s[2:3]
	s_cbranch_execnz .LBB45_13
.LBB45_14:
	s_or_b64 exec, exec, s[0:1]
	s_load_dword s33, s[4:5], 0x0
	v_lshlrev_b32_e32 v2, 3, v12
	v_mov_b32_e32 v0, 0
	v_mad_u32_u24 v16, v13, 56, v2
	v_mov_b32_e32 v1, v0
	v_add_u32_e32 v3, 0x3f0, v16
	ds_write_b64 v16, v[0:1] offset:1008
	s_cmp_ge_i32 s31, s30
	v_mad_u32_u24 v1, v12, 6, v13
	s_waitcnt lgkmcnt(0)
	s_cbranch_scc1 .LBB45_64
; %bb.15:
	v_mov_b32_e32 v5, 0x2a0
	v_mov_b32_e32 v6, 0x150
	s_cmp_eq_u32 s33, 0
	v_mad_u32_u24 v18, v13, 56, v5
	v_mad_u32_u24 v20, v13, 56, v6
	;; [unrolled: 1-line block ×3, first 2 shown]
	s_cselect_b64 vcc, -1, 0
	s_cmp_lg_u32 s33, 0
	v_add_u32_e32 v19, v18, v2
	v_add_u32_e32 v21, v20, v2
	v_or_b32_e32 v2, v12, v13
	s_cselect_b64 s[4:5], -1, 0
	v_mul_u32_u24_e32 v17, 6, v12
	v_cmp_ne_u32_e64 s[0:1], 0, v2
	v_mad_u32_u24 v22, v12, 56, v5
	v_cndmask_b32_e32 v2, v4, v14, vcc
	s_mov_b32 s22, s31
	s_branch .LBB45_19
.LBB45_16:                              ;   in Loop: Header=BB45_19 Depth=1
	s_or_b64 exec, exec, s[24:25]
	v_mov_b32_e32 v8, 1.0
	v_mov_b32_e32 v10, 0
.LBB45_17:                              ;   in Loop: Header=BB45_19 Depth=1
	s_or_b64 exec, exec, s[2:3]
	ds_read2_b64 v[24:27], v18 offset0:2 offset1:3
	ds_read2_b64 v[28:31], v18 offset1:1
	ds_read_b64 v[40:41], v18 offset:32
	ds_read_b64 v[42:43], v20 offset:40
	v_mul_f32_e32 v9, v10, v10
	ds_read2_b64 v[32:35], v0 offset0:35 offset1:36
	ds_read2_b64 v[36:39], v0 offset0:37 offset1:38
	v_fmac_f32_e32 v9, v8, v8
	v_div_scale_f32 v11, s[2:3], v9, v9, 1.0
	v_rcp_f32_e32 v23, v11
	s_waitcnt lgkmcnt(1)
	v_pk_fma_f32 v[42:43], v[32:33], v[28:29], v[42:43] op_sel_hi:[1,0,1]
	v_pk_fma_f32 v[28:29], v[32:33], v[28:29], v[42:43] op_sel:[1,1,0] op_sel_hi:[0,1,1] neg_hi:[0,1,0]
	v_pk_fma_f32 v[28:29], v[34:35], v[30:31], v[28:29] op_sel_hi:[1,0,1]
	v_fma_f32 v30, -v11, v23, 1.0
	v_fmac_f32_e32 v23, v30, v23
	v_div_scale_f32 v30, vcc, 1.0, v9, 1.0
	v_mul_f32_e32 v32, v30, v23
	v_fma_f32 v33, -v11, v32, v30
	v_fmac_f32_e32 v32, v33, v23
	v_fma_f32 v11, -v11, v32, v30
	v_mov_b32_e32 v42, v31
	v_div_fmas_f32 v11, v11, v23, v32
	ds_read_b64 v[32:33], v0 offset:312
	v_pk_fma_f32 v[28:29], v[34:35], v[42:43], v[28:29] op_sel:[0,0,1] op_sel_hi:[1,0,0] neg_lo:[0,1,0]
	s_waitcnt lgkmcnt(1)
	v_pk_fma_f32 v[28:29], v[36:37], v[24:25], v[28:29] op_sel:[1,0,0] op_sel_hi:[0,0,1]
	v_pk_fma_f32 v[24:25], v[36:37], v[24:25], v[28:29] op_sel:[0,1,0] neg_lo:[0,1,0]
	v_mov_b32_e32 v28, v39
	v_mov_b32_e32 v29, v38
	v_pk_fma_f32 v[24:25], v[28:29], v[26:27], v[24:25] op_sel_hi:[1,0,1]
	v_mov_b32_e32 v26, v27
	v_pk_fma_f32 v[24:25], v[38:39], v[26:27], v[24:25] op_sel_hi:[1,0,1] neg_lo:[0,1,0]
	s_waitcnt lgkmcnt(0)
	v_pk_fma_f32 v[24:25], v[32:33], v[40:41], v[24:25] op_sel:[1,0,0] op_sel_hi:[0,0,1]
	v_pk_fma_f32 v[24:25], v[32:33], v[40:41], v[24:25] op_sel:[0,1,0] neg_lo:[0,1,0]
	v_mov_b32_e32 v26, v7
	v_mov_b32_e32 v27, v6
	v_pk_add_f32 v[6:7], v[26:27], v[24:25] neg_lo:[0,1] neg_hi:[0,1]
	v_div_fixup_f32 v30, v11, v9, 1.0
	v_pk_mul_f32 v[10:11], v[10:11], v[6:7] op_sel:[0,1] op_sel_hi:[0,0] neg_lo:[0,1]
	v_pk_fma_f32 v[6:7], v[6:7], v[8:9], v[10:11] op_sel_hi:[1,0,1]
	v_pk_mul_f32 v[6:7], v[30:31], v[6:7] op_sel_hi:[0,1]
	v_mov_b32_e32 v8, v7
	v_mov_b32_e32 v9, v6
	ds_write_b64 v18, v[8:9] offset:40
	s_waitcnt lgkmcnt(0)
	ds_read_b64 v[8:9], v22 offset:40
	ds_read_b64 v[10:11], v3
	s_add_i32 s22, s22, 1
	s_cmp_ge_i32 s22, s30
	s_cselect_b64 s[26:27], -1, 0
	s_waitcnt lgkmcnt(0)
	v_pk_fma_f32 v[10:11], v[6:7], v[8:9], v[10:11] op_sel:[1,0,0] op_sel_hi:[0,0,1]
	v_pk_fma_f32 v[6:7], v[6:7], v[8:9], v[10:11] op_sel:[0,1,0] neg_hi:[0,1,0]
	ds_write_b64 v3, v[6:7]
	s_waitcnt lgkmcnt(0)
	ds_read_b64 v[6:7], v19
	s_waitcnt lgkmcnt(0)
	global_store_dwordx2 v[4:5], v[6:7], off
	s_waitcnt vmcnt(0)
	buffer_wbinvl1_vol
.LBB45_18:                              ;   in Loop: Header=BB45_19 Depth=1
	s_and_b64 vcc, exec, s[26:27]
	s_cbranch_vccnz .LBB45_64
.LBB45_19:                              ; =>This Loop Header: Depth=1
                                        ;     Child Loop BB45_22 Depth 2
                                        ;     Child Loop BB45_33 Depth 2
	;; [unrolled: 1-line block ×3, first 2 shown]
	s_ashr_i32 s23, s22, 31
	s_lshl_b64 s[2:3], s[22:23], 2
	s_add_u32 s2, s18, s2
	s_addc_u32 s3, s19, s3
	s_load_dword s23, s[2:3], 0x0
	s_waitcnt lgkmcnt(0)
	s_sub_i32 s24, s23, s13
	s_ashr_i32 s25, s24, 31
	s_lshl_b64 s[2:3], s[24:25], 2
	s_add_u32 s26, s8, s2
	s_addc_u32 s27, s9, s3
	s_load_dword s25, s[26:27], 0x0
	s_mov_b64 s[26:27], -1
	s_waitcnt lgkmcnt(0)
	s_cmp_eq_u32 s25, -1
	s_cbranch_scc1 .LBB45_18
; %bb.20:                               ;   in Loop: Header=BB45_19 Depth=1
	v_mad_u64_u32 v[4:5], s[26:27], s22, 36, v[2:3]
	v_ashrrev_i32_e32 v5, 31, v4
	v_lshlrev_b64 v[4:5], 3, v[4:5]
	v_mov_b32_e32 v6, s21
	v_add_co_u32_e32 v4, vcc, s20, v4
	v_addc_co_u32_e32 v5, vcc, v6, v5, vcc
	global_load_dwordx2 v[6:7], v[4:5], off
	s_add_u32 s26, s16, s2
	s_addc_u32 s27, s17, s3
	s_load_dword s26, s[26:27], 0x0
	ds_read_b32 v8, v0 offset:1600
	s_mov_b32 s27, 0
	s_waitcnt lgkmcnt(0)
	s_sub_i32 s26, s26, s13
	s_cmp_le_i32 s26, s25
	v_cmp_ge_i32_e32 vcc, s24, v8
	s_cselect_b64 s[28:29], -1, 0
	s_and_b64 s[28:29], s[28:29], vcc
	s_andn2_b64 vcc, exec, s[28:29]
	s_waitcnt vmcnt(0)
	ds_write_b64 v19, v[6:7]
	s_cbranch_vccnz .LBB45_32
; %bb.21:                               ;   in Loop: Header=BB45_19 Depth=1
	s_mov_b32 s34, 0
	s_mov_b32 s35, 0
.LBB45_22:                              ;   Parent Loop BB45_19 Depth=1
                                        ; =>  This Inner Loop Header: Depth=2
	s_ashr_i32 s27, s26, 31
	s_lshl_b64 s[28:29], s[26:27], 2
	s_add_u32 s28, s18, s28
	s_addc_u32 s29, s19, s29
	s_load_dword s27, s[28:29], 0x0
	s_lshl_b32 s28, s35, 2
	v_mov_b32_e32 v6, s28
	ds_read_b32 v6, v6 offset:1600
	s_mov_b64 s[28:29], -1
	s_waitcnt lgkmcnt(0)
	s_sub_i32 s39, s27, s13
                                        ; implicit-def: $sgpr27
                                        ; implicit-def: $sgpr38
                                        ; implicit-def: $sgpr37
	v_cmp_ge_i32_e32 vcc, s39, v6
	v_readfirstlane_b32 s36, v6
	s_cbranch_vccz .LBB45_28
; %bb.23:                               ;   in Loop: Header=BB45_22 Depth=2
	s_cmp_le_i32 s39, s36
                                        ; implicit-def: $sgpr27
                                        ; implicit-def: $sgpr38
                                        ; implicit-def: $sgpr37
	s_cbranch_scc0 .LBB45_25
; %bb.24:                               ;   in Loop: Header=BB45_22 Depth=2
	s_add_i32 s27, s35, s31
	s_mul_i32 s27, s27, 36
	s_lshl_b32 s28, s34, 2
	v_mov_b32_e32 v6, s28
	v_mov_b32_e32 v7, s27
	s_mul_i32 s27, s26, 36
	v_mov_b32_e32 v8, s27
	v_add_u32_e32 v6, 0x400, v6
	ds_write2_b32 v6, v8, v7 offset0:80 offset1:112
	s_add_i32 s37, s35, 1
	s_add_i32 s38, s26, 1
	;; [unrolled: 1-line block ×3, first 2 shown]
	s_mov_b64 s[28:29], 0
.LBB45_25:                              ;   in Loop: Header=BB45_22 Depth=2
	s_andn2_b64 vcc, exec, s[28:29]
	s_cbranch_vccnz .LBB45_27
; %bb.26:                               ;   in Loop: Header=BB45_22 Depth=2
	s_add_i32 s37, s35, 1
	s_mov_b32 s27, s34
	s_mov_b32 s38, s26
.LBB45_27:                              ;   in Loop: Header=BB45_22 Depth=2
	s_mov_b64 s[28:29], 0
.LBB45_28:                              ;   in Loop: Header=BB45_22 Depth=2
	s_andn2_b64 vcc, exec, s[28:29]
	s_cbranch_vccnz .LBB45_30
; %bb.29:                               ;   in Loop: Header=BB45_22 Depth=2
	s_add_i32 s38, s26, 1
	s_mov_b32 s37, s35
	s_mov_b32 s27, s34
.LBB45_30:                              ;   in Loop: Header=BB45_22 Depth=2
	s_cmp_le_i32 s38, s25
	s_cselect_b64 s[28:29], -1, 0
	s_cmp_le_i32 s36, s24
	s_cselect_b64 s[34:35], -1, 0
	s_and_b64 s[28:29], s[28:29], s[34:35]
	s_and_b64 vcc, exec, s[28:29]
	s_cbranch_vccz .LBB45_32
; %bb.31:                               ;   in Loop: Header=BB45_22 Depth=2
	s_mov_b32 s34, s27
	s_mov_b32 s26, s38
	;; [unrolled: 1-line block ×3, first 2 shown]
	s_branch .LBB45_22
.LBB45_32:                              ;   in Loop: Header=BB45_19 Depth=1
	s_add_u32 s2, s10, s2
	s_addc_u32 s3, s11, s3
	s_waitcnt lgkmcnt(0)
.LBB45_33:                              ;   Parent Loop BB45_19 Depth=1
                                        ; =>  This Inner Loop Header: Depth=2
	global_load_dword v6, v0, s[2:3] glc
	s_waitcnt vmcnt(0)
	v_cmp_eq_u32_e32 vcc, 0, v6
	s_cbranch_vccnz .LBB45_33
; %bb.34:                               ;   in Loop: Header=BB45_19 Depth=1
	v_mad_u64_u32 v[6:7], s[2:3], s25, 36, v[2:3]
	v_ashrrev_i32_e32 v7, 31, v6
	v_lshlrev_b64 v[6:7], 3, v[6:7]
	v_mov_b32_e32 v8, s21
	v_add_co_u32_e32 v6, vcc, s20, v6
	v_addc_co_u32_e32 v7, vcc, v8, v7, vcc
	buffer_wbinvl1_vol
	global_load_dwordx2 v[6:7], v[6:7], off
	v_mov_b32_e32 v11, 0
	s_cmp_lt_i32 s27, 2
	v_mov_b32_e32 v10, v11
	s_waitcnt vmcnt(0)
	ds_write_b64 v16, v[6:7]
	s_waitcnt lgkmcnt(0)
	s_cbranch_scc1 .LBB45_41
; %bb.35:                               ;   in Loop: Header=BB45_19 Depth=1
	v_mov_b32_e32 v10, 0
	s_add_i32 s24, s27, -1
	s_movk_i32 s25, 0x540
	v_mov_b32_e32 v11, v10
	s_branch .LBB45_37
.LBB45_36:                              ;   in Loop: Header=BB45_37 Depth=2
	s_add_i32 s24, s24, -1
	s_add_i32 s25, s25, 4
	s_cmp_eq_u32 s24, 0
	s_cbranch_scc1 .LBB45_41
.LBB45_37:                              ;   Parent Loop BB45_19 Depth=1
                                        ; =>  This Inner Loop Header: Depth=2
	v_mov_b32_e32 v7, s25
	s_waitcnt lgkmcnt(0)
	ds_read2_b32 v[8:9], v7 offset1:32
	v_mov_b32_e32 v6, v10
	v_mov_b32_e32 v7, v11
	s_and_b64 vcc, exec, s[4:5]
	s_cbranch_vccz .LBB45_39
; %bb.38:                               ;   in Loop: Header=BB45_37 Depth=2
	s_waitcnt lgkmcnt(0)
	v_add_u32_e32 v10, v8, v12
	v_ashrrev_i32_e32 v11, 31, v10
	v_lshlrev_b64 v[24:25], 3, v[10:11]
	v_add_u32_e32 v26, v9, v13
	v_mov_b32_e32 v23, s21
	v_add_co_u32_e32 v24, vcc, s20, v24
	v_ashrrev_i32_e32 v27, 31, v26
	v_addc_co_u32_e32 v25, vcc, v23, v25, vcc
	v_lshlrev_b64 v[28:29], 3, v[26:27]
	v_add_u32_e32 v30, 6, v10
	v_add_co_u32_e32 v28, vcc, s20, v28
	v_ashrrev_i32_e32 v31, 31, v30
	v_addc_co_u32_e32 v29, vcc, v23, v29, vcc
	v_lshlrev_b64 v[30:31], 3, v[30:31]
	v_add_u32_e32 v32, 6, v26
	v_add_co_u32_e32 v30, vcc, s20, v30
	v_ashrrev_i32_e32 v33, 31, v32
	v_addc_co_u32_e32 v31, vcc, v23, v31, vcc
	v_lshlrev_b64 v[32:33], 3, v[32:33]
	v_add_co_u32_e32 v32, vcc, s20, v32
	v_addc_co_u32_e32 v33, vcc, v23, v33, vcc
	global_load_dwordx2 v[34:35], v[32:33], off
	global_load_dwordx2 v[36:37], v[30:31], off
	;; [unrolled: 1-line block ×4, first 2 shown]
	v_add_u32_e32 v24, 12, v10
	v_ashrrev_i32_e32 v25, 31, v24
	v_lshlrev_b64 v[24:25], 3, v[24:25]
	v_add_u32_e32 v28, 12, v26
	v_add_co_u32_e32 v24, vcc, s20, v24
	v_ashrrev_i32_e32 v29, 31, v28
	v_addc_co_u32_e32 v25, vcc, v23, v25, vcc
	v_lshlrev_b64 v[28:29], 3, v[28:29]
	v_add_u32_e32 v30, 18, v10
	v_add_co_u32_e32 v28, vcc, s20, v28
	v_ashrrev_i32_e32 v31, 31, v30
	v_addc_co_u32_e32 v29, vcc, v23, v29, vcc
	;; [unrolled: 5-line block ×7, first 2 shown]
	v_lshlrev_b64 v[26:27], 3, v[26:27]
	global_load_dwordx2 v[46:47], v[32:33], off
	global_load_dwordx2 v[48:49], v[30:31], off
	global_load_dwordx2 v[50:51], v[28:29], off
	global_load_dwordx2 v[52:53], v[24:25], off
	global_load_dwordx2 v[54:55], v[10:11], off
	global_load_dwordx2 v[56:57], v[44:45], off
	global_load_dwordx2 v[58:59], v[42:43], off
	v_add_co_u32_e32 v10, vcc, s20, v26
	v_addc_co_u32_e32 v11, vcc, v23, v27, vcc
	global_load_dwordx2 v[10:11], v[10:11], off
	s_waitcnt vmcnt(8)
	v_pk_fma_f32 v[24:25], v[40:41], v[38:39], v[6:7] op_sel_hi:[1,0,1]
	v_pk_fma_f32 v[24:25], v[40:41], v[38:39], v[24:25] op_sel:[1,1,0] op_sel_hi:[0,1,1] neg_hi:[0,1,0]
	v_pk_fma_f32 v[24:25], v[36:37], v[34:35], v[24:25] op_sel_hi:[1,0,1]
	v_pk_fma_f32 v[24:25], v[36:37], v[34:35], v[24:25] op_sel:[1,1,0] op_sel_hi:[0,1,1] neg_hi:[0,1,0]
	s_waitcnt vmcnt(4)
	v_pk_fma_f32 v[24:25], v[52:53], v[50:51], v[24:25] op_sel_hi:[1,0,1]
	v_pk_fma_f32 v[24:25], v[52:53], v[50:51], v[24:25] op_sel:[1,1,0] op_sel_hi:[0,1,1] neg_hi:[0,1,0]
	v_pk_fma_f32 v[24:25], v[48:49], v[46:47], v[24:25] op_sel_hi:[1,0,1]
	v_pk_fma_f32 v[24:25], v[48:49], v[46:47], v[24:25] op_sel:[1,1,0] op_sel_hi:[0,1,1] neg_hi:[0,1,0]
	s_waitcnt vmcnt(1)
	v_pk_fma_f32 v[24:25], v[58:59], v[56:57], v[24:25] op_sel_hi:[1,0,1]
	v_pk_fma_f32 v[24:25], v[58:59], v[56:57], v[24:25] op_sel:[1,1,0] op_sel_hi:[0,1,1] neg_hi:[0,1,0]
	s_waitcnt vmcnt(0)
	v_pk_fma_f32 v[24:25], v[54:55], v[10:11], v[24:25] op_sel_hi:[1,0,1]
	v_pk_fma_f32 v[10:11], v[54:55], v[10:11], v[24:25] op_sel:[1,1,0] op_sel_hi:[0,1,1] neg_hi:[0,1,0]
	s_cbranch_execnz .LBB45_36
	s_branch .LBB45_40
.LBB45_39:                              ;   in Loop: Header=BB45_37 Depth=2
                                        ; implicit-def: $vgpr11
.LBB45_40:                              ;   in Loop: Header=BB45_37 Depth=2
	s_waitcnt lgkmcnt(0)
	v_add_u32_e32 v10, v8, v17
	v_ashrrev_i32_e32 v11, 31, v10
	v_lshlrev_b64 v[10:11], 3, v[10:11]
	v_add_u32_e32 v8, v9, v15
	v_mov_b32_e32 v23, s21
	v_add_co_u32_e32 v44, vcc, s20, v10
	v_ashrrev_i32_e32 v9, 31, v8
	v_addc_co_u32_e32 v45, vcc, v23, v11, vcc
	v_lshlrev_b64 v[8:9], 3, v[8:9]
	v_add_co_u32_e32 v46, vcc, s20, v8
	v_addc_co_u32_e32 v47, vcc, v23, v9, vcc
	global_load_dwordx4 v[8:11], v[46:47], off
	global_load_dwordx4 v[24:27], v[44:45], off
	global_load_dwordx4 v[28:31], v[44:45], off offset:16
	global_load_dwordx4 v[32:35], v[46:47], off offset:16
	;; [unrolled: 1-line block ×4, first 2 shown]
	s_waitcnt vmcnt(5)
	v_mov_b32_e32 v46, v11
	s_waitcnt vmcnt(4)
	v_pk_fma_f32 v[6:7], v[24:25], v[8:9], v[6:7] op_sel_hi:[1,0,1]
	v_pk_fma_f32 v[6:7], v[24:25], v[8:9], v[6:7] op_sel:[1,1,0] op_sel_hi:[0,1,1] neg_hi:[0,1,0]
	v_mov_b32_e32 v44, v27
	v_mov_b32_e32 v45, v26
	v_pk_fma_f32 v[6:7], v[26:27], v[10:11], v[6:7] op_sel_hi:[1,0,1]
	v_pk_fma_f32 v[6:7], v[44:45], v[46:47], v[6:7] op_sel_hi:[1,0,1] neg_hi:[0,1,0]
	s_waitcnt vmcnt(2)
	v_pk_fma_f32 v[6:7], v[28:29], v[32:33], v[6:7] op_sel_hi:[1,0,1]
	v_pk_fma_f32 v[6:7], v[28:29], v[32:33], v[6:7] op_sel:[1,1,0] op_sel_hi:[0,1,1] neg_hi:[0,1,0]
	v_mov_b32_e32 v48, v31
	v_mov_b32_e32 v49, v30
	;; [unrolled: 1-line block ×3, first 2 shown]
	v_pk_fma_f32 v[6:7], v[30:31], v[34:35], v[6:7] op_sel_hi:[1,0,1]
	v_pk_fma_f32 v[6:7], v[48:49], v[50:51], v[6:7] op_sel_hi:[1,0,1] neg_hi:[0,1,0]
	s_waitcnt vmcnt(0)
	v_pk_fma_f32 v[6:7], v[36:37], v[40:41], v[6:7] op_sel_hi:[1,0,1]
	v_pk_fma_f32 v[6:7], v[36:37], v[40:41], v[6:7] op_sel:[1,1,0] op_sel_hi:[0,1,1] neg_hi:[0,1,0]
	v_mov_b32_e32 v52, v39
	v_mov_b32_e32 v53, v38
	v_pk_fma_f32 v[6:7], v[38:39], v[42:43], v[6:7] op_sel_hi:[1,0,1]
	v_mov_b32_e32 v8, v43
	v_pk_fma_f32 v[10:11], v[52:53], v[8:9], v[6:7] op_sel_hi:[1,0,1] neg_hi:[0,1,0]
	s_branch .LBB45_36
.LBB45_41:                              ;   in Loop: Header=BB45_19 Depth=1
	ds_write_b64 v21, v[10:11]
	s_waitcnt lgkmcnt(0)
	ds_read_b64 v[8:9], v0
	ds_read_b64 v[6:7], v18
	s_waitcnt lgkmcnt(1)
	v_cmp_neq_f32_e32 vcc, 0, v8
	v_cmp_neq_f32_e64 s[2:3], 0, v9
	s_or_b64 vcc, vcc, s[2:3]
	s_or_b64 s[2:3], vcc, s[0:1]
	v_cndmask_b32_e32 v8, 1.0, v8, vcc
	s_xor_b64 s[24:25], s[2:3], -1
	v_cndmask_b32_e32 v10, 0, v9, vcc
	s_and_saveexec_b64 s[2:3], s[24:25]
	s_cbranch_execz .LBB45_45
; %bb.42:                               ;   in Loop: Header=BB45_19 Depth=1
	v_mbcnt_lo_u32_b32 v8, exec_lo, 0
	v_mbcnt_hi_u32_b32 v8, exec_hi, v8
	v_cmp_eq_u32_e32 vcc, 0, v8
	s_and_saveexec_b64 s[24:25], vcc
	s_cbranch_execz .LBB45_44
; %bb.43:                               ;   in Loop: Header=BB45_19 Depth=1
	v_mov_b32_e32 v8, s23
	global_atomic_smin v0, v8, s[14:15]
.LBB45_44:                              ;   in Loop: Header=BB45_19 Depth=1
	s_or_b64 exec, exec, s[24:25]
	v_mov_b32_e32 v8, 1.0
	v_mov_b32_e32 v10, 0
.LBB45_45:                              ;   in Loop: Header=BB45_19 Depth=1
	s_or_b64 exec, exec, s[2:3]
	v_mul_f32_e32 v9, v10, v10
	v_fmac_f32_e32 v9, v8, v8
	v_div_scale_f32 v11, s[2:3], v9, v9, 1.0
	v_rcp_f32_e32 v23, v11
	v_div_scale_f32 v24, vcc, 1.0, v9, 1.0
	s_waitcnt lgkmcnt(0)
	v_mov_b32_e32 v28, v7
	v_fma_f32 v25, -v11, v23, 1.0
	v_fmac_f32_e32 v23, v25, v23
	v_mul_f32_e32 v26, v24, v23
	v_fma_f32 v25, -v11, v26, v24
	v_fmac_f32_e32 v26, v25, v23
	v_fma_f32 v11, -v11, v26, v24
	ds_read_b64 v[24:25], v20
	v_mov_b32_e32 v29, v6
	v_div_fmas_f32 v11, v11, v23, v26
	v_div_fixup_f32 v26, v11, v9, 1.0
	s_waitcnt lgkmcnt(0)
	v_pk_add_f32 v[6:7], v[28:29], v[24:25] op_sel:[0,1] op_sel_hi:[1,0] neg_lo:[0,1] neg_hi:[0,1]
	v_pk_mul_f32 v[10:11], v[10:11], v[6:7] op_sel:[0,1] op_sel_hi:[0,0] neg_lo:[0,1]
	v_pk_fma_f32 v[6:7], v[6:7], v[8:9], v[10:11] op_sel_hi:[1,0,1]
	v_pk_mul_f32 v[6:7], v[26:27], v[6:7] op_sel_hi:[0,1]
	v_mov_b32_e32 v8, v7
	v_mov_b32_e32 v9, v6
	ds_write_b64 v18, v[8:9]
	s_waitcnt lgkmcnt(0)
	ds_read_b64 v[8:9], v22
	ds_read_b64 v[10:11], v3
	s_waitcnt lgkmcnt(0)
	v_pk_fma_f32 v[10:11], v[6:7], v[8:9], v[10:11] op_sel:[1,0,0] op_sel_hi:[0,0,1]
	v_pk_fma_f32 v[6:7], v[6:7], v[8:9], v[10:11] op_sel:[0,1,0] neg_hi:[0,1,0]
	ds_write_b64 v3, v[6:7]
	s_waitcnt lgkmcnt(0)
	ds_read_b64 v[8:9], v0 offset:64
	ds_read_b64 v[6:7], v18 offset:8
	s_waitcnt lgkmcnt(1)
	v_cmp_neq_f32_e32 vcc, 0, v8
	v_cmp_neq_f32_e64 s[2:3], 0, v9
	s_or_b64 vcc, vcc, s[2:3]
	s_or_b64 s[2:3], vcc, s[0:1]
	v_cndmask_b32_e32 v8, 1.0, v8, vcc
	s_xor_b64 s[24:25], s[2:3], -1
	v_cndmask_b32_e32 v10, 0, v9, vcc
	s_and_saveexec_b64 s[2:3], s[24:25]
	s_cbranch_execz .LBB45_49
; %bb.46:                               ;   in Loop: Header=BB45_19 Depth=1
	v_mbcnt_lo_u32_b32 v8, exec_lo, 0
	v_mbcnt_hi_u32_b32 v8, exec_hi, v8
	v_cmp_eq_u32_e32 vcc, 0, v8
	s_and_saveexec_b64 s[24:25], vcc
	s_cbranch_execz .LBB45_48
; %bb.47:                               ;   in Loop: Header=BB45_19 Depth=1
	v_mov_b32_e32 v8, s23
	global_atomic_smin v0, v8, s[14:15]
.LBB45_48:                              ;   in Loop: Header=BB45_19 Depth=1
	s_or_b64 exec, exec, s[24:25]
	v_mov_b32_e32 v8, 1.0
	v_mov_b32_e32 v10, 0
.LBB45_49:                              ;   in Loop: Header=BB45_19 Depth=1
	s_or_b64 exec, exec, s[2:3]
	v_mul_f32_e32 v9, v10, v10
	v_fmac_f32_e32 v9, v8, v8
	v_div_scale_f32 v11, s[2:3], v9, v9, 1.0
	v_rcp_f32_e32 v23, v11
	v_div_scale_f32 v30, vcc, 1.0, v9, 1.0
	ds_read_b64 v[24:25], v18
	v_fma_f32 v26, -v11, v23, 1.0
	v_fmac_f32_e32 v23, v26, v23
	v_mul_f32_e32 v31, v30, v23
	v_fma_f32 v26, -v11, v31, v30
	v_fmac_f32_e32 v31, v26, v23
	ds_read_b64 v[26:27], v0 offset:56
	ds_read_b64 v[28:29], v20 offset:8
	v_fma_f32 v11, -v11, v31, v30
	v_div_fmas_f32 v11, v11, v23, v31
	v_div_fixup_f32 v30, v11, v9, 1.0
	s_waitcnt lgkmcnt(0)
	v_pk_fma_f32 v[28:29], v[26:27], v[24:25], v[28:29] op_sel_hi:[1,0,1]
	v_pk_fma_f32 v[24:25], v[26:27], v[24:25], v[28:29] op_sel:[0,1,1] op_sel_hi:[1,1,0] neg_lo:[0,1,0]
	v_mov_b32_e32 v26, v7
	v_mov_b32_e32 v27, v6
	v_pk_add_f32 v[6:7], v[26:27], v[24:25] neg_lo:[0,1] neg_hi:[0,1]
	v_pk_mul_f32 v[10:11], v[10:11], v[6:7] op_sel:[0,1] op_sel_hi:[0,0] neg_lo:[0,1]
	v_pk_fma_f32 v[6:7], v[6:7], v[8:9], v[10:11] op_sel_hi:[1,0,1]
	v_pk_mul_f32 v[6:7], v[30:31], v[6:7] op_sel_hi:[0,1]
	v_mov_b32_e32 v8, v7
	v_mov_b32_e32 v9, v6
	ds_write_b64 v18, v[8:9] offset:8
	s_waitcnt lgkmcnt(0)
	ds_read_b64 v[8:9], v22 offset:8
	ds_read_b64 v[10:11], v3
	s_waitcnt lgkmcnt(0)
	v_pk_fma_f32 v[10:11], v[6:7], v[8:9], v[10:11] op_sel:[1,0,0] op_sel_hi:[0,0,1]
	v_pk_fma_f32 v[6:7], v[6:7], v[8:9], v[10:11] op_sel:[0,1,0] neg_hi:[0,1,0]
	ds_write_b64 v3, v[6:7]
	s_waitcnt lgkmcnt(0)
	ds_read_b64 v[8:9], v0 offset:128
	ds_read_b64 v[6:7], v18 offset:16
	s_waitcnt lgkmcnt(1)
	v_cmp_neq_f32_e32 vcc, 0, v8
	v_cmp_neq_f32_e64 s[2:3], 0, v9
	s_or_b64 vcc, vcc, s[2:3]
	s_or_b64 s[2:3], vcc, s[0:1]
	v_cndmask_b32_e32 v8, 1.0, v8, vcc
	s_xor_b64 s[24:25], s[2:3], -1
	v_cndmask_b32_e32 v10, 0, v9, vcc
	s_and_saveexec_b64 s[2:3], s[24:25]
	s_cbranch_execz .LBB45_53
; %bb.50:                               ;   in Loop: Header=BB45_19 Depth=1
	v_mbcnt_lo_u32_b32 v8, exec_lo, 0
	v_mbcnt_hi_u32_b32 v8, exec_hi, v8
	v_cmp_eq_u32_e32 vcc, 0, v8
	s_and_saveexec_b64 s[24:25], vcc
	s_cbranch_execz .LBB45_52
; %bb.51:                               ;   in Loop: Header=BB45_19 Depth=1
	v_mov_b32_e32 v8, s23
	global_atomic_smin v0, v8, s[14:15]
.LBB45_52:                              ;   in Loop: Header=BB45_19 Depth=1
	s_or_b64 exec, exec, s[24:25]
	v_mov_b32_e32 v8, 1.0
	v_mov_b32_e32 v10, 0
.LBB45_53:                              ;   in Loop: Header=BB45_19 Depth=1
	s_or_b64 exec, exec, s[2:3]
	v_mul_f32_e32 v9, v10, v10
	v_fmac_f32_e32 v9, v8, v8
	v_div_scale_f32 v11, s[2:3], v9, v9, 1.0
	v_rcp_f32_e32 v23, v11
	v_div_scale_f32 v34, vcc, 1.0, v9, 1.0
	v_fma_f32 v24, -v11, v23, 1.0
	v_fmac_f32_e32 v23, v24, v23
	v_mul_f32_e32 v35, v34, v23
	v_fma_f32 v24, -v11, v35, v34
	v_fmac_f32_e32 v35, v24, v23
	ds_read_b128 v[24:27], v0 offset:112
	ds_read2_b64 v[28:31], v18 offset1:1
	ds_read_b64 v[32:33], v20 offset:16
	v_fma_f32 v11, -v11, v35, v34
	v_div_fmas_f32 v11, v11, v23, v35
	v_div_fixup_f32 v34, v11, v9, 1.0
	s_waitcnt lgkmcnt(0)
	v_pk_fma_f32 v[32:33], v[24:25], v[28:29], v[32:33] op_sel_hi:[1,0,1]
	v_pk_fma_f32 v[24:25], v[24:25], v[28:29], v[32:33] op_sel:[0,1,1] op_sel_hi:[1,1,0] neg_lo:[0,1,0]
	v_mov_b32_e32 v28, v27
	v_mov_b32_e32 v29, v26
	v_pk_fma_f32 v[24:25], v[28:29], v[30:31], v[24:25] op_sel_hi:[1,0,1]
	v_mov_b32_e32 v28, v31
	v_pk_fma_f32 v[24:25], v[26:27], v[28:29], v[24:25] op_sel_hi:[1,0,1] neg_lo:[0,1,0]
	v_mov_b32_e32 v26, v7
	v_mov_b32_e32 v27, v6
	v_pk_add_f32 v[6:7], v[26:27], v[24:25] neg_lo:[0,1] neg_hi:[0,1]
	v_pk_mul_f32 v[10:11], v[10:11], v[6:7] op_sel:[0,1] op_sel_hi:[0,0] neg_lo:[0,1]
	v_pk_fma_f32 v[6:7], v[6:7], v[8:9], v[10:11] op_sel_hi:[1,0,1]
	v_pk_mul_f32 v[6:7], v[34:35], v[6:7] op_sel_hi:[0,1]
	v_mov_b32_e32 v8, v7
	v_mov_b32_e32 v9, v6
	ds_write_b64 v18, v[8:9] offset:16
	s_waitcnt lgkmcnt(0)
	ds_read_b64 v[8:9], v22 offset:16
	ds_read_b64 v[10:11], v3
	s_waitcnt lgkmcnt(0)
	v_pk_fma_f32 v[10:11], v[6:7], v[8:9], v[10:11] op_sel:[1,0,0] op_sel_hi:[0,0,1]
	v_pk_fma_f32 v[6:7], v[6:7], v[8:9], v[10:11] op_sel:[0,1,0] neg_hi:[0,1,0]
	ds_write_b64 v3, v[6:7]
	s_waitcnt lgkmcnt(0)
	ds_read_b64 v[8:9], v0 offset:192
	ds_read_b64 v[6:7], v18 offset:24
	s_waitcnt lgkmcnt(1)
	v_cmp_neq_f32_e32 vcc, 0, v8
	v_cmp_neq_f32_e64 s[2:3], 0, v9
	s_or_b64 vcc, vcc, s[2:3]
	s_or_b64 s[2:3], vcc, s[0:1]
	v_cndmask_b32_e32 v8, 1.0, v8, vcc
	s_xor_b64 s[24:25], s[2:3], -1
	v_cndmask_b32_e32 v10, 0, v9, vcc
	s_and_saveexec_b64 s[2:3], s[24:25]
	s_cbranch_execz .LBB45_57
; %bb.54:                               ;   in Loop: Header=BB45_19 Depth=1
	v_mbcnt_lo_u32_b32 v8, exec_lo, 0
	v_mbcnt_hi_u32_b32 v8, exec_hi, v8
	v_cmp_eq_u32_e32 vcc, 0, v8
	s_and_saveexec_b64 s[24:25], vcc
	s_cbranch_execz .LBB45_56
; %bb.55:                               ;   in Loop: Header=BB45_19 Depth=1
	v_mov_b32_e32 v8, s23
	global_atomic_smin v0, v8, s[14:15]
.LBB45_56:                              ;   in Loop: Header=BB45_19 Depth=1
	s_or_b64 exec, exec, s[24:25]
	v_mov_b32_e32 v8, 1.0
	v_mov_b32_e32 v10, 0
.LBB45_57:                              ;   in Loop: Header=BB45_19 Depth=1
	s_or_b64 exec, exec, s[2:3]
	v_mul_f32_e32 v9, v10, v10
	v_fmac_f32_e32 v9, v8, v8
	v_div_scale_f32 v11, s[2:3], v9, v9, 1.0
	v_rcp_f32_e32 v23, v11
	ds_read_b64 v[32:33], v18 offset:16
	ds_read2_b64 v[24:27], v18 offset1:1
	v_fma_f32 v28, -v11, v23, 1.0
	v_fmac_f32_e32 v23, v28, v23
	v_div_scale_f32 v28, vcc, 1.0, v9, 1.0
	v_mul_f32_e32 v36, v28, v23
	v_fma_f32 v29, -v11, v36, v28
	v_fmac_f32_e32 v36, v29, v23
	v_fma_f32 v11, -v11, v36, v28
	ds_read2_b64 v[28:31], v0 offset0:21 offset1:22
	ds_read_b64 v[34:35], v20 offset:24
	ds_read_b64 v[38:39], v0 offset:184
	v_div_fmas_f32 v11, v11, v23, v36
	v_div_fixup_f32 v36, v11, v9, 1.0
	s_waitcnt lgkmcnt(1)
	v_pk_fma_f32 v[34:35], v[28:29], v[24:25], v[34:35] op_sel_hi:[1,0,1]
	v_pk_fma_f32 v[24:25], v[28:29], v[24:25], v[34:35] op_sel:[0,1,1] op_sel_hi:[1,1,0] neg_lo:[0,1,0]
	v_mov_b32_e32 v28, v31
	v_mov_b32_e32 v29, v30
	v_pk_fma_f32 v[24:25], v[28:29], v[26:27], v[24:25] op_sel_hi:[1,0,1]
	v_mov_b32_e32 v26, v27
	v_pk_fma_f32 v[24:25], v[30:31], v[26:27], v[24:25] op_sel_hi:[1,0,1] neg_lo:[0,1,0]
	s_waitcnt lgkmcnt(0)
	v_pk_fma_f32 v[24:25], v[38:39], v[32:33], v[24:25] op_sel:[1,0,0] op_sel_hi:[0,0,1]
	v_pk_fma_f32 v[24:25], v[38:39], v[32:33], v[24:25] op_sel:[0,1,0] neg_lo:[0,1,0]
	v_mov_b32_e32 v26, v7
	v_mov_b32_e32 v27, v6
	v_pk_add_f32 v[6:7], v[26:27], v[24:25] neg_lo:[0,1] neg_hi:[0,1]
	v_pk_mul_f32 v[10:11], v[10:11], v[6:7] op_sel:[0,1] op_sel_hi:[0,0] neg_lo:[0,1]
	v_pk_fma_f32 v[6:7], v[6:7], v[8:9], v[10:11] op_sel_hi:[1,0,1]
	v_pk_mul_f32 v[6:7], v[36:37], v[6:7] op_sel_hi:[0,1]
	v_mov_b32_e32 v8, v7
	v_mov_b32_e32 v9, v6
	ds_write_b64 v18, v[8:9] offset:24
	s_waitcnt lgkmcnt(0)
	ds_read_b64 v[8:9], v22 offset:24
	ds_read_b64 v[10:11], v3
	s_waitcnt lgkmcnt(0)
	v_pk_fma_f32 v[10:11], v[6:7], v[8:9], v[10:11] op_sel:[1,0,0] op_sel_hi:[0,0,1]
	v_pk_fma_f32 v[6:7], v[6:7], v[8:9], v[10:11] op_sel:[0,1,0] neg_hi:[0,1,0]
	ds_write_b64 v3, v[6:7]
	s_waitcnt lgkmcnt(0)
	ds_read_b64 v[8:9], v0 offset:256
	ds_read_b64 v[6:7], v18 offset:32
	s_waitcnt lgkmcnt(1)
	v_cmp_neq_f32_e32 vcc, 0, v8
	v_cmp_neq_f32_e64 s[2:3], 0, v9
	s_or_b64 vcc, vcc, s[2:3]
	s_or_b64 s[2:3], vcc, s[0:1]
	v_cndmask_b32_e32 v8, 1.0, v8, vcc
	s_xor_b64 s[24:25], s[2:3], -1
	v_cndmask_b32_e32 v10, 0, v9, vcc
	s_and_saveexec_b64 s[2:3], s[24:25]
	s_cbranch_execz .LBB45_61
; %bb.58:                               ;   in Loop: Header=BB45_19 Depth=1
	v_mbcnt_lo_u32_b32 v8, exec_lo, 0
	v_mbcnt_hi_u32_b32 v8, exec_hi, v8
	v_cmp_eq_u32_e32 vcc, 0, v8
	s_and_saveexec_b64 s[24:25], vcc
	s_cbranch_execz .LBB45_60
; %bb.59:                               ;   in Loop: Header=BB45_19 Depth=1
	v_mov_b32_e32 v8, s23
	global_atomic_smin v0, v8, s[14:15]
.LBB45_60:                              ;   in Loop: Header=BB45_19 Depth=1
	s_or_b64 exec, exec, s[24:25]
	v_mov_b32_e32 v8, 1.0
	v_mov_b32_e32 v10, 0
.LBB45_61:                              ;   in Loop: Header=BB45_19 Depth=1
	s_or_b64 exec, exec, s[2:3]
	ds_read2_b64 v[24:27], v18 offset1:1
	ds_read_b128 v[28:31], v0 offset:224
	ds_read_b64 v[40:41], v20 offset:32
	v_mul_f32_e32 v9, v10, v10
	v_fmac_f32_e32 v9, v8, v8
	v_div_scale_f32 v11, s[2:3], v9, v9, 1.0
	v_rcp_f32_e32 v23, v11
	ds_read2_b64 v[32:35], v18 offset0:2 offset1:3
	ds_read_b128 v[36:39], v0 offset:240
	s_waitcnt lgkmcnt(2)
	v_pk_fma_f32 v[40:41], v[28:29], v[24:25], v[40:41] op_sel_hi:[1,0,1]
	v_pk_fma_f32 v[24:25], v[28:29], v[24:25], v[40:41] op_sel:[0,1,1] op_sel_hi:[1,1,0] neg_lo:[0,1,0]
	v_mov_b32_e32 v28, v31
	v_mov_b32_e32 v29, v30
	v_fma_f32 v42, -v11, v23, 1.0
	v_pk_fma_f32 v[24:25], v[28:29], v[26:27], v[24:25] op_sel_hi:[1,0,1]
	v_mov_b32_e32 v26, v27
	v_fmac_f32_e32 v23, v42, v23
	v_div_scale_f32 v42, vcc, 1.0, v9, 1.0
	v_pk_fma_f32 v[24:25], v[30:31], v[26:27], v[24:25] op_sel_hi:[1,0,1] neg_lo:[0,1,0]
	v_mul_f32_e32 v43, v42, v23
	s_waitcnt lgkmcnt(0)
	v_pk_fma_f32 v[24:25], v[36:37], v[32:33], v[24:25] op_sel:[1,0,0] op_sel_hi:[0,0,1]
	v_fma_f32 v44, -v11, v43, v42
	v_pk_fma_f32 v[24:25], v[36:37], v[32:33], v[24:25] op_sel:[0,1,0] neg_lo:[0,1,0]
	v_mov_b32_e32 v26, v39
	v_mov_b32_e32 v27, v38
	v_fmac_f32_e32 v43, v44, v23
	v_pk_fma_f32 v[24:25], v[26:27], v[34:35], v[24:25] op_sel_hi:[1,0,1]
	v_mov_b32_e32 v26, v35
	v_fma_f32 v11, -v11, v43, v42
	v_pk_fma_f32 v[24:25], v[38:39], v[26:27], v[24:25] op_sel_hi:[1,0,1] neg_lo:[0,1,0]
	v_mov_b32_e32 v26, v7
	v_mov_b32_e32 v27, v6
	v_div_fmas_f32 v11, v11, v23, v43
	v_pk_add_f32 v[6:7], v[26:27], v[24:25] neg_lo:[0,1] neg_hi:[0,1]
	v_div_fixup_f32 v42, v11, v9, 1.0
	v_pk_mul_f32 v[10:11], v[10:11], v[6:7] op_sel:[0,1] op_sel_hi:[0,0] neg_lo:[0,1]
	v_pk_fma_f32 v[6:7], v[6:7], v[8:9], v[10:11] op_sel_hi:[1,0,1]
	v_pk_mul_f32 v[6:7], v[42:43], v[6:7] op_sel_hi:[0,1]
	v_mov_b32_e32 v8, v7
	v_mov_b32_e32 v9, v6
	ds_write_b64 v18, v[8:9] offset:32
	s_waitcnt lgkmcnt(0)
	ds_read_b64 v[8:9], v22 offset:32
	ds_read_b64 v[10:11], v3
	s_waitcnt lgkmcnt(0)
	v_pk_fma_f32 v[10:11], v[6:7], v[8:9], v[10:11] op_sel:[1,0,0] op_sel_hi:[0,0,1]
	v_pk_fma_f32 v[6:7], v[6:7], v[8:9], v[10:11] op_sel:[0,1,0] neg_hi:[0,1,0]
	ds_write_b64 v3, v[6:7]
	s_waitcnt lgkmcnt(0)
	ds_read_b64 v[8:9], v0 offset:320
	ds_read_b64 v[6:7], v18 offset:40
	s_waitcnt lgkmcnt(1)
	v_cmp_neq_f32_e32 vcc, 0, v8
	v_cmp_neq_f32_e64 s[2:3], 0, v9
	s_or_b64 vcc, vcc, s[2:3]
	s_or_b64 s[2:3], vcc, s[0:1]
	v_cndmask_b32_e32 v8, 1.0, v8, vcc
	s_xor_b64 s[24:25], s[2:3], -1
	v_cndmask_b32_e32 v10, 0, v9, vcc
	s_and_saveexec_b64 s[2:3], s[24:25]
	s_cbranch_execz .LBB45_17
; %bb.62:                               ;   in Loop: Header=BB45_19 Depth=1
	v_mbcnt_lo_u32_b32 v8, exec_lo, 0
	v_mbcnt_hi_u32_b32 v8, exec_hi, v8
	v_cmp_eq_u32_e32 vcc, 0, v8
	s_and_saveexec_b64 s[24:25], vcc
	s_cbranch_execz .LBB45_16
; %bb.63:                               ;   in Loop: Header=BB45_19 Depth=1
	v_mov_b32_e32 v8, s23
	global_atomic_smin v0, v8, s[14:15]
	s_branch .LBB45_16
.LBB45_64:
	s_cmp_lg_u32 s33, 0
	s_cselect_b64 s[8:9], -1, 0
	s_cmp_eq_u32 s33, 0
	v_mov_b32_e32 v0, v14
	s_cbranch_scc1 .LBB45_66
; %bb.65:
	v_mad_u32_u24 v0, v12, 6, v13
.LBB45_66:
	s_mul_i32 s30, s30, 36
	v_add_u32_e32 v4, s30, v0
	v_ashrrev_i32_e32 v5, 31, v4
	v_lshlrev_b64 v[4:5], 3, v[4:5]
	v_mov_b32_e32 v0, s21
	v_add_co_u32_e32 v4, vcc, s20, v4
	v_addc_co_u32_e32 v5, vcc, v0, v5, vcc
	global_load_dwordx2 v[4:5], v[4:5], off
	v_cmp_ne_u32_e64 s[2:3], 0, v13
	v_cmp_eq_u32_e32 vcc, 0, v13
	s_waitcnt vmcnt(0)
	ds_write_b64 v16, v[4:5] offset:672
	s_waitcnt lgkmcnt(0)
	s_and_saveexec_b64 s[4:5], vcc
	s_cbranch_execz .LBB45_75
; %bb.67:
	v_mov_b32_e32 v4, 0
	ds_read2_b64 v[6:9], v4 offset0:84 offset1:126
	s_waitcnt lgkmcnt(0)
	v_sub_f32_e32 v0, v6, v8
	v_sub_f32_e32 v5, v7, v9
	v_cmp_gt_f32_e32 vcc, 0, v0
	v_cndmask_b32_e64 v0, v0, -v0, vcc
	v_cmp_gt_f32_e32 vcc, 0, v5
	v_cndmask_b32_e64 v2, v5, -v5, vcc
	v_cmp_ngt_f32_e32 vcc, v0, v2
	s_cbranch_vccz .LBB45_72
; %bb.68:
	v_cmp_eq_f32_e32 vcc, 0, v5
	s_cbranch_vccnz .LBB45_70
; %bb.69:
	v_div_scale_f32 v4, s[0:1], v2, v2, v0
	v_rcp_f32_e32 v5, v4
	v_div_scale_f32 v6, vcc, v0, v2, v0
	s_mov_b32 s0, 0xf800000
	v_fma_f32 v7, -v4, v5, 1.0
	v_fmac_f32_e32 v5, v7, v5
	v_mul_f32_e32 v7, v6, v5
	v_fma_f32 v8, -v4, v7, v6
	v_fmac_f32_e32 v7, v8, v5
	v_fma_f32 v4, -v4, v7, v6
	v_div_fmas_f32 v4, v4, v5, v7
	v_div_fixup_f32 v4, v4, v2, v0
	v_fma_f32 v4, v4, v4, 1.0
	v_mul_f32_e32 v5, 0x4f800000, v4
	v_cmp_gt_f32_e32 vcc, s0, v4
	v_cndmask_b32_e32 v4, v4, v5, vcc
	v_sqrt_f32_e32 v5, v4
	v_add_u32_e32 v6, -1, v5
	v_fma_f32 v7, -v6, v5, v4
	v_cmp_ge_f32_e64 s[0:1], 0, v7
	v_add_u32_e32 v7, 1, v5
	v_cndmask_b32_e64 v6, v5, v6, s[0:1]
	v_fma_f32 v5, -v7, v5, v4
	v_cmp_lt_f32_e64 s[0:1], 0, v5
	v_cndmask_b32_e64 v5, v6, v7, s[0:1]
	v_mul_f32_e32 v6, 0x37800000, v5
	v_cndmask_b32_e32 v5, v5, v6, vcc
	v_mov_b32_e32 v6, 0x260
	v_cmp_class_f32_e32 vcc, v4, v6
	v_cndmask_b32_e32 v4, v5, v4, vcc
	v_mul_f32_e32 v4, v2, v4
.LBB45_70:
	s_cbranch_execz .LBB45_73
	s_branch .LBB45_74
.LBB45_71:
	s_mov_b64 s[0:1], 0
	s_cbranch_execnz .LBB45_150
	s_branch .LBB45_155
.LBB45_72:
                                        ; implicit-def: $vgpr4
.LBB45_73:
	v_div_scale_f32 v4, s[0:1], v0, v0, v2
	v_rcp_f32_e32 v5, v4
	v_div_scale_f32 v6, vcc, v2, v0, v2
	s_mov_b32 s0, 0xf800000
	v_fma_f32 v7, -v4, v5, 1.0
	v_fmac_f32_e32 v5, v7, v5
	v_mul_f32_e32 v7, v6, v5
	v_fma_f32 v8, -v4, v7, v6
	v_fmac_f32_e32 v7, v8, v5
	v_fma_f32 v4, -v4, v7, v6
	v_div_fmas_f32 v4, v4, v5, v7
	v_div_fixup_f32 v2, v4, v0, v2
	v_fma_f32 v2, v2, v2, 1.0
	v_mul_f32_e32 v4, 0x4f800000, v2
	v_cmp_gt_f32_e32 vcc, s0, v2
	v_cndmask_b32_e32 v2, v2, v4, vcc
	v_sqrt_f32_e32 v4, v2
	v_add_u32_e32 v5, -1, v4
	v_fma_f32 v6, -v5, v4, v2
	v_cmp_ge_f32_e64 s[0:1], 0, v6
	v_add_u32_e32 v6, 1, v4
	v_cndmask_b32_e64 v5, v4, v5, s[0:1]
	v_fma_f32 v4, -v6, v4, v2
	v_cmp_lt_f32_e64 s[0:1], 0, v4
	v_cndmask_b32_e64 v4, v5, v6, s[0:1]
	v_mul_f32_e32 v5, 0x37800000, v4
	v_cndmask_b32_e32 v4, v4, v5, vcc
	v_mov_b32_e32 v5, 0x260
	v_cmp_class_f32_e32 vcc, v2, v5
	v_cndmask_b32_e32 v2, v4, v2, vcc
	v_mul_f32_e32 v4, v0, v2
.LBB45_74:
	s_mov_b32 s0, 0xf800000
	v_mul_f32_e32 v0, 0x4f800000, v4
	v_cmp_gt_f32_e32 vcc, s0, v4
	v_cndmask_b32_e32 v0, v4, v0, vcc
	v_sqrt_f32_e32 v2, v0
	v_add_u32_e32 v4, -1, v2
	v_fma_f32 v5, -v4, v2, v0
	v_cmp_ge_f32_e64 s[0:1], 0, v5
	v_add_u32_e32 v5, 1, v2
	v_cndmask_b32_e64 v4, v2, v4, s[0:1]
	v_fma_f32 v2, -v5, v2, v0
	v_cmp_lt_f32_e64 s[0:1], 0, v2
	v_cndmask_b32_e64 v2, v4, v5, s[0:1]
	v_mul_f32_e32 v4, 0x37800000, v2
	v_cndmask_b32_e32 v2, v2, v4, vcc
	v_mov_b32_e32 v4, 0x260
	v_cmp_class_f32_e32 vcc, v0, v4
	v_cndmask_b32_e32 v4, v2, v0, vcc
	v_mov_b32_e32 v5, 0
	ds_write_b64 v5, v[4:5] offset:672
.LBB45_75:
	s_or_b64 exec, exec, s[4:5]
	v_mov_b32_e32 v0, 0
	s_waitcnt lgkmcnt(0)
	ds_read_b64 v[6:7], v0 offset:672
	v_or_b32_e32 v5, v12, v13
	v_cmp_ne_u32_e64 s[0:1], 0, v5
	v_add_u32_e32 v4, 0x2a0, v16
	s_add_i32 s18, s12, s13
	s_waitcnt lgkmcnt(0)
	v_cmp_neq_f32_e32 vcc, 0, v6
	v_cmp_neq_f32_e64 s[4:5], 0, v7
	s_or_b64 vcc, vcc, s[4:5]
	s_or_b64 s[4:5], vcc, s[0:1]
	v_cndmask_b32_e32 v0, 1.0, v6, vcc
	s_xor_b64 s[16:17], s[4:5], -1
	v_cndmask_b32_e32 v2, 0, v7, vcc
	s_and_saveexec_b64 s[4:5], s[16:17]
	s_cbranch_execz .LBB45_79
; %bb.76:
	v_mbcnt_lo_u32_b32 v0, exec_lo, 0
	v_mbcnt_hi_u32_b32 v0, exec_hi, v0
	v_cmp_eq_u32_e32 vcc, 0, v0
	s_and_saveexec_b64 s[16:17], vcc
	s_cbranch_execz .LBB45_78
; %bb.77:
	v_mov_b32_e32 v0, 0
	v_mov_b32_e32 v2, s18
	global_atomic_smin v0, v2, s[14:15]
.LBB45_78:
	s_or_b64 exec, exec, s[16:17]
	v_mov_b32_e32 v0, 1.0
	v_mov_b32_e32 v2, 0
.LBB45_79:
	s_or_b64 exec, exec, s[4:5]
	s_and_saveexec_b64 s[4:5], s[2:3]
	s_cbranch_execz .LBB45_81
; %bb.80:
	v_mul_f32_e32 v10, v2, v2
	v_fmac_f32_e32 v10, v0, v0
	v_div_scale_f32 v11, s[2:3], v10, v10, 1.0
	v_rcp_f32_e32 v15, v11
	v_mul_u32_u24_e32 v16, 56, v13
	ds_read2_b64 v[6:9], v16 offset0:84 offset1:126
	v_fma_f32 v17, -v11, v15, 1.0
	v_fmac_f32_e32 v15, v17, v15
	v_div_scale_f32 v17, vcc, 1.0, v10, 1.0
	v_mul_f32_e32 v18, v17, v15
	v_fma_f32 v19, -v11, v18, v17
	v_fmac_f32_e32 v18, v19, v15
	v_fma_f32 v11, -v11, v18, v17
	s_waitcnt lgkmcnt(0)
	v_pk_add_f32 v[6:7], v[6:7], v[8:9] op_sel:[1,1] op_sel_hi:[0,0] neg_lo:[0,1] neg_hi:[0,1]
	v_div_fmas_f32 v11, v11, v15, v18
	v_pk_mul_f32 v[8:9], v[2:3], v[6:7] op_sel:[0,1] op_sel_hi:[0,0] neg_lo:[0,1]
	v_div_fixup_f32 v10, v11, v10, 1.0
	v_mul_u32_u24_e32 v11, 56, v12
	v_pk_fma_f32 v[6:7], v[6:7], v[0:1], v[8:9] op_sel_hi:[1,0,1]
	v_pk_mul_f32 v[6:7], v[10:11], v[6:7] op_sel_hi:[0,1]
	v_mov_b32_e32 v8, v7
	v_mov_b32_e32 v9, v6
	ds_write_b64 v16, v[8:9] offset:672
	s_waitcnt lgkmcnt(0)
	ds_read_b64 v[8:9], v11 offset:672
	ds_read_b64 v[10:11], v3
	s_waitcnt lgkmcnt(0)
	v_pk_fma_f32 v[10:11], v[6:7], v[8:9], v[10:11] op_sel:[1,0,0] op_sel_hi:[0,0,1]
	v_pk_fma_f32 v[6:7], v[6:7], v[8:9], v[10:11] op_sel:[0,1,0] neg_hi:[0,1,0]
	ds_write_b64 v3, v[6:7]
.LBB45_81:
	s_or_b64 exec, exec, s[4:5]
	v_cmp_eq_u32_e32 vcc, 1, v13
	s_waitcnt lgkmcnt(0)
	s_and_saveexec_b64 s[4:5], vcc
	s_cbranch_execz .LBB45_89
; %bb.82:
	v_mov_b32_e32 v6, 0
	ds_read2_b64 v[8:11], v6 offset0:92 offset1:134
	s_waitcnt lgkmcnt(0)
	v_sub_f32_e32 v0, v8, v10
	v_sub_f32_e32 v7, v9, v11
	v_cmp_gt_f32_e32 vcc, 0, v0
	v_cndmask_b32_e64 v0, v0, -v0, vcc
	v_cmp_gt_f32_e32 vcc, 0, v7
	v_cndmask_b32_e64 v2, v7, -v7, vcc
	v_cmp_gt_f32_e32 vcc, v0, v2
	s_cbranch_vccnz .LBB45_86
; %bb.83:
	v_cmp_eq_f32_e32 vcc, 0, v7
	s_cbranch_vccnz .LBB45_85
; %bb.84:
	v_div_scale_f32 v6, s[2:3], v2, v2, v0
	v_rcp_f32_e32 v7, v6
	v_div_scale_f32 v8, vcc, v0, v2, v0
	s_mov_b32 s2, 0xf800000
	v_fma_f32 v9, -v6, v7, 1.0
	v_fmac_f32_e32 v7, v9, v7
	v_mul_f32_e32 v9, v8, v7
	v_fma_f32 v10, -v6, v9, v8
	v_fmac_f32_e32 v9, v10, v7
	v_fma_f32 v6, -v6, v9, v8
	v_div_fmas_f32 v6, v6, v7, v9
	v_div_fixup_f32 v6, v6, v2, v0
	v_fma_f32 v6, v6, v6, 1.0
	v_mul_f32_e32 v7, 0x4f800000, v6
	v_cmp_gt_f32_e32 vcc, s2, v6
	v_cndmask_b32_e32 v6, v6, v7, vcc
	v_sqrt_f32_e32 v7, v6
	v_add_u32_e32 v8, -1, v7
	v_fma_f32 v9, -v8, v7, v6
	v_cmp_ge_f32_e64 s[2:3], 0, v9
	v_add_u32_e32 v9, 1, v7
	v_cndmask_b32_e64 v8, v7, v8, s[2:3]
	v_fma_f32 v7, -v9, v7, v6
	v_cmp_lt_f32_e64 s[2:3], 0, v7
	v_cndmask_b32_e64 v7, v8, v9, s[2:3]
	v_mul_f32_e32 v8, 0x37800000, v7
	v_cndmask_b32_e32 v7, v7, v8, vcc
	v_mov_b32_e32 v8, 0x260
	v_cmp_class_f32_e32 vcc, v6, v8
	v_cndmask_b32_e32 v6, v7, v6, vcc
	v_mul_f32_e32 v6, v2, v6
.LBB45_85:
	s_cbranch_execz .LBB45_87
	s_branch .LBB45_88
.LBB45_86:
                                        ; implicit-def: $vgpr6
.LBB45_87:
	v_div_scale_f32 v6, s[2:3], v0, v0, v2
	v_rcp_f32_e32 v7, v6
	v_div_scale_f32 v8, vcc, v2, v0, v2
	s_mov_b32 s2, 0xf800000
	v_fma_f32 v9, -v6, v7, 1.0
	v_fmac_f32_e32 v7, v9, v7
	v_mul_f32_e32 v9, v8, v7
	v_fma_f32 v10, -v6, v9, v8
	v_fmac_f32_e32 v9, v10, v7
	v_fma_f32 v6, -v6, v9, v8
	v_div_fmas_f32 v6, v6, v7, v9
	v_div_fixup_f32 v2, v6, v0, v2
	v_fma_f32 v2, v2, v2, 1.0
	v_mul_f32_e32 v6, 0x4f800000, v2
	v_cmp_gt_f32_e32 vcc, s2, v2
	v_cndmask_b32_e32 v2, v2, v6, vcc
	v_sqrt_f32_e32 v6, v2
	v_add_u32_e32 v7, -1, v6
	v_fma_f32 v8, -v7, v6, v2
	v_cmp_ge_f32_e64 s[2:3], 0, v8
	v_add_u32_e32 v8, 1, v6
	v_cndmask_b32_e64 v7, v6, v7, s[2:3]
	v_fma_f32 v6, -v8, v6, v2
	v_cmp_lt_f32_e64 s[2:3], 0, v6
	v_cndmask_b32_e64 v6, v7, v8, s[2:3]
	v_mul_f32_e32 v7, 0x37800000, v6
	v_cndmask_b32_e32 v6, v6, v7, vcc
	v_mov_b32_e32 v7, 0x260
	v_cmp_class_f32_e32 vcc, v2, v7
	v_cndmask_b32_e32 v2, v6, v2, vcc
	v_mul_f32_e32 v6, v0, v2
.LBB45_88:
	s_mov_b32 s2, 0xf800000
	v_mul_f32_e32 v0, 0x4f800000, v6
	v_cmp_gt_f32_e32 vcc, s2, v6
	v_cndmask_b32_e32 v0, v6, v0, vcc
	v_sqrt_f32_e32 v2, v0
	v_add_u32_e32 v6, -1, v2
	v_fma_f32 v7, -v6, v2, v0
	v_cmp_ge_f32_e64 s[2:3], 0, v7
	v_add_u32_e32 v7, 1, v2
	v_cndmask_b32_e64 v6, v2, v6, s[2:3]
	v_fma_f32 v2, -v7, v2, v0
	v_cmp_lt_f32_e64 s[2:3], 0, v2
	v_cndmask_b32_e64 v2, v6, v7, s[2:3]
	v_mul_f32_e32 v6, 0x37800000, v2
	v_cndmask_b32_e32 v2, v2, v6, vcc
	v_mov_b32_e32 v6, 0x260
	v_cmp_class_f32_e32 vcc, v0, v6
	v_cndmask_b32_e32 v6, v2, v0, vcc
	v_mov_b32_e32 v7, 0
	ds_write_b64 v7, v[6:7] offset:736
.LBB45_89:
	s_or_b64 exec, exec, s[4:5]
	v_mov_b32_e32 v0, 0
	s_waitcnt lgkmcnt(0)
	ds_read_b64 v[6:7], v0 offset:736
	s_waitcnt lgkmcnt(0)
	v_cmp_neq_f32_e32 vcc, 0, v6
	v_cmp_neq_f32_e64 s[2:3], 0, v7
	s_or_b64 vcc, vcc, s[2:3]
	s_or_b64 s[2:3], vcc, s[0:1]
	v_cndmask_b32_e32 v0, 1.0, v6, vcc
	s_xor_b64 s[4:5], s[2:3], -1
	v_cndmask_b32_e32 v2, 0, v7, vcc
	s_and_saveexec_b64 s[2:3], s[4:5]
	s_cbranch_execz .LBB45_93
; %bb.90:
	v_mbcnt_lo_u32_b32 v0, exec_lo, 0
	v_mbcnt_hi_u32_b32 v0, exec_hi, v0
	v_cmp_eq_u32_e32 vcc, 0, v0
	s_and_saveexec_b64 s[4:5], vcc
	s_cbranch_execz .LBB45_92
; %bb.91:
	v_mov_b32_e32 v0, 0
	v_mov_b32_e32 v2, s18
	global_atomic_smin v0, v2, s[14:15]
.LBB45_92:
	s_or_b64 exec, exec, s[4:5]
	v_mov_b32_e32 v0, 1.0
	v_mov_b32_e32 v2, 0
.LBB45_93:
	s_or_b64 exec, exec, s[2:3]
	v_cmp_lt_u32_e32 vcc, 1, v13
	s_and_saveexec_b64 s[2:3], vcc
	s_cbranch_execz .LBB45_95
; %bb.94:
	v_mul_f32_e32 v10, v2, v2
	v_fmac_f32_e32 v10, v0, v0
	v_div_scale_f32 v11, s[4:5], v10, v10, 1.0
	v_rcp_f32_e32 v15, v11
	v_mul_u32_u24_e32 v16, 56, v13
	ds_read2_b64 v[6:9], v16 offset0:85 offset1:127
	v_fma_f32 v17, -v11, v15, 1.0
	v_fmac_f32_e32 v15, v17, v15
	v_div_scale_f32 v17, vcc, 1.0, v10, 1.0
	v_mul_f32_e32 v18, v17, v15
	v_fma_f32 v19, -v11, v18, v17
	v_fmac_f32_e32 v18, v19, v15
	v_fma_f32 v11, -v11, v18, v17
	s_waitcnt lgkmcnt(0)
	v_pk_add_f32 v[6:7], v[6:7], v[8:9] op_sel:[1,1] op_sel_hi:[0,0] neg_lo:[0,1] neg_hi:[0,1]
	v_div_fmas_f32 v11, v11, v15, v18
	v_pk_mul_f32 v[8:9], v[2:3], v[6:7] op_sel:[0,1] op_sel_hi:[0,0] neg_lo:[0,1]
	v_div_fixup_f32 v10, v11, v10, 1.0
	v_mul_u32_u24_e32 v11, 56, v12
	v_pk_fma_f32 v[6:7], v[6:7], v[0:1], v[8:9] op_sel_hi:[1,0,1]
	v_pk_mul_f32 v[6:7], v[10:11], v[6:7] op_sel_hi:[0,1]
	v_mov_b32_e32 v8, v7
	v_mov_b32_e32 v9, v6
	ds_write_b64 v16, v[8:9] offset:680
	s_waitcnt lgkmcnt(0)
	ds_read_b64 v[8:9], v11 offset:680
	ds_read_b64 v[10:11], v3
	s_waitcnt lgkmcnt(0)
	v_pk_fma_f32 v[10:11], v[6:7], v[8:9], v[10:11] op_sel:[1,0,0] op_sel_hi:[0,0,1]
	v_pk_fma_f32 v[6:7], v[6:7], v[8:9], v[10:11] op_sel:[0,1,0] neg_hi:[0,1,0]
	ds_write_b64 v3, v[6:7]
.LBB45_95:
	s_or_b64 exec, exec, s[2:3]
	v_cmp_eq_u32_e32 vcc, 2, v13
	s_waitcnt lgkmcnt(0)
	s_and_saveexec_b64 s[4:5], vcc
	s_cbranch_execz .LBB45_103
; %bb.96:
	v_mov_b32_e32 v6, 0
	ds_read2_b64 v[8:11], v6 offset0:100 offset1:142
	s_waitcnt lgkmcnt(0)
	v_sub_f32_e32 v0, v8, v10
	v_sub_f32_e32 v7, v9, v11
	v_cmp_gt_f32_e32 vcc, 0, v0
	v_cndmask_b32_e64 v0, v0, -v0, vcc
	v_cmp_gt_f32_e32 vcc, 0, v7
	v_cndmask_b32_e64 v2, v7, -v7, vcc
	v_cmp_gt_f32_e32 vcc, v0, v2
	s_cbranch_vccnz .LBB45_100
; %bb.97:
	v_cmp_eq_f32_e32 vcc, 0, v7
	s_cbranch_vccnz .LBB45_99
; %bb.98:
	v_div_scale_f32 v6, s[2:3], v2, v2, v0
	v_rcp_f32_e32 v7, v6
	v_div_scale_f32 v8, vcc, v0, v2, v0
	s_mov_b32 s2, 0xf800000
	v_fma_f32 v9, -v6, v7, 1.0
	v_fmac_f32_e32 v7, v9, v7
	v_mul_f32_e32 v9, v8, v7
	v_fma_f32 v10, -v6, v9, v8
	v_fmac_f32_e32 v9, v10, v7
	v_fma_f32 v6, -v6, v9, v8
	v_div_fmas_f32 v6, v6, v7, v9
	v_div_fixup_f32 v6, v6, v2, v0
	v_fma_f32 v6, v6, v6, 1.0
	v_mul_f32_e32 v7, 0x4f800000, v6
	v_cmp_gt_f32_e32 vcc, s2, v6
	v_cndmask_b32_e32 v6, v6, v7, vcc
	v_sqrt_f32_e32 v7, v6
	v_add_u32_e32 v8, -1, v7
	v_fma_f32 v9, -v8, v7, v6
	v_cmp_ge_f32_e64 s[2:3], 0, v9
	v_add_u32_e32 v9, 1, v7
	v_cndmask_b32_e64 v8, v7, v8, s[2:3]
	v_fma_f32 v7, -v9, v7, v6
	v_cmp_lt_f32_e64 s[2:3], 0, v7
	v_cndmask_b32_e64 v7, v8, v9, s[2:3]
	v_mul_f32_e32 v8, 0x37800000, v7
	v_cndmask_b32_e32 v7, v7, v8, vcc
	v_mov_b32_e32 v8, 0x260
	v_cmp_class_f32_e32 vcc, v6, v8
	v_cndmask_b32_e32 v6, v7, v6, vcc
	v_mul_f32_e32 v6, v2, v6
.LBB45_99:
	s_cbranch_execz .LBB45_101
	s_branch .LBB45_102
.LBB45_100:
                                        ; implicit-def: $vgpr6
.LBB45_101:
	v_div_scale_f32 v6, s[2:3], v0, v0, v2
	v_rcp_f32_e32 v7, v6
	v_div_scale_f32 v8, vcc, v2, v0, v2
	s_mov_b32 s2, 0xf800000
	v_fma_f32 v9, -v6, v7, 1.0
	v_fmac_f32_e32 v7, v9, v7
	v_mul_f32_e32 v9, v8, v7
	v_fma_f32 v10, -v6, v9, v8
	v_fmac_f32_e32 v9, v10, v7
	v_fma_f32 v6, -v6, v9, v8
	v_div_fmas_f32 v6, v6, v7, v9
	v_div_fixup_f32 v2, v6, v0, v2
	v_fma_f32 v2, v2, v2, 1.0
	v_mul_f32_e32 v6, 0x4f800000, v2
	v_cmp_gt_f32_e32 vcc, s2, v2
	v_cndmask_b32_e32 v2, v2, v6, vcc
	v_sqrt_f32_e32 v6, v2
	v_add_u32_e32 v7, -1, v6
	v_fma_f32 v8, -v7, v6, v2
	v_cmp_ge_f32_e64 s[2:3], 0, v8
	v_add_u32_e32 v8, 1, v6
	v_cndmask_b32_e64 v7, v6, v7, s[2:3]
	v_fma_f32 v6, -v8, v6, v2
	v_cmp_lt_f32_e64 s[2:3], 0, v6
	v_cndmask_b32_e64 v6, v7, v8, s[2:3]
	v_mul_f32_e32 v7, 0x37800000, v6
	v_cndmask_b32_e32 v6, v6, v7, vcc
	v_mov_b32_e32 v7, 0x260
	v_cmp_class_f32_e32 vcc, v2, v7
	v_cndmask_b32_e32 v2, v6, v2, vcc
	v_mul_f32_e32 v6, v0, v2
.LBB45_102:
	s_mov_b32 s2, 0xf800000
	v_mul_f32_e32 v0, 0x4f800000, v6
	v_cmp_gt_f32_e32 vcc, s2, v6
	v_cndmask_b32_e32 v0, v6, v0, vcc
	v_sqrt_f32_e32 v2, v0
	v_add_u32_e32 v6, -1, v2
	v_fma_f32 v7, -v6, v2, v0
	v_cmp_ge_f32_e64 s[2:3], 0, v7
	v_add_u32_e32 v7, 1, v2
	v_cndmask_b32_e64 v6, v2, v6, s[2:3]
	v_fma_f32 v2, -v7, v2, v0
	v_cmp_lt_f32_e64 s[2:3], 0, v2
	v_cndmask_b32_e64 v2, v6, v7, s[2:3]
	v_mul_f32_e32 v6, 0x37800000, v2
	v_cndmask_b32_e32 v2, v2, v6, vcc
	v_mov_b32_e32 v6, 0x260
	v_cmp_class_f32_e32 vcc, v0, v6
	v_cndmask_b32_e32 v6, v2, v0, vcc
	v_mov_b32_e32 v7, 0
	ds_write_b64 v7, v[6:7] offset:800
.LBB45_103:
	s_or_b64 exec, exec, s[4:5]
	v_mov_b32_e32 v0, 0
	s_waitcnt lgkmcnt(0)
	ds_read_b64 v[6:7], v0 offset:800
	s_waitcnt lgkmcnt(0)
	v_cmp_neq_f32_e32 vcc, 0, v6
	v_cmp_neq_f32_e64 s[2:3], 0, v7
	s_or_b64 vcc, vcc, s[2:3]
	s_or_b64 s[2:3], vcc, s[0:1]
	v_cndmask_b32_e32 v0, 1.0, v6, vcc
	s_xor_b64 s[4:5], s[2:3], -1
	v_cndmask_b32_e32 v2, 0, v7, vcc
	s_and_saveexec_b64 s[2:3], s[4:5]
	s_cbranch_execz .LBB45_107
; %bb.104:
	v_mbcnt_lo_u32_b32 v0, exec_lo, 0
	v_mbcnt_hi_u32_b32 v0, exec_hi, v0
	v_cmp_eq_u32_e32 vcc, 0, v0
	s_and_saveexec_b64 s[4:5], vcc
	s_cbranch_execz .LBB45_106
; %bb.105:
	v_mov_b32_e32 v0, 0
	v_mov_b32_e32 v2, s18
	global_atomic_smin v0, v2, s[14:15]
.LBB45_106:
	s_or_b64 exec, exec, s[4:5]
	v_mov_b32_e32 v0, 1.0
	v_mov_b32_e32 v2, 0
.LBB45_107:
	s_or_b64 exec, exec, s[2:3]
	v_cmp_lt_u32_e32 vcc, 2, v13
	s_and_saveexec_b64 s[2:3], vcc
	s_cbranch_execz .LBB45_109
; %bb.108:
	v_mul_f32_e32 v10, v2, v2
	v_fmac_f32_e32 v10, v0, v0
	v_div_scale_f32 v11, s[4:5], v10, v10, 1.0
	v_rcp_f32_e32 v15, v11
	v_mul_u32_u24_e32 v16, 56, v13
	ds_read2_b64 v[6:9], v16 offset0:86 offset1:128
	v_fma_f32 v17, -v11, v15, 1.0
	v_fmac_f32_e32 v15, v17, v15
	v_div_scale_f32 v17, vcc, 1.0, v10, 1.0
	v_mul_f32_e32 v18, v17, v15
	v_fma_f32 v19, -v11, v18, v17
	v_fmac_f32_e32 v18, v19, v15
	v_fma_f32 v11, -v11, v18, v17
	s_waitcnt lgkmcnt(0)
	v_pk_add_f32 v[6:7], v[6:7], v[8:9] op_sel:[1,1] op_sel_hi:[0,0] neg_lo:[0,1] neg_hi:[0,1]
	v_div_fmas_f32 v11, v11, v15, v18
	v_pk_mul_f32 v[8:9], v[2:3], v[6:7] op_sel:[0,1] op_sel_hi:[0,0] neg_lo:[0,1]
	v_div_fixup_f32 v10, v11, v10, 1.0
	v_mul_u32_u24_e32 v11, 56, v12
	v_pk_fma_f32 v[6:7], v[6:7], v[0:1], v[8:9] op_sel_hi:[1,0,1]
	v_pk_mul_f32 v[6:7], v[10:11], v[6:7] op_sel_hi:[0,1]
	v_mov_b32_e32 v8, v7
	v_mov_b32_e32 v9, v6
	ds_write_b64 v16, v[8:9] offset:688
	s_waitcnt lgkmcnt(0)
	ds_read_b64 v[8:9], v11 offset:688
	ds_read_b64 v[10:11], v3
	s_waitcnt lgkmcnt(0)
	v_pk_fma_f32 v[10:11], v[6:7], v[8:9], v[10:11] op_sel:[1,0,0] op_sel_hi:[0,0,1]
	v_pk_fma_f32 v[6:7], v[6:7], v[8:9], v[10:11] op_sel:[0,1,0] neg_hi:[0,1,0]
	ds_write_b64 v3, v[6:7]
.LBB45_109:
	s_or_b64 exec, exec, s[2:3]
	v_cmp_eq_u32_e32 vcc, 3, v13
	s_waitcnt lgkmcnt(0)
	s_and_saveexec_b64 s[4:5], vcc
	s_cbranch_execz .LBB45_117
; %bb.110:
	v_mov_b32_e32 v6, 0
	ds_read2_b64 v[8:11], v6 offset0:108 offset1:150
	s_waitcnt lgkmcnt(0)
	v_sub_f32_e32 v0, v8, v10
	v_sub_f32_e32 v7, v9, v11
	v_cmp_gt_f32_e32 vcc, 0, v0
	v_cndmask_b32_e64 v0, v0, -v0, vcc
	v_cmp_gt_f32_e32 vcc, 0, v7
	v_cndmask_b32_e64 v2, v7, -v7, vcc
	v_cmp_gt_f32_e32 vcc, v0, v2
	s_cbranch_vccnz .LBB45_114
; %bb.111:
	v_cmp_eq_f32_e32 vcc, 0, v7
	s_cbranch_vccnz .LBB45_113
; %bb.112:
	v_div_scale_f32 v6, s[2:3], v2, v2, v0
	v_rcp_f32_e32 v7, v6
	v_div_scale_f32 v8, vcc, v0, v2, v0
	s_mov_b32 s2, 0xf800000
	v_fma_f32 v9, -v6, v7, 1.0
	v_fmac_f32_e32 v7, v9, v7
	v_mul_f32_e32 v9, v8, v7
	v_fma_f32 v10, -v6, v9, v8
	v_fmac_f32_e32 v9, v10, v7
	v_fma_f32 v6, -v6, v9, v8
	v_div_fmas_f32 v6, v6, v7, v9
	v_div_fixup_f32 v6, v6, v2, v0
	v_fma_f32 v6, v6, v6, 1.0
	v_mul_f32_e32 v7, 0x4f800000, v6
	v_cmp_gt_f32_e32 vcc, s2, v6
	v_cndmask_b32_e32 v6, v6, v7, vcc
	v_sqrt_f32_e32 v7, v6
	v_add_u32_e32 v8, -1, v7
	v_fma_f32 v9, -v8, v7, v6
	v_cmp_ge_f32_e64 s[2:3], 0, v9
	v_add_u32_e32 v9, 1, v7
	v_cndmask_b32_e64 v8, v7, v8, s[2:3]
	v_fma_f32 v7, -v9, v7, v6
	v_cmp_lt_f32_e64 s[2:3], 0, v7
	v_cndmask_b32_e64 v7, v8, v9, s[2:3]
	v_mul_f32_e32 v8, 0x37800000, v7
	v_cndmask_b32_e32 v7, v7, v8, vcc
	v_mov_b32_e32 v8, 0x260
	v_cmp_class_f32_e32 vcc, v6, v8
	v_cndmask_b32_e32 v6, v7, v6, vcc
	v_mul_f32_e32 v6, v2, v6
.LBB45_113:
	s_cbranch_execz .LBB45_115
	s_branch .LBB45_116
.LBB45_114:
                                        ; implicit-def: $vgpr6
.LBB45_115:
	v_div_scale_f32 v6, s[2:3], v0, v0, v2
	v_rcp_f32_e32 v7, v6
	v_div_scale_f32 v8, vcc, v2, v0, v2
	s_mov_b32 s2, 0xf800000
	v_fma_f32 v9, -v6, v7, 1.0
	v_fmac_f32_e32 v7, v9, v7
	v_mul_f32_e32 v9, v8, v7
	v_fma_f32 v10, -v6, v9, v8
	v_fmac_f32_e32 v9, v10, v7
	v_fma_f32 v6, -v6, v9, v8
	v_div_fmas_f32 v6, v6, v7, v9
	v_div_fixup_f32 v2, v6, v0, v2
	v_fma_f32 v2, v2, v2, 1.0
	v_mul_f32_e32 v6, 0x4f800000, v2
	v_cmp_gt_f32_e32 vcc, s2, v2
	v_cndmask_b32_e32 v2, v2, v6, vcc
	v_sqrt_f32_e32 v6, v2
	v_add_u32_e32 v7, -1, v6
	v_fma_f32 v8, -v7, v6, v2
	v_cmp_ge_f32_e64 s[2:3], 0, v8
	v_add_u32_e32 v8, 1, v6
	v_cndmask_b32_e64 v7, v6, v7, s[2:3]
	v_fma_f32 v6, -v8, v6, v2
	v_cmp_lt_f32_e64 s[2:3], 0, v6
	v_cndmask_b32_e64 v6, v7, v8, s[2:3]
	v_mul_f32_e32 v7, 0x37800000, v6
	v_cndmask_b32_e32 v6, v6, v7, vcc
	v_mov_b32_e32 v7, 0x260
	v_cmp_class_f32_e32 vcc, v2, v7
	v_cndmask_b32_e32 v2, v6, v2, vcc
	v_mul_f32_e32 v6, v0, v2
.LBB45_116:
	s_mov_b32 s2, 0xf800000
	v_mul_f32_e32 v0, 0x4f800000, v6
	v_cmp_gt_f32_e32 vcc, s2, v6
	v_cndmask_b32_e32 v0, v6, v0, vcc
	v_sqrt_f32_e32 v2, v0
	v_add_u32_e32 v6, -1, v2
	v_fma_f32 v7, -v6, v2, v0
	v_cmp_ge_f32_e64 s[2:3], 0, v7
	v_add_u32_e32 v7, 1, v2
	v_cndmask_b32_e64 v6, v2, v6, s[2:3]
	v_fma_f32 v2, -v7, v2, v0
	v_cmp_lt_f32_e64 s[2:3], 0, v2
	v_cndmask_b32_e64 v2, v6, v7, s[2:3]
	v_mul_f32_e32 v6, 0x37800000, v2
	v_cndmask_b32_e32 v2, v2, v6, vcc
	v_mov_b32_e32 v6, 0x260
	v_cmp_class_f32_e32 vcc, v0, v6
	v_cndmask_b32_e32 v6, v2, v0, vcc
	v_mov_b32_e32 v7, 0
	ds_write_b64 v7, v[6:7] offset:864
.LBB45_117:
	s_or_b64 exec, exec, s[4:5]
	v_mov_b32_e32 v0, 0
	s_waitcnt lgkmcnt(0)
	ds_read_b64 v[6:7], v0 offset:864
	s_waitcnt lgkmcnt(0)
	v_cmp_neq_f32_e32 vcc, 0, v6
	v_cmp_neq_f32_e64 s[2:3], 0, v7
	s_or_b64 vcc, vcc, s[2:3]
	s_or_b64 s[2:3], vcc, s[0:1]
	v_cndmask_b32_e32 v0, 1.0, v6, vcc
	s_xor_b64 s[4:5], s[2:3], -1
	v_cndmask_b32_e32 v2, 0, v7, vcc
	s_and_saveexec_b64 s[2:3], s[4:5]
	s_cbranch_execz .LBB45_121
; %bb.118:
	v_mbcnt_lo_u32_b32 v0, exec_lo, 0
	v_mbcnt_hi_u32_b32 v0, exec_hi, v0
	v_cmp_eq_u32_e32 vcc, 0, v0
	s_and_saveexec_b64 s[4:5], vcc
	s_cbranch_execz .LBB45_120
; %bb.119:
	v_mov_b32_e32 v0, 0
	v_mov_b32_e32 v2, s18
	global_atomic_smin v0, v2, s[14:15]
.LBB45_120:
	s_or_b64 exec, exec, s[4:5]
	v_mov_b32_e32 v0, 1.0
	v_mov_b32_e32 v2, 0
.LBB45_121:
	s_or_b64 exec, exec, s[2:3]
	v_cmp_lt_u32_e32 vcc, 3, v13
	s_and_saveexec_b64 s[2:3], vcc
	s_cbranch_execz .LBB45_123
; %bb.122:
	v_mul_f32_e32 v10, v2, v2
	v_fmac_f32_e32 v10, v0, v0
	v_div_scale_f32 v11, s[4:5], v10, v10, 1.0
	v_rcp_f32_e32 v15, v11
	v_mul_u32_u24_e32 v16, 56, v13
	ds_read2_b64 v[6:9], v16 offset0:87 offset1:129
	v_fma_f32 v17, -v11, v15, 1.0
	v_fmac_f32_e32 v15, v17, v15
	v_div_scale_f32 v17, vcc, 1.0, v10, 1.0
	v_mul_f32_e32 v18, v17, v15
	v_fma_f32 v19, -v11, v18, v17
	v_fmac_f32_e32 v18, v19, v15
	v_fma_f32 v11, -v11, v18, v17
	s_waitcnt lgkmcnt(0)
	v_pk_add_f32 v[6:7], v[6:7], v[8:9] op_sel:[1,1] op_sel_hi:[0,0] neg_lo:[0,1] neg_hi:[0,1]
	v_div_fmas_f32 v11, v11, v15, v18
	v_pk_mul_f32 v[8:9], v[2:3], v[6:7] op_sel:[0,1] op_sel_hi:[0,0] neg_lo:[0,1]
	v_div_fixup_f32 v10, v11, v10, 1.0
	v_mul_u32_u24_e32 v11, 56, v12
	v_pk_fma_f32 v[6:7], v[6:7], v[0:1], v[8:9] op_sel_hi:[1,0,1]
	v_pk_mul_f32 v[6:7], v[10:11], v[6:7] op_sel_hi:[0,1]
	v_mov_b32_e32 v8, v7
	v_mov_b32_e32 v9, v6
	ds_write_b64 v16, v[8:9] offset:696
	s_waitcnt lgkmcnt(0)
	ds_read_b64 v[8:9], v11 offset:696
	ds_read_b64 v[10:11], v3
	s_waitcnt lgkmcnt(0)
	v_pk_fma_f32 v[10:11], v[6:7], v[8:9], v[10:11] op_sel:[1,0,0] op_sel_hi:[0,0,1]
	v_pk_fma_f32 v[6:7], v[6:7], v[8:9], v[10:11] op_sel:[0,1,0] neg_hi:[0,1,0]
	ds_write_b64 v3, v[6:7]
.LBB45_123:
	s_or_b64 exec, exec, s[2:3]
	v_cmp_eq_u32_e32 vcc, 4, v13
	s_waitcnt lgkmcnt(0)
	s_and_saveexec_b64 s[4:5], vcc
	s_cbranch_execz .LBB45_131
; %bb.124:
	v_mov_b32_e32 v6, 0
	ds_read2_b64 v[8:11], v6 offset0:116 offset1:158
	s_waitcnt lgkmcnt(0)
	v_sub_f32_e32 v0, v8, v10
	v_sub_f32_e32 v7, v9, v11
	v_cmp_gt_f32_e32 vcc, 0, v0
	v_cndmask_b32_e64 v0, v0, -v0, vcc
	v_cmp_gt_f32_e32 vcc, 0, v7
	v_cndmask_b32_e64 v2, v7, -v7, vcc
	v_cmp_gt_f32_e32 vcc, v0, v2
	s_cbranch_vccnz .LBB45_128
; %bb.125:
	v_cmp_eq_f32_e32 vcc, 0, v7
	s_cbranch_vccnz .LBB45_127
; %bb.126:
	v_div_scale_f32 v6, s[2:3], v2, v2, v0
	v_rcp_f32_e32 v7, v6
	v_div_scale_f32 v8, vcc, v0, v2, v0
	s_mov_b32 s2, 0xf800000
	v_fma_f32 v9, -v6, v7, 1.0
	v_fmac_f32_e32 v7, v9, v7
	v_mul_f32_e32 v9, v8, v7
	v_fma_f32 v10, -v6, v9, v8
	v_fmac_f32_e32 v9, v10, v7
	v_fma_f32 v6, -v6, v9, v8
	v_div_fmas_f32 v6, v6, v7, v9
	v_div_fixup_f32 v6, v6, v2, v0
	v_fma_f32 v6, v6, v6, 1.0
	v_mul_f32_e32 v7, 0x4f800000, v6
	v_cmp_gt_f32_e32 vcc, s2, v6
	v_cndmask_b32_e32 v6, v6, v7, vcc
	v_sqrt_f32_e32 v7, v6
	v_add_u32_e32 v8, -1, v7
	v_fma_f32 v9, -v8, v7, v6
	v_cmp_ge_f32_e64 s[2:3], 0, v9
	v_add_u32_e32 v9, 1, v7
	v_cndmask_b32_e64 v8, v7, v8, s[2:3]
	v_fma_f32 v7, -v9, v7, v6
	v_cmp_lt_f32_e64 s[2:3], 0, v7
	v_cndmask_b32_e64 v7, v8, v9, s[2:3]
	v_mul_f32_e32 v8, 0x37800000, v7
	v_cndmask_b32_e32 v7, v7, v8, vcc
	v_mov_b32_e32 v8, 0x260
	v_cmp_class_f32_e32 vcc, v6, v8
	v_cndmask_b32_e32 v6, v7, v6, vcc
	v_mul_f32_e32 v6, v2, v6
.LBB45_127:
	s_cbranch_execz .LBB45_129
	s_branch .LBB45_130
.LBB45_128:
                                        ; implicit-def: $vgpr6
.LBB45_129:
	v_div_scale_f32 v6, s[2:3], v0, v0, v2
	v_rcp_f32_e32 v7, v6
	v_div_scale_f32 v8, vcc, v2, v0, v2
	s_mov_b32 s2, 0xf800000
	v_fma_f32 v9, -v6, v7, 1.0
	v_fmac_f32_e32 v7, v9, v7
	v_mul_f32_e32 v9, v8, v7
	v_fma_f32 v10, -v6, v9, v8
	v_fmac_f32_e32 v9, v10, v7
	v_fma_f32 v6, -v6, v9, v8
	v_div_fmas_f32 v6, v6, v7, v9
	v_div_fixup_f32 v2, v6, v0, v2
	v_fma_f32 v2, v2, v2, 1.0
	v_mul_f32_e32 v6, 0x4f800000, v2
	v_cmp_gt_f32_e32 vcc, s2, v2
	v_cndmask_b32_e32 v2, v2, v6, vcc
	v_sqrt_f32_e32 v6, v2
	v_add_u32_e32 v7, -1, v6
	v_fma_f32 v8, -v7, v6, v2
	v_cmp_ge_f32_e64 s[2:3], 0, v8
	v_add_u32_e32 v8, 1, v6
	v_cndmask_b32_e64 v7, v6, v7, s[2:3]
	v_fma_f32 v6, -v8, v6, v2
	v_cmp_lt_f32_e64 s[2:3], 0, v6
	v_cndmask_b32_e64 v6, v7, v8, s[2:3]
	v_mul_f32_e32 v7, 0x37800000, v6
	v_cndmask_b32_e32 v6, v6, v7, vcc
	v_mov_b32_e32 v7, 0x260
	v_cmp_class_f32_e32 vcc, v2, v7
	v_cndmask_b32_e32 v2, v6, v2, vcc
	v_mul_f32_e32 v6, v0, v2
.LBB45_130:
	s_mov_b32 s2, 0xf800000
	v_mul_f32_e32 v0, 0x4f800000, v6
	v_cmp_gt_f32_e32 vcc, s2, v6
	v_cndmask_b32_e32 v0, v6, v0, vcc
	v_sqrt_f32_e32 v2, v0
	v_add_u32_e32 v6, -1, v2
	v_fma_f32 v7, -v6, v2, v0
	v_cmp_ge_f32_e64 s[2:3], 0, v7
	v_add_u32_e32 v7, 1, v2
	v_cndmask_b32_e64 v6, v2, v6, s[2:3]
	v_fma_f32 v2, -v7, v2, v0
	v_cmp_lt_f32_e64 s[2:3], 0, v2
	v_cndmask_b32_e64 v2, v6, v7, s[2:3]
	v_mul_f32_e32 v6, 0x37800000, v2
	v_cndmask_b32_e32 v2, v2, v6, vcc
	v_mov_b32_e32 v6, 0x260
	v_cmp_class_f32_e32 vcc, v0, v6
	v_cndmask_b32_e32 v6, v2, v0, vcc
	v_mov_b32_e32 v7, 0
	ds_write_b64 v7, v[6:7] offset:928
.LBB45_131:
	s_or_b64 exec, exec, s[4:5]
	v_mov_b32_e32 v0, 0
	s_waitcnt lgkmcnt(0)
	ds_read_b64 v[6:7], v0 offset:928
	s_waitcnt lgkmcnt(0)
	v_cmp_neq_f32_e32 vcc, 0, v6
	v_cmp_neq_f32_e64 s[2:3], 0, v7
	s_or_b64 vcc, vcc, s[2:3]
	s_or_b64 s[2:3], vcc, s[0:1]
	v_cndmask_b32_e32 v0, 1.0, v6, vcc
	s_xor_b64 s[4:5], s[2:3], -1
	v_cndmask_b32_e32 v2, 0, v7, vcc
	s_and_saveexec_b64 s[2:3], s[4:5]
	s_cbranch_execz .LBB45_135
; %bb.132:
	v_mbcnt_lo_u32_b32 v0, exec_lo, 0
	v_mbcnt_hi_u32_b32 v0, exec_hi, v0
	v_cmp_eq_u32_e32 vcc, 0, v0
	s_and_saveexec_b64 s[4:5], vcc
	s_cbranch_execz .LBB45_134
; %bb.133:
	v_mov_b32_e32 v0, 0
	v_mov_b32_e32 v2, s18
	global_atomic_smin v0, v2, s[14:15]
.LBB45_134:
	s_or_b64 exec, exec, s[4:5]
	v_mov_b32_e32 v0, 1.0
	v_mov_b32_e32 v2, 0
.LBB45_135:
	s_or_b64 exec, exec, s[2:3]
	v_cmp_lt_u32_e32 vcc, 4, v13
	s_and_saveexec_b64 s[2:3], vcc
	s_cbranch_execz .LBB45_137
; %bb.136:
	v_mul_f32_e32 v10, v2, v2
	v_fmac_f32_e32 v10, v0, v0
	v_div_scale_f32 v11, s[4:5], v10, v10, 1.0
	v_rcp_f32_e32 v15, v11
	v_mul_u32_u24_e32 v16, 56, v13
	ds_read2_b64 v[6:9], v16 offset0:88 offset1:130
	v_fma_f32 v17, -v11, v15, 1.0
	v_fmac_f32_e32 v15, v17, v15
	v_div_scale_f32 v17, vcc, 1.0, v10, 1.0
	v_mul_f32_e32 v18, v17, v15
	v_fma_f32 v19, -v11, v18, v17
	v_fmac_f32_e32 v18, v19, v15
	v_fma_f32 v11, -v11, v18, v17
	s_waitcnt lgkmcnt(0)
	v_pk_add_f32 v[6:7], v[6:7], v[8:9] op_sel:[1,1] op_sel_hi:[0,0] neg_lo:[0,1] neg_hi:[0,1]
	v_div_fmas_f32 v11, v11, v15, v18
	v_pk_mul_f32 v[8:9], v[2:3], v[6:7] op_sel:[0,1] op_sel_hi:[0,0] neg_lo:[0,1]
	v_div_fixup_f32 v10, v11, v10, 1.0
	v_mul_u32_u24_e32 v11, 56, v12
	v_pk_fma_f32 v[6:7], v[6:7], v[0:1], v[8:9] op_sel_hi:[1,0,1]
	v_pk_mul_f32 v[6:7], v[10:11], v[6:7] op_sel_hi:[0,1]
	v_mov_b32_e32 v8, v7
	v_mov_b32_e32 v9, v6
	ds_write_b64 v16, v[8:9] offset:704
	s_waitcnt lgkmcnt(0)
	ds_read_b64 v[8:9], v11 offset:704
	ds_read_b64 v[10:11], v3
	s_waitcnt lgkmcnt(0)
	v_pk_fma_f32 v[10:11], v[6:7], v[8:9], v[10:11] op_sel:[1,0,0] op_sel_hi:[0,0,1]
	v_pk_fma_f32 v[6:7], v[6:7], v[8:9], v[10:11] op_sel:[0,1,0] neg_hi:[0,1,0]
	ds_write_b64 v3, v[6:7]
.LBB45_137:
	s_or_b64 exec, exec, s[2:3]
	v_cmp_eq_u32_e32 vcc, 5, v13
	s_waitcnt lgkmcnt(0)
	s_and_saveexec_b64 s[4:5], vcc
	s_cbranch_execz .LBB45_145
; %bb.138:
	v_mov_b32_e32 v6, 0
	ds_read2_b64 v[8:11], v6 offset0:124 offset1:166
	s_waitcnt lgkmcnt(0)
	v_sub_f32_e32 v0, v8, v10
	v_sub_f32_e32 v7, v9, v11
	v_cmp_gt_f32_e32 vcc, 0, v0
	v_cndmask_b32_e64 v0, v0, -v0, vcc
	v_cmp_gt_f32_e32 vcc, 0, v7
	v_cndmask_b32_e64 v2, v7, -v7, vcc
	v_cmp_gt_f32_e32 vcc, v0, v2
	s_cbranch_vccnz .LBB45_142
; %bb.139:
	v_cmp_eq_f32_e32 vcc, 0, v7
	s_cbranch_vccnz .LBB45_141
; %bb.140:
	v_div_scale_f32 v6, s[2:3], v2, v2, v0
	v_rcp_f32_e32 v7, v6
	v_div_scale_f32 v8, vcc, v0, v2, v0
	s_mov_b32 s2, 0xf800000
	v_fma_f32 v9, -v6, v7, 1.0
	v_fmac_f32_e32 v7, v9, v7
	v_mul_f32_e32 v9, v8, v7
	v_fma_f32 v10, -v6, v9, v8
	v_fmac_f32_e32 v9, v10, v7
	v_fma_f32 v6, -v6, v9, v8
	v_div_fmas_f32 v6, v6, v7, v9
	v_div_fixup_f32 v6, v6, v2, v0
	v_fma_f32 v6, v6, v6, 1.0
	v_mul_f32_e32 v7, 0x4f800000, v6
	v_cmp_gt_f32_e32 vcc, s2, v6
	v_cndmask_b32_e32 v6, v6, v7, vcc
	v_sqrt_f32_e32 v7, v6
	v_add_u32_e32 v8, -1, v7
	v_fma_f32 v9, -v8, v7, v6
	v_cmp_ge_f32_e64 s[2:3], 0, v9
	v_add_u32_e32 v9, 1, v7
	v_cndmask_b32_e64 v8, v7, v8, s[2:3]
	v_fma_f32 v7, -v9, v7, v6
	v_cmp_lt_f32_e64 s[2:3], 0, v7
	v_cndmask_b32_e64 v7, v8, v9, s[2:3]
	v_mul_f32_e32 v8, 0x37800000, v7
	v_cndmask_b32_e32 v7, v7, v8, vcc
	v_mov_b32_e32 v8, 0x260
	v_cmp_class_f32_e32 vcc, v6, v8
	v_cndmask_b32_e32 v6, v7, v6, vcc
	v_mul_f32_e32 v6, v2, v6
.LBB45_141:
	s_cbranch_execz .LBB45_143
	s_branch .LBB45_144
.LBB45_142:
                                        ; implicit-def: $vgpr6
.LBB45_143:
	v_div_scale_f32 v6, s[2:3], v0, v0, v2
	v_rcp_f32_e32 v7, v6
	v_div_scale_f32 v8, vcc, v2, v0, v2
	s_mov_b32 s2, 0xf800000
	v_fma_f32 v9, -v6, v7, 1.0
	v_fmac_f32_e32 v7, v9, v7
	v_mul_f32_e32 v9, v8, v7
	v_fma_f32 v10, -v6, v9, v8
	v_fmac_f32_e32 v9, v10, v7
	v_fma_f32 v6, -v6, v9, v8
	v_div_fmas_f32 v6, v6, v7, v9
	v_div_fixup_f32 v2, v6, v0, v2
	v_fma_f32 v2, v2, v2, 1.0
	v_mul_f32_e32 v6, 0x4f800000, v2
	v_cmp_gt_f32_e32 vcc, s2, v2
	v_cndmask_b32_e32 v2, v2, v6, vcc
	v_sqrt_f32_e32 v6, v2
	v_add_u32_e32 v7, -1, v6
	v_fma_f32 v8, -v7, v6, v2
	v_cmp_ge_f32_e64 s[2:3], 0, v8
	v_add_u32_e32 v8, 1, v6
	v_cndmask_b32_e64 v7, v6, v7, s[2:3]
	v_fma_f32 v6, -v8, v6, v2
	v_cmp_lt_f32_e64 s[2:3], 0, v6
	v_cndmask_b32_e64 v6, v7, v8, s[2:3]
	v_mul_f32_e32 v7, 0x37800000, v6
	v_cndmask_b32_e32 v6, v6, v7, vcc
	v_mov_b32_e32 v7, 0x260
	v_cmp_class_f32_e32 vcc, v2, v7
	v_cndmask_b32_e32 v2, v6, v2, vcc
	v_mul_f32_e32 v6, v0, v2
.LBB45_144:
	s_mov_b32 s2, 0xf800000
	v_mul_f32_e32 v0, 0x4f800000, v6
	v_cmp_gt_f32_e32 vcc, s2, v6
	v_cndmask_b32_e32 v0, v6, v0, vcc
	v_sqrt_f32_e32 v2, v0
	v_add_u32_e32 v6, -1, v2
	v_fma_f32 v7, -v6, v2, v0
	v_cmp_ge_f32_e64 s[2:3], 0, v7
	v_add_u32_e32 v7, 1, v2
	v_cndmask_b32_e64 v6, v2, v6, s[2:3]
	v_fma_f32 v2, -v7, v2, v0
	v_cmp_lt_f32_e64 s[2:3], 0, v2
	v_cndmask_b32_e64 v2, v6, v7, s[2:3]
	v_mul_f32_e32 v6, 0x37800000, v2
	v_cndmask_b32_e32 v2, v2, v6, vcc
	v_mov_b32_e32 v6, 0x260
	v_cmp_class_f32_e32 vcc, v0, v6
	v_cndmask_b32_e32 v6, v2, v0, vcc
	v_mov_b32_e32 v7, 0
	ds_write_b64 v7, v[6:7] offset:992
.LBB45_145:
	s_or_b64 exec, exec, s[4:5]
	v_mov_b32_e32 v0, 0
	s_waitcnt lgkmcnt(0)
	ds_read_b64 v[6:7], v0 offset:992
	s_waitcnt lgkmcnt(0)
	v_cmp_neq_f32_e32 vcc, 0, v6
	v_cmp_neq_f32_e64 s[2:3], 0, v7
	s_or_b64 vcc, vcc, s[2:3]
	s_or_b64 s[0:1], vcc, s[0:1]
	v_cndmask_b32_e32 v0, 1.0, v6, vcc
	s_xor_b64 s[2:3], s[0:1], -1
	v_cndmask_b32_e32 v2, 0, v7, vcc
	s_and_saveexec_b64 s[0:1], s[2:3]
	s_cbranch_execnz .LBB45_158
; %bb.146:
	s_or_b64 exec, exec, s[0:1]
	v_cmp_lt_u32_e32 vcc, 5, v13
	s_and_saveexec_b64 s[0:1], vcc
	s_cbranch_execnz .LBB45_161
.LBB45_147:
	s_or_b64 exec, exec, s[0:1]
	s_andn2_b64 vcc, exec, s[8:9]
	s_cbranch_vccnz .LBB45_149
.LBB45_148:
	v_mov_b32_e32 v14, v1
.LBB45_149:
	v_add_u32_e32 v0, s30, v14
	ds_read_b64 v[2:3], v4
	v_ashrrev_i32_e32 v1, 31, v0
	v_lshlrev_b64 v[0:1], 3, v[0:1]
	v_mov_b32_e32 v6, s21
	v_add_co_u32_e32 v0, vcc, s20, v0
	v_addc_co_u32_e32 v1, vcc, v6, v1, vcc
	s_waitcnt lgkmcnt(0)
	global_store_dwordx2 v[0:1], v[2:3], off
	v_cmp_eq_u32_e64 s[0:1], 0, v5
	s_branch .LBB45_155
.LBB45_150:
	v_or_b32_e32 v0, v12, v13
	v_cmp_eq_u32_e32 vcc, 0, v0
	s_and_saveexec_b64 s[2:3], vcc
	s_cbranch_execz .LBB45_154
; %bb.151:
	v_mbcnt_lo_u32_b32 v0, exec_lo, 0
	v_mbcnt_hi_u32_b32 v0, exec_hi, v0
	v_cmp_eq_u32_e32 vcc, 0, v0
	s_and_saveexec_b64 s[4:5], vcc
	s_cbranch_execz .LBB45_153
; %bb.152:
	s_add_i32 s8, s12, s13
	v_mov_b32_e32 v0, 0
	v_mov_b32_e32 v1, s8
	global_atomic_smin v0, v1, s[14:15]
.LBB45_153:
	s_or_b64 exec, exec, s[4:5]
	s_or_b64 s[0:1], s[0:1], exec
.LBB45_154:
	s_or_b64 exec, exec, s[2:3]
.LBB45_155:
	s_and_saveexec_b64 s[2:3], s[0:1]
	s_cbranch_execnz .LBB45_157
; %bb.156:
	s_endpgm
.LBB45_157:
	s_add_u32 s0, s10, s6
	s_addc_u32 s1, s11, s7
	v_mov_b32_e32 v0, 0
	v_mov_b32_e32 v1, 1
	s_waitcnt vmcnt(0)
	global_store_dword v0, v1, s[0:1]
	s_endpgm
.LBB45_158:
	v_mbcnt_lo_u32_b32 v0, exec_lo, 0
	v_mbcnt_hi_u32_b32 v0, exec_hi, v0
	v_cmp_eq_u32_e32 vcc, 0, v0
	s_and_saveexec_b64 s[2:3], vcc
	s_cbranch_execz .LBB45_160
; %bb.159:
	v_mov_b32_e32 v0, 0
	v_mov_b32_e32 v2, s18
	global_atomic_smin v0, v2, s[14:15]
.LBB45_160:
	s_or_b64 exec, exec, s[2:3]
	v_mov_b32_e32 v0, 1.0
	v_mov_b32_e32 v2, 0
	s_or_b64 exec, exec, s[0:1]
	v_cmp_lt_u32_e32 vcc, 5, v13
	s_and_saveexec_b64 s[0:1], vcc
	s_cbranch_execz .LBB45_147
.LBB45_161:
	v_mul_f32_e32 v10, v2, v2
	v_fmac_f32_e32 v10, v0, v0
	v_div_scale_f32 v11, s[2:3], v10, v10, 1.0
	v_rcp_f32_e32 v15, v11
	v_mul_u32_u24_e32 v16, 56, v13
	ds_read2_b64 v[6:9], v16 offset0:89 offset1:131
	v_fma_f32 v17, -v11, v15, 1.0
	v_fmac_f32_e32 v15, v17, v15
	v_div_scale_f32 v17, vcc, 1.0, v10, 1.0
	v_mul_f32_e32 v18, v17, v15
	v_fma_f32 v19, -v11, v18, v17
	v_fmac_f32_e32 v18, v19, v15
	v_fma_f32 v11, -v11, v18, v17
	s_waitcnt lgkmcnt(0)
	v_pk_add_f32 v[6:7], v[6:7], v[8:9] op_sel:[1,1] op_sel_hi:[0,0] neg_lo:[0,1] neg_hi:[0,1]
	v_div_fmas_f32 v11, v11, v15, v18
	v_pk_mul_f32 v[8:9], v[2:3], v[6:7] op_sel:[0,1] op_sel_hi:[0,0] neg_lo:[0,1]
	v_div_fixup_f32 v10, v11, v10, 1.0
	v_mul_u32_u24_e32 v11, 56, v12
	v_pk_fma_f32 v[6:7], v[6:7], v[0:1], v[8:9] op_sel_hi:[1,0,1]
	v_pk_mul_f32 v[6:7], v[10:11], v[6:7] op_sel_hi:[0,1]
	v_mov_b32_e32 v8, v7
	v_mov_b32_e32 v9, v6
	ds_write_b64 v16, v[8:9] offset:712
	s_waitcnt lgkmcnt(0)
	ds_read_b64 v[8:9], v11 offset:712
	ds_read_b64 v[10:11], v3
	s_waitcnt lgkmcnt(0)
	v_pk_fma_f32 v[10:11], v[6:7], v[8:9], v[10:11] op_sel:[1,0,0] op_sel_hi:[0,0,1]
	v_pk_fma_f32 v[6:7], v[6:7], v[8:9], v[10:11] op_sel:[0,1,0] neg_hi:[0,1,0]
	ds_write_b64 v3, v[6:7]
	s_or_b64 exec, exec, s[0:1]
	s_andn2_b64 vcc, exec, s[8:9]
	s_waitcnt lgkmcnt(0)
	s_cbranch_vccz .LBB45_148
	s_branch .LBB45_149
	.section	.rodata,"a",@progbits
	.p2align	6, 0x0
	.amdhsa_kernel _ZN9rocsparseL26bsric0_2_8_unrolled_kernelILi36ELi32ELi6E21rocsparse_complex_numIfEEEv20rocsparse_direction_iiPKiS5_PT2_S5_PiS5_S8_21rocsparse_index_base_
		.amdhsa_group_segment_fixed_size 1728
		.amdhsa_private_segment_fixed_size 0
		.amdhsa_kernarg_size 76
		.amdhsa_user_sgpr_count 6
		.amdhsa_user_sgpr_private_segment_buffer 1
		.amdhsa_user_sgpr_dispatch_ptr 0
		.amdhsa_user_sgpr_queue_ptr 0
		.amdhsa_user_sgpr_kernarg_segment_ptr 1
		.amdhsa_user_sgpr_dispatch_id 0
		.amdhsa_user_sgpr_flat_scratch_init 0
		.amdhsa_user_sgpr_kernarg_preload_length 0
		.amdhsa_user_sgpr_kernarg_preload_offset 0
		.amdhsa_user_sgpr_private_segment_size 0
		.amdhsa_uses_dynamic_stack 0
		.amdhsa_system_sgpr_private_segment_wavefront_offset 0
		.amdhsa_system_sgpr_workgroup_id_x 1
		.amdhsa_system_sgpr_workgroup_id_y 0
		.amdhsa_system_sgpr_workgroup_id_z 0
		.amdhsa_system_sgpr_workgroup_info 0
		.amdhsa_system_vgpr_workitem_id 1
		.amdhsa_next_free_vgpr 72
		.amdhsa_next_free_sgpr 40
		.amdhsa_accum_offset 72
		.amdhsa_reserve_vcc 1
		.amdhsa_reserve_flat_scratch 0
		.amdhsa_float_round_mode_32 0
		.amdhsa_float_round_mode_16_64 0
		.amdhsa_float_denorm_mode_32 3
		.amdhsa_float_denorm_mode_16_64 3
		.amdhsa_dx10_clamp 1
		.amdhsa_ieee_mode 1
		.amdhsa_fp16_overflow 0
		.amdhsa_tg_split 0
		.amdhsa_exception_fp_ieee_invalid_op 0
		.amdhsa_exception_fp_denorm_src 0
		.amdhsa_exception_fp_ieee_div_zero 0
		.amdhsa_exception_fp_ieee_overflow 0
		.amdhsa_exception_fp_ieee_underflow 0
		.amdhsa_exception_fp_ieee_inexact 0
		.amdhsa_exception_int_div_zero 0
	.end_amdhsa_kernel
	.section	.text._ZN9rocsparseL26bsric0_2_8_unrolled_kernelILi36ELi32ELi6E21rocsparse_complex_numIfEEEv20rocsparse_direction_iiPKiS5_PT2_S5_PiS5_S8_21rocsparse_index_base_,"axG",@progbits,_ZN9rocsparseL26bsric0_2_8_unrolled_kernelILi36ELi32ELi6E21rocsparse_complex_numIfEEEv20rocsparse_direction_iiPKiS5_PT2_S5_PiS5_S8_21rocsparse_index_base_,comdat
.Lfunc_end45:
	.size	_ZN9rocsparseL26bsric0_2_8_unrolled_kernelILi36ELi32ELi6E21rocsparse_complex_numIfEEEv20rocsparse_direction_iiPKiS5_PT2_S5_PiS5_S8_21rocsparse_index_base_, .Lfunc_end45-_ZN9rocsparseL26bsric0_2_8_unrolled_kernelILi36ELi32ELi6E21rocsparse_complex_numIfEEEv20rocsparse_direction_iiPKiS5_PT2_S5_PiS5_S8_21rocsparse_index_base_
                                        ; -- End function
	.section	.AMDGPU.csdata,"",@progbits
; Kernel info:
; codeLenInByte = 11596
; NumSgprs: 44
; NumVgprs: 72
; NumAgprs: 0
; TotalNumVgprs: 72
; ScratchSize: 0
; MemoryBound: 0
; FloatMode: 240
; IeeeMode: 1
; LDSByteSize: 1728 bytes/workgroup (compile time only)
; SGPRBlocks: 5
; VGPRBlocks: 8
; NumSGPRsForWavesPerEU: 44
; NumVGPRsForWavesPerEU: 72
; AccumOffset: 72
; Occupancy: 7
; WaveLimiterHint : 1
; COMPUTE_PGM_RSRC2:SCRATCH_EN: 0
; COMPUTE_PGM_RSRC2:USER_SGPR: 6
; COMPUTE_PGM_RSRC2:TRAP_HANDLER: 0
; COMPUTE_PGM_RSRC2:TGID_X_EN: 1
; COMPUTE_PGM_RSRC2:TGID_Y_EN: 0
; COMPUTE_PGM_RSRC2:TGID_Z_EN: 0
; COMPUTE_PGM_RSRC2:TIDIG_COMP_CNT: 1
; COMPUTE_PGM_RSRC3_GFX90A:ACCUM_OFFSET: 17
; COMPUTE_PGM_RSRC3_GFX90A:TG_SPLIT: 0
	.section	.text._ZN9rocsparseL26bsric0_2_8_unrolled_kernelILi49ELi32ELi7E21rocsparse_complex_numIfEEEv20rocsparse_direction_iiPKiS5_PT2_S5_PiS5_S8_21rocsparse_index_base_,"axG",@progbits,_ZN9rocsparseL26bsric0_2_8_unrolled_kernelILi49ELi32ELi7E21rocsparse_complex_numIfEEEv20rocsparse_direction_iiPKiS5_PT2_S5_PiS5_S8_21rocsparse_index_base_,comdat
	.globl	_ZN9rocsparseL26bsric0_2_8_unrolled_kernelILi49ELi32ELi7E21rocsparse_complex_numIfEEEv20rocsparse_direction_iiPKiS5_PT2_S5_PiS5_S8_21rocsparse_index_base_ ; -- Begin function _ZN9rocsparseL26bsric0_2_8_unrolled_kernelILi49ELi32ELi7E21rocsparse_complex_numIfEEEv20rocsparse_direction_iiPKiS5_PT2_S5_PiS5_S8_21rocsparse_index_base_
	.p2align	8
	.type	_ZN9rocsparseL26bsric0_2_8_unrolled_kernelILi49ELi32ELi7E21rocsparse_complex_numIfEEEv20rocsparse_direction_iiPKiS5_PT2_S5_PiS5_S8_21rocsparse_index_base_,@function
_ZN9rocsparseL26bsric0_2_8_unrolled_kernelILi49ELi32ELi7E21rocsparse_complex_numIfEEEv20rocsparse_direction_iiPKiS5_PT2_S5_PiS5_S8_21rocsparse_index_base_: ; @_ZN9rocsparseL26bsric0_2_8_unrolled_kernelILi49ELi32ELi7E21rocsparse_complex_numIfEEEv20rocsparse_direction_iiPKiS5_PT2_S5_PiS5_S8_21rocsparse_index_base_
; %bb.0:
	s_load_dwordx8 s[8:15], s[4:5], 0x28
	s_mov_b32 s7, 0
	s_lshl_b64 s[0:1], s[6:7], 2
	v_and_b32_e32 v12, 0x3ff, v0
	v_bfe_u32 v13, v0, 10, 10
	s_waitcnt lgkmcnt(0)
	s_add_u32 s0, s12, s0
	s_addc_u32 s1, s13, s1
	s_load_dword s12, s[0:1], 0x0
	s_waitcnt lgkmcnt(0)
	s_ashr_i32 s13, s12, 31
	s_lshl_b64 s[6:7], s[12:13], 2
	s_add_u32 s0, s8, s6
	s_addc_u32 s1, s9, s7
	s_load_dword s30, s[0:1], 0x0
	s_load_dword s13, s[4:5], 0x48
	s_waitcnt lgkmcnt(0)
	s_cmp_lg_u32 s30, -1
	s_cbranch_scc0 .LBB46_75
; %bb.1:
	s_load_dwordx4 s[16:19], s[4:5], 0x10
	s_load_dwordx2 s[20:21], s[4:5], 0x20
	v_mad_u32_u24 v14, v13, 7, v12
	v_mul_u32_u24_e32 v15, 7, v13
	s_waitcnt lgkmcnt(0)
	s_add_u32 s0, s16, s6
	s_addc_u32 s1, s17, s7
	s_load_dword s26, s[0:1], 0x0
	s_waitcnt lgkmcnt(0)
	s_sub_i32 s31, s26, s13
	v_add_u32_e32 v0, s31, v14
	v_cmp_ge_i32_e32 vcc, s30, v0
	s_and_saveexec_b64 s[2:3], vcc
	s_cbranch_execz .LBB46_14
; %bb.2:
	v_add_u32_e32 v1, s26, v12
	v_add_u32_e32 v2, v1, v15
	v_subrev_u32_e32 v2, s13, v2
	v_add_u32_e32 v2, 49, v2
	s_add_i32 s0, s30, 1
	v_max_i32_e32 v2, s0, v2
	v_add_u32_e32 v2, s13, v2
	v_sub_u32_e32 v1, v2, v1
	v_subrev_u32_e32 v1, 49, v1
	v_cmp_ne_u32_e32 vcc, v1, v15
	v_addc_co_u32_e64 v2, s[0:1], 0, v15, vcc
	v_sub_u32_e32 v1, v1, v2
	s_mov_b32 s0, 0x5397829d
	v_mul_hi_u32 v1, v1, s0
	v_lshrrev_b32_e32 v1, 4, v1
	v_addc_co_u32_e32 v16, vcc, 0, v1, vcc
	v_cmp_ne_u32_e32 vcc, 0, v16
	s_mov_b64 s[22:23], -1
	s_and_saveexec_b64 s[0:1], vcc
	s_cbranch_execz .LBB46_11
; %bb.3:
	v_add_u32_e32 v2, -1, v16
	v_add_u32_e32 v1, 49, v0
	v_lshrrev_b32_e32 v2, 1, v2
	v_add_u32_e32 v17, 1, v2
	v_cmp_lt_u32_e32 vcc, 14, v16
	v_pk_mov_b32 v[2:3], v[0:1], v[0:1] op_sel:[0,1]
	s_and_saveexec_b64 s[22:23], vcc
	s_cbranch_execz .LBB46_7
; %bb.4:
	v_and_b32_e32 v18, -8, v17
	s_mov_b64 s[24:25], 0
	v_mov_b32_e32 v19, s19
	v_pk_mov_b32 v[2:3], v[0:1], v[0:1] op_sel:[0,1]
.LBB46_5:                               ; =>This Inner Loop Header: Depth=1
	v_ashrrev_i32_e32 v23, 31, v2
	v_mov_b32_e32 v22, v2
	v_lshlrev_b64 v[22:23], 2, v[22:23]
	v_ashrrev_i32_e32 v21, 31, v3
	v_mov_b32_e32 v20, v3
	v_add_co_u32_e32 v22, vcc, s18, v22
	v_add_u32_e32 v4, 0x62, v2
	v_lshlrev_b64 v[20:21], 2, v[20:21]
	v_addc_co_u32_e32 v23, vcc, v19, v23, vcc
	v_ashrrev_i32_e32 v5, 31, v4
	v_add_co_u32_e32 v20, vcc, s18, v20
	v_add_u32_e32 v6, 0x62, v3
	v_addc_co_u32_e32 v21, vcc, v19, v21, vcc
	v_lshlrev_b64 v[42:43], 2, v[4:5]
	v_ashrrev_i32_e32 v7, 31, v6
	v_add_co_u32_e32 v42, vcc, s18, v42
	v_add_u32_e32 v8, 0xc4, v2
	v_lshlrev_b64 v[44:45], 2, v[6:7]
	v_addc_co_u32_e32 v43, vcc, v19, v43, vcc
	v_ashrrev_i32_e32 v9, 31, v8
	v_add_co_u32_e32 v44, vcc, s18, v44
	v_add_u32_e32 v10, 0xc4, v3
	v_lshlrev_b64 v[46:47], 2, v[8:9]
	v_addc_co_u32_e32 v45, vcc, v19, v45, vcc
	;; [unrolled: 5-line block ×11, first 2 shown]
	v_ashrrev_i32_e32 v41, 31, v40
	v_add_co_u32_e32 v64, vcc, s18, v64
	v_addc_co_u32_e32 v65, vcc, v19, v65, vcc
	v_lshlrev_b64 v[66:67], 2, v[40:41]
	v_add_u32_e32 v68, 0x2ae, v3
	v_add_co_u32_e32 v66, vcc, s18, v66
	v_ashrrev_i32_e32 v69, 31, v68
	v_addc_co_u32_e32 v67, vcc, v19, v67, vcc
	v_lshlrev_b64 v[70:71], 2, v[68:69]
	v_add_co_u32_e32 v70, vcc, s18, v70
	v_addc_co_u32_e32 v71, vcc, v19, v71, vcc
	global_load_dword v1, v[20:21], off
	global_load_dword v5, v[22:23], off
	;; [unrolled: 1-line block ×15, first 2 shown]
                                        ; kill: killed $vgpr22 killed $vgpr23
                                        ; kill: killed $vgpr52 killed $vgpr53
                                        ; kill: killed $vgpr54 killed $vgpr55
                                        ; kill: killed $vgpr48 killed $vgpr49
                                        ; kill: killed $vgpr50 killed $vgpr51
                                        ; kill: killed $vgpr46 killed $vgpr47
                                        ; kill: killed $vgpr44 killed $vgpr45
                                        ; kill: killed $vgpr70 killed $vgpr71
                                        ; kill: killed $vgpr42 killed $vgpr43
                                        ; kill: killed $vgpr64 killed $vgpr65
                                        ; kill: killed $vgpr62 killed $vgpr63
                                        ; kill: killed $vgpr60 killed $vgpr61
                                        ; kill: killed $vgpr20 killed $vgpr21
                                        ; kill: killed $vgpr56 killed $vgpr57
                                        ; kill: killed $vgpr58 killed $vgpr59
	global_load_dword v20, v[66:67], off
	v_subrev_u32_e32 v22, s31, v2
	v_add_u32_e32 v18, -8, v18
	v_subrev_u32_e32 v21, s31, v3
	v_lshlrev_b32_e32 v22, 2, v22
	v_subrev_u32_e32 v4, s31, v4
	v_cmp_eq_u32_e32 vcc, 0, v18
	v_add_u32_e32 v3, 0x310, v3
	v_add_u32_e32 v2, 0x310, v2
	v_lshlrev_b32_e32 v21, 2, v21
	v_subrev_u32_e32 v6, s31, v6
	v_subrev_u32_e32 v10, s31, v10
	;; [unrolled: 1-line block ×13, first 2 shown]
	v_lshlrev_b32_e32 v4, 2, v4
	s_or_b64 s[24:25], vcc, s[24:25]
	v_lshlrev_b32_e32 v6, 2, v6
	v_lshlrev_b32_e32 v8, 2, v8
	;; [unrolled: 1-line block ×13, first 2 shown]
	s_waitcnt vmcnt(15)
	v_subrev_u32_e32 v1, s13, v1
	s_waitcnt vmcnt(14)
	v_subrev_u32_e32 v5, s13, v5
	ds_write_b32 v22, v5 offset:2048
	ds_write_b32 v21, v1 offset:2048
	s_waitcnt vmcnt(12)
	v_subrev_u32_e32 v5, s13, v9
	v_subrev_u32_e32 v1, s13, v7
	s_waitcnt vmcnt(11)
	v_subrev_u32_e32 v7, s13, v11
	s_waitcnt vmcnt(10)
	;; [unrolled: 2-line block ×12, first 2 shown]
	v_subrev_u32_e32 v20, s13, v20
	ds_write_b32 v4, v5 offset:2048
	ds_write_b32 v6, v1 offset:2048
	;; [unrolled: 1-line block ×14, first 2 shown]
	s_andn2_b64 exec, exec, s[24:25]
	s_cbranch_execnz .LBB46_5
; %bb.6:
	s_or_b64 exec, exec, s[24:25]
.LBB46_7:
	s_or_b64 exec, exec, s[22:23]
	v_and_b32_e32 v1, 7, v17
	v_cmp_ne_u32_e32 vcc, 0, v1
	s_and_saveexec_b64 s[22:23], vcc
	s_cbranch_execz .LBB46_10
; %bb.8:
	v_sub_u32_e32 v1, 0, v1
	s_mov_b64 s[24:25], 0
	v_mov_b32_e32 v4, s19
.LBB46_9:                               ; =>This Inner Loop Header: Depth=1
	v_ashrrev_i32_e32 v9, 31, v2
	v_mov_b32_e32 v8, v2
	v_lshlrev_b64 v[8:9], 2, v[8:9]
	v_ashrrev_i32_e32 v7, 31, v3
	v_mov_b32_e32 v6, v3
	v_add_co_u32_e32 v8, vcc, s18, v8
	v_lshlrev_b64 v[6:7], 2, v[6:7]
	v_addc_co_u32_e32 v9, vcc, v4, v9, vcc
	v_add_co_u32_e32 v6, vcc, s18, v6
	v_addc_co_u32_e32 v7, vcc, v4, v7, vcc
	global_load_dword v5, v[6:7], off
	global_load_dword v10, v[8:9], off
	v_subrev_u32_e32 v7, s31, v2
	v_add_co_u32_e32 v1, vcc, 1, v1
	v_subrev_u32_e32 v6, s31, v3
	v_add_u32_e32 v3, 0x62, v3
	v_add_u32_e32 v2, 0x62, v2
	v_lshlrev_b32_e32 v7, 2, v7
	s_or_b64 s[24:25], vcc, s[24:25]
	v_lshlrev_b32_e32 v6, 2, v6
	s_waitcnt vmcnt(1)
	v_subrev_u32_e32 v5, s13, v5
	s_waitcnt vmcnt(0)
	v_subrev_u32_e32 v8, s13, v10
	ds_write_b32 v7, v8 offset:2048
	ds_write_b32 v6, v5 offset:2048
	s_andn2_b64 exec, exec, s[24:25]
	s_cbranch_execnz .LBB46_9
.LBB46_10:
	s_or_b64 exec, exec, s[22:23]
	v_add_u32_e32 v2, 1, v16
	v_and_b32_e32 v3, 0x1ffffffe, v2
	v_mad_u64_u32 v[0:1], s[22:23], v3, 49, v[0:1]
	v_cmp_ne_u32_e32 vcc, v2, v3
	s_orn2_b64 s[22:23], vcc, exec
.LBB46_11:
	s_or_b64 exec, exec, s[0:1]
	s_and_b64 exec, exec, s[22:23]
	s_cbranch_execz .LBB46_14
; %bb.12:
	v_add_u32_e32 v1, s13, v0
	v_subrev_u32_e32 v1, s26, v1
	v_mov_b32_e32 v2, 0x800
	v_lshl_add_u32 v4, v1, 2, v2
	v_ashrrev_i32_e32 v1, 31, v0
	v_lshlrev_b64 v[2:3], 2, v[0:1]
	v_mov_b32_e32 v1, s19
	v_add_co_u32_e32 v2, vcc, s18, v2
	v_addc_co_u32_e32 v3, vcc, v1, v3, vcc
	s_mov_b64 s[0:1], 0
.LBB46_13:                              ; =>This Inner Loop Header: Depth=1
	global_load_dword v1, v[2:3], off
	v_add_co_u32_e32 v2, vcc, 0xc4, v2
	v_add_u32_e32 v0, 49, v0
	v_addc_co_u32_e32 v3, vcc, 0, v3, vcc
	v_cmp_lt_i32_e32 vcc, s30, v0
	s_or_b64 s[0:1], vcc, s[0:1]
	s_waitcnt vmcnt(0)
	v_subrev_u32_e32 v1, s13, v1
	ds_write_b32 v4, v1
	v_add_u32_e32 v4, 0xc4, v4
	s_andn2_b64 exec, exec, s[0:1]
	s_cbranch_execnz .LBB46_13
.LBB46_14:
	s_or_b64 exec, exec, s[2:3]
	s_load_dword s33, s[4:5], 0x0
	v_lshlrev_b32_e32 v2, 3, v12
	v_mov_b32_e32 v0, 0
	v_lshl_add_u32 v16, v13, 6, v2
	v_mov_b32_e32 v1, v0
	v_add_u32_e32 v3, 0x540, v16
	ds_write_b64 v16, v[0:1] offset:1344
	s_cmp_ge_i32 s31, s30
	v_mad_u32_u24 v1, v12, 7, v13
	s_waitcnt lgkmcnt(0)
	s_cbranch_scc1 .LBB46_68
; %bb.15:
	v_lshlrev_b32_e32 v5, 6, v13
	v_add_u32_e32 v18, 0x380, v5
	v_add_u32_e32 v21, 0x1c0, v5
	s_cmp_eq_u32 s33, 0
	v_add_u32_e32 v19, v18, v2
	v_add_u32_e32 v20, v5, v2
	;; [unrolled: 1-line block ×3, first 2 shown]
	v_or_b32_e32 v2, v12, v13
	v_mad_u32_u24 v4, v12, 7, v13
	s_cselect_b64 vcc, -1, 0
	s_cmp_lg_u32 s33, 0
	v_cmp_ne_u32_e64 s[0:1], 0, v2
	v_mov_b32_e32 v2, 0x380
	s_cselect_b64 s[4:5], -1, 0
	v_mul_u32_u24_e32 v17, 7, v12
	v_lshl_add_u32 v23, v12, 6, v2
	v_cndmask_b32_e32 v2, v4, v14, vcc
	s_mov_b32 s22, s31
	s_branch .LBB46_19
.LBB46_16:                              ;   in Loop: Header=BB46_19 Depth=1
	s_or_b64 exec, exec, s[24:25]
	v_mov_b32_e32 v8, 1.0
	v_mov_b32_e32 v10, 0
.LBB46_17:                              ;   in Loop: Header=BB46_19 Depth=1
	s_or_b64 exec, exec, s[2:3]
	ds_read_b128 v[24:27], v18
	ds_read_b128 v[28:31], v18 offset:16
	ds_read_b128 v[32:35], v0 offset:384
	;; [unrolled: 1-line block ×3, first 2 shown]
	ds_read_b64 v[48:49], v21 offset:48
	ds_read_b128 v[40:43], v0 offset:400
	ds_read_b128 v[44:47], v0 offset:416
	v_mul_f32_e32 v9, v10, v10
	v_fmac_f32_e32 v9, v8, v8
	s_waitcnt lgkmcnt(2)
	v_pk_fma_f32 v[48:49], v[32:33], v[24:25], v[48:49] op_sel_hi:[1,0,1]
	v_pk_fma_f32 v[24:25], v[32:33], v[24:25], v[48:49] op_sel:[1,1,0] op_sel_hi:[0,1,1] neg_hi:[0,1,0]
	v_div_scale_f32 v11, s[2:3], v9, v9, 1.0
	v_mov_b32_e32 v50, v35
	v_mov_b32_e32 v51, v34
	v_pk_fma_f32 v[24:25], v[34:35], v[26:27], v[24:25] op_sel_hi:[1,0,1]
	v_rcp_f32_e32 v32, v11
	v_mov_b32_e32 v26, v27
	v_pk_fma_f32 v[24:25], v[50:51], v[26:27], v[24:25] op_sel_hi:[1,0,1] neg_hi:[0,1,0]
	s_waitcnt lgkmcnt(1)
	v_pk_fma_f32 v[24:25], v[40:41], v[28:29], v[24:25] op_sel_hi:[1,0,1]
	v_pk_fma_f32 v[24:25], v[40:41], v[28:29], v[24:25] op_sel:[0,1,1] op_sel_hi:[1,1,0] neg_lo:[0,1,0]
	v_mov_b32_e32 v28, v43
	v_mov_b32_e32 v29, v42
	v_fma_f32 v26, -v11, v32, 1.0
	v_pk_fma_f32 v[24:25], v[28:29], v[30:31], v[24:25] op_sel_hi:[1,0,1]
	v_mov_b32_e32 v28, v31
	v_fmac_f32_e32 v32, v26, v32
	v_div_scale_f32 v26, vcc, 1.0, v9, 1.0
	v_pk_fma_f32 v[24:25], v[42:43], v[28:29], v[24:25] op_sel_hi:[1,0,1] neg_lo:[0,1,0]
	v_mul_f32_e32 v27, v26, v32
	s_waitcnt lgkmcnt(0)
	v_pk_fma_f32 v[24:25], v[44:45], v[36:37], v[24:25] op_sel:[1,0,0] op_sel_hi:[0,0,1]
	v_fma_f32 v33, -v11, v27, v26
	v_pk_fma_f32 v[24:25], v[44:45], v[36:37], v[24:25] op_sel:[0,1,0] neg_lo:[0,1,0]
	v_mov_b32_e32 v28, v47
	v_mov_b32_e32 v29, v46
	v_fmac_f32_e32 v27, v33, v32
	v_pk_fma_f32 v[24:25], v[28:29], v[38:39], v[24:25] op_sel_hi:[1,0,1]
	v_mov_b32_e32 v28, v39
	v_fma_f32 v11, -v11, v27, v26
	v_pk_fma_f32 v[24:25], v[46:47], v[28:29], v[24:25] op_sel_hi:[1,0,1] neg_lo:[0,1,0]
	v_mov_b32_e32 v28, v7
	v_mov_b32_e32 v29, v6
	v_div_fmas_f32 v11, v11, v32, v27
	v_pk_add_f32 v[6:7], v[28:29], v[24:25] neg_lo:[0,1] neg_hi:[0,1]
	v_div_fixup_f32 v26, v11, v9, 1.0
	v_pk_mul_f32 v[10:11], v[10:11], v[6:7] op_sel:[0,1] op_sel_hi:[0,0] neg_lo:[0,1]
	v_pk_fma_f32 v[6:7], v[6:7], v[8:9], v[10:11] op_sel_hi:[1,0,1]
	v_pk_mul_f32 v[6:7], v[26:27], v[6:7] op_sel_hi:[0,1]
	v_mov_b32_e32 v8, v7
	v_mov_b32_e32 v9, v6
	ds_write_b64 v18, v[8:9] offset:48
	s_waitcnt lgkmcnt(0)
	ds_read_b64 v[8:9], v23 offset:48
	ds_read_b64 v[10:11], v3
	s_add_i32 s22, s22, 1
	s_cmp_ge_i32 s22, s30
	s_cselect_b64 s[26:27], -1, 0
	s_waitcnt lgkmcnt(0)
	v_pk_fma_f32 v[10:11], v[6:7], v[8:9], v[10:11] op_sel:[1,0,0] op_sel_hi:[0,0,1]
	v_pk_fma_f32 v[6:7], v[6:7], v[8:9], v[10:11] op_sel:[0,1,0] neg_hi:[0,1,0]
	ds_write_b64 v3, v[6:7]
	s_waitcnt lgkmcnt(0)
	ds_read_b64 v[6:7], v19
	s_waitcnt lgkmcnt(0)
	global_store_dwordx2 v[4:5], v[6:7], off
	s_waitcnt vmcnt(0)
	buffer_wbinvl1_vol
.LBB46_18:                              ;   in Loop: Header=BB46_19 Depth=1
	s_and_b64 vcc, exec, s[26:27]
	s_cbranch_vccnz .LBB46_68
.LBB46_19:                              ; =>This Loop Header: Depth=1
                                        ;     Child Loop BB46_22 Depth 2
                                        ;     Child Loop BB46_33 Depth 2
	;; [unrolled: 1-line block ×3, first 2 shown]
	s_ashr_i32 s23, s22, 31
	s_lshl_b64 s[2:3], s[22:23], 2
	s_add_u32 s2, s18, s2
	s_addc_u32 s3, s19, s3
	s_load_dword s23, s[2:3], 0x0
	s_waitcnt lgkmcnt(0)
	s_sub_i32 s24, s23, s13
	s_ashr_i32 s25, s24, 31
	s_lshl_b64 s[2:3], s[24:25], 2
	s_add_u32 s26, s8, s2
	s_addc_u32 s27, s9, s3
	s_load_dword s25, s[26:27], 0x0
	s_mov_b64 s[26:27], -1
	s_waitcnt lgkmcnt(0)
	s_cmp_eq_u32 s25, -1
	s_cbranch_scc1 .LBB46_18
; %bb.20:                               ;   in Loop: Header=BB46_19 Depth=1
	v_mad_u64_u32 v[4:5], s[26:27], s22, 49, v[2:3]
	v_ashrrev_i32_e32 v5, 31, v4
	v_lshlrev_b64 v[4:5], 3, v[4:5]
	v_mov_b32_e32 v6, s21
	v_add_co_u32_e32 v4, vcc, s20, v4
	v_addc_co_u32_e32 v5, vcc, v6, v5, vcc
	global_load_dwordx2 v[6:7], v[4:5], off
	s_add_u32 s26, s16, s2
	s_addc_u32 s27, s17, s3
	s_load_dword s26, s[26:27], 0x0
	ds_read_b32 v8, v0 offset:2048
	s_mov_b32 s27, 0
	s_waitcnt lgkmcnt(0)
	s_sub_i32 s26, s26, s13
	s_cmp_le_i32 s26, s25
	v_cmp_ge_i32_e32 vcc, s24, v8
	s_cselect_b64 s[28:29], -1, 0
	s_and_b64 s[28:29], s[28:29], vcc
	s_andn2_b64 vcc, exec, s[28:29]
	s_waitcnt vmcnt(0)
	ds_write_b64 v19, v[6:7]
	s_cbranch_vccnz .LBB46_32
; %bb.21:                               ;   in Loop: Header=BB46_19 Depth=1
	s_mov_b32 s34, 0
	s_mov_b32 s35, 0
.LBB46_22:                              ;   Parent Loop BB46_19 Depth=1
                                        ; =>  This Inner Loop Header: Depth=2
	s_ashr_i32 s27, s26, 31
	s_lshl_b64 s[28:29], s[26:27], 2
	s_add_u32 s28, s18, s28
	s_addc_u32 s29, s19, s29
	s_load_dword s27, s[28:29], 0x0
	s_lshl_b32 s28, s35, 2
	v_mov_b32_e32 v6, s28
	ds_read_b32 v6, v6 offset:2048
	s_mov_b64 s[28:29], -1
	s_waitcnt lgkmcnt(0)
	s_sub_i32 s39, s27, s13
                                        ; implicit-def: $sgpr27
                                        ; implicit-def: $sgpr38
                                        ; implicit-def: $sgpr37
	v_cmp_ge_i32_e32 vcc, s39, v6
	v_readfirstlane_b32 s36, v6
	s_cbranch_vccz .LBB46_28
; %bb.23:                               ;   in Loop: Header=BB46_22 Depth=2
	s_cmp_le_i32 s39, s36
                                        ; implicit-def: $sgpr27
                                        ; implicit-def: $sgpr38
                                        ; implicit-def: $sgpr37
	s_cbranch_scc0 .LBB46_25
; %bb.24:                               ;   in Loop: Header=BB46_22 Depth=2
	s_add_i32 s27, s35, s31
	s_mul_i32 s27, s27, 49
	s_lshl_b32 s28, s34, 2
	v_mov_b32_e32 v6, s28
	v_mov_b32_e32 v7, s27
	s_mul_i32 s27, s26, 49
	v_mov_b32_e32 v8, s27
	v_add_u32_e32 v6, 0x400, v6
	ds_write2_b32 v6, v8, v7 offset0:192 offset1:224
	s_add_i32 s37, s35, 1
	s_add_i32 s38, s26, 1
	;; [unrolled: 1-line block ×3, first 2 shown]
	s_mov_b64 s[28:29], 0
.LBB46_25:                              ;   in Loop: Header=BB46_22 Depth=2
	s_andn2_b64 vcc, exec, s[28:29]
	s_cbranch_vccnz .LBB46_27
; %bb.26:                               ;   in Loop: Header=BB46_22 Depth=2
	s_add_i32 s37, s35, 1
	s_mov_b32 s27, s34
	s_mov_b32 s38, s26
.LBB46_27:                              ;   in Loop: Header=BB46_22 Depth=2
	s_mov_b64 s[28:29], 0
.LBB46_28:                              ;   in Loop: Header=BB46_22 Depth=2
	s_andn2_b64 vcc, exec, s[28:29]
	s_cbranch_vccnz .LBB46_30
; %bb.29:                               ;   in Loop: Header=BB46_22 Depth=2
	s_add_i32 s38, s26, 1
	s_mov_b32 s37, s35
	s_mov_b32 s27, s34
.LBB46_30:                              ;   in Loop: Header=BB46_22 Depth=2
	s_cmp_le_i32 s38, s25
	s_cselect_b64 s[28:29], -1, 0
	s_cmp_le_i32 s36, s24
	s_cselect_b64 s[34:35], -1, 0
	s_and_b64 s[28:29], s[28:29], s[34:35]
	s_and_b64 vcc, exec, s[28:29]
	s_cbranch_vccz .LBB46_32
; %bb.31:                               ;   in Loop: Header=BB46_22 Depth=2
	s_mov_b32 s34, s27
	s_mov_b32 s26, s38
	;; [unrolled: 1-line block ×3, first 2 shown]
	s_branch .LBB46_22
.LBB46_32:                              ;   in Loop: Header=BB46_19 Depth=1
	s_add_u32 s2, s10, s2
	s_addc_u32 s3, s11, s3
	s_waitcnt lgkmcnt(0)
.LBB46_33:                              ;   Parent Loop BB46_19 Depth=1
                                        ; =>  This Inner Loop Header: Depth=2
	global_load_dword v6, v0, s[2:3] glc
	s_waitcnt vmcnt(0)
	v_cmp_eq_u32_e32 vcc, 0, v6
	s_cbranch_vccnz .LBB46_33
; %bb.34:                               ;   in Loop: Header=BB46_19 Depth=1
	v_mad_u64_u32 v[6:7], s[2:3], s25, 49, v[2:3]
	v_ashrrev_i32_e32 v7, 31, v6
	v_lshlrev_b64 v[6:7], 3, v[6:7]
	v_mov_b32_e32 v8, s21
	v_add_co_u32_e32 v6, vcc, s20, v6
	v_addc_co_u32_e32 v7, vcc, v8, v7, vcc
	buffer_wbinvl1_vol
	global_load_dwordx2 v[6:7], v[6:7], off
	v_mov_b32_e32 v11, 0
	s_cmp_lt_i32 s27, 2
	v_mov_b32_e32 v10, v11
	s_waitcnt vmcnt(0)
	ds_write_b64 v20, v[6:7]
	s_waitcnt lgkmcnt(0)
	s_cbranch_scc1 .LBB46_41
; %bb.35:                               ;   in Loop: Header=BB46_19 Depth=1
	v_mov_b32_e32 v10, 0
	s_add_i32 s24, s27, -1
	s_movk_i32 s25, 0x700
	v_mov_b32_e32 v11, v10
	s_branch .LBB46_37
.LBB46_36:                              ;   in Loop: Header=BB46_37 Depth=2
	s_add_i32 s24, s24, -1
	s_add_i32 s25, s25, 4
	s_cmp_eq_u32 s24, 0
	s_cbranch_scc1 .LBB46_41
.LBB46_37:                              ;   Parent Loop BB46_19 Depth=1
                                        ; =>  This Inner Loop Header: Depth=2
	v_mov_b32_e32 v7, s25
	s_waitcnt lgkmcnt(0)
	ds_read2_b32 v[8:9], v7 offset1:32
	v_mov_b32_e32 v6, v10
	v_mov_b32_e32 v7, v11
	s_and_b64 vcc, exec, s[4:5]
	s_cbranch_vccz .LBB46_39
; %bb.38:                               ;   in Loop: Header=BB46_37 Depth=2
	s_waitcnt lgkmcnt(0)
	v_add_u32_e32 v10, v8, v12
	v_ashrrev_i32_e32 v11, 31, v10
	v_lshlrev_b64 v[24:25], 3, v[10:11]
	v_add_u32_e32 v26, v9, v13
	v_mov_b32_e32 v58, s21
	v_add_co_u32_e32 v24, vcc, s20, v24
	v_ashrrev_i32_e32 v27, 31, v26
	v_addc_co_u32_e32 v25, vcc, v58, v25, vcc
	v_lshlrev_b64 v[28:29], 3, v[26:27]
	v_add_u32_e32 v30, 7, v10
	v_add_co_u32_e32 v28, vcc, s20, v28
	v_ashrrev_i32_e32 v31, 31, v30
	v_addc_co_u32_e32 v29, vcc, v58, v29, vcc
	v_lshlrev_b64 v[30:31], 3, v[30:31]
	v_add_u32_e32 v32, 7, v26
	;; [unrolled: 5-line block ×4, first 2 shown]
	v_add_co_u32_e32 v34, vcc, s20, v34
	v_ashrrev_i32_e32 v37, 31, v36
	v_addc_co_u32_e32 v35, vcc, v58, v35, vcc
	v_lshlrev_b64 v[36:37], 3, v[36:37]
	global_load_dwordx2 v[38:39], v[32:33], off
	global_load_dwordx2 v[40:41], v[30:31], off
	;; [unrolled: 1-line block ×4, first 2 shown]
	v_add_u32_e32 v24, 21, v10
	v_add_co_u32_e32 v36, vcc, s20, v36
	v_ashrrev_i32_e32 v25, 31, v24
	v_addc_co_u32_e32 v37, vcc, v58, v37, vcc
	v_lshlrev_b64 v[24:25], 3, v[24:25]
	v_add_u32_e32 v28, 21, v26
	v_add_co_u32_e32 v24, vcc, s20, v24
	v_ashrrev_i32_e32 v29, 31, v28
	v_addc_co_u32_e32 v25, vcc, v58, v25, vcc
	v_lshlrev_b64 v[28:29], 3, v[28:29]
	v_add_co_u32_e32 v28, vcc, s20, v28
	v_addc_co_u32_e32 v29, vcc, v58, v29, vcc
	global_load_dwordx2 v[30:31], v[28:29], off
	global_load_dwordx2 v[32:33], v[24:25], off
	;; [unrolled: 1-line block ×4, first 2 shown]
	v_add_u32_e32 v24, 28, v10
	v_ashrrev_i32_e32 v25, 31, v24
	v_lshlrev_b64 v[24:25], 3, v[24:25]
	v_add_u32_e32 v28, 28, v26
	v_add_co_u32_e32 v24, vcc, s20, v24
	v_ashrrev_i32_e32 v29, 31, v28
	v_addc_co_u32_e32 v25, vcc, v58, v25, vcc
	v_lshlrev_b64 v[28:29], 3, v[28:29]
	v_add_u32_e32 v34, 35, v10
	v_add_co_u32_e32 v28, vcc, s20, v28
	v_ashrrev_i32_e32 v35, 31, v34
	v_addc_co_u32_e32 v29, vcc, v58, v29, vcc
	;; [unrolled: 5-line block ×4, first 2 shown]
	v_lshlrev_b64 v[10:11], 3, v[10:11]
	v_add_u32_e32 v26, 42, v26
	v_add_co_u32_e32 v10, vcc, s20, v10
	v_ashrrev_i32_e32 v27, 31, v26
	global_load_dwordx2 v[50:51], v[36:37], off
	global_load_dwordx2 v[52:53], v[34:35], off
	;; [unrolled: 1-line block ×4, first 2 shown]
	v_addc_co_u32_e32 v11, vcc, v58, v11, vcc
	v_lshlrev_b64 v[26:27], 3, v[26:27]
	v_add_co_u32_e32 v24, vcc, s20, v26
	v_addc_co_u32_e32 v25, vcc, v58, v27, vcc
	global_load_dwordx2 v[26:27], v[24:25], off
	global_load_dwordx2 v[28:29], v[10:11], off
	s_waitcnt vmcnt(10)
	v_pk_fma_f32 v[10:11], v[44:45], v[42:43], v[6:7] op_sel_hi:[1,0,1]
	v_pk_fma_f32 v[10:11], v[44:45], v[42:43], v[10:11] op_sel:[1,1,0] op_sel_hi:[0,1,1] neg_hi:[0,1,0]
	v_pk_fma_f32 v[10:11], v[40:41], v[38:39], v[10:11] op_sel_hi:[1,0,1]
	v_pk_fma_f32 v[10:11], v[40:41], v[38:39], v[10:11] op_sel:[1,1,0] op_sel_hi:[0,1,1] neg_hi:[0,1,0]
	s_waitcnt vmcnt(6)
	v_pk_fma_f32 v[10:11], v[48:49], v[46:47], v[10:11] op_sel_hi:[1,0,1]
	v_pk_fma_f32 v[10:11], v[48:49], v[46:47], v[10:11] op_sel:[1,1,0] op_sel_hi:[0,1,1] neg_hi:[0,1,0]
	v_pk_fma_f32 v[10:11], v[32:33], v[30:31], v[10:11] op_sel_hi:[1,0,1]
	v_pk_fma_f32 v[10:11], v[32:33], v[30:31], v[10:11] op_sel:[1,1,0] op_sel_hi:[0,1,1] neg_hi:[0,1,0]
	;; [unrolled: 5-line block ×3, first 2 shown]
	s_waitcnt vmcnt(0)
	v_pk_fma_f32 v[10:11], v[28:29], v[26:27], v[10:11] op_sel_hi:[1,0,1]
	v_pk_fma_f32 v[10:11], v[28:29], v[26:27], v[10:11] op_sel:[1,1,0] op_sel_hi:[0,1,1] neg_hi:[0,1,0]
	s_cbranch_execnz .LBB46_36
	s_branch .LBB46_40
.LBB46_39:                              ;   in Loop: Header=BB46_37 Depth=2
                                        ; implicit-def: $vgpr11
.LBB46_40:                              ;   in Loop: Header=BB46_37 Depth=2
	s_waitcnt lgkmcnt(0)
	v_add_u32_e32 v10, v8, v17
	v_ashrrev_i32_e32 v11, 31, v10
	v_lshlrev_b64 v[10:11], 3, v[10:11]
	v_add_u32_e32 v8, v9, v15
	v_mov_b32_e32 v24, s21
	v_add_co_u32_e32 v44, vcc, s20, v10
	v_ashrrev_i32_e32 v9, 31, v8
	v_addc_co_u32_e32 v45, vcc, v24, v11, vcc
	v_lshlrev_b64 v[8:9], 3, v[8:9]
	v_add_co_u32_e32 v46, vcc, s20, v8
	v_addc_co_u32_e32 v47, vcc, v24, v9, vcc
	global_load_dwordx4 v[8:11], v[46:47], off
	global_load_dwordx4 v[24:27], v[44:45], off
	global_load_dwordx4 v[28:31], v[44:45], off offset:16
	global_load_dwordx4 v[32:35], v[46:47], off offset:16
	;; [unrolled: 1-line block ×4, first 2 shown]
	global_load_dwordx2 v[48:49], v[46:47], off offset:48
	global_load_dwordx2 v[50:51], v[44:45], off offset:48
	s_waitcnt vmcnt(7)
	v_mov_b32_e32 v46, v11
	s_waitcnt vmcnt(6)
	v_pk_fma_f32 v[6:7], v[24:25], v[8:9], v[6:7] op_sel_hi:[1,0,1]
	v_pk_fma_f32 v[6:7], v[24:25], v[8:9], v[6:7] op_sel:[1,1,0] op_sel_hi:[0,1,1] neg_hi:[0,1,0]
	v_mov_b32_e32 v44, v27
	v_mov_b32_e32 v45, v26
	v_pk_fma_f32 v[6:7], v[26:27], v[10:11], v[6:7] op_sel_hi:[1,0,1]
	v_pk_fma_f32 v[6:7], v[44:45], v[46:47], v[6:7] op_sel_hi:[1,0,1] neg_hi:[0,1,0]
	s_waitcnt vmcnt(4)
	v_pk_fma_f32 v[6:7], v[28:29], v[32:33], v[6:7] op_sel_hi:[1,0,1]
	v_pk_fma_f32 v[6:7], v[28:29], v[32:33], v[6:7] op_sel:[1,1,0] op_sel_hi:[0,1,1] neg_hi:[0,1,0]
	v_mov_b32_e32 v52, v31
	v_mov_b32_e32 v53, v30
	;; [unrolled: 1-line block ×3, first 2 shown]
	v_pk_fma_f32 v[6:7], v[30:31], v[34:35], v[6:7] op_sel_hi:[1,0,1]
	v_pk_fma_f32 v[6:7], v[52:53], v[54:55], v[6:7] op_sel_hi:[1,0,1] neg_hi:[0,1,0]
	s_waitcnt vmcnt(2)
	v_pk_fma_f32 v[6:7], v[36:37], v[40:41], v[6:7] op_sel_hi:[1,0,1]
	v_pk_fma_f32 v[6:7], v[36:37], v[40:41], v[6:7] op_sel:[1,1,0] op_sel_hi:[0,1,1] neg_hi:[0,1,0]
	v_mov_b32_e32 v56, v39
	v_mov_b32_e32 v57, v38
	v_pk_fma_f32 v[6:7], v[38:39], v[42:43], v[6:7] op_sel_hi:[1,0,1]
	v_mov_b32_e32 v8, v43
	v_pk_fma_f32 v[6:7], v[56:57], v[8:9], v[6:7] op_sel_hi:[1,0,1] neg_hi:[0,1,0]
	s_waitcnt vmcnt(0)
	v_pk_fma_f32 v[6:7], v[50:51], v[48:49], v[6:7] op_sel_hi:[1,0,1]
	v_pk_fma_f32 v[10:11], v[50:51], v[48:49], v[6:7] op_sel:[1,1,0] op_sel_hi:[0,1,1] neg_hi:[0,1,0]
	s_branch .LBB46_36
.LBB46_41:                              ;   in Loop: Header=BB46_19 Depth=1
	ds_write_b64 v22, v[10:11]
	s_waitcnt lgkmcnt(0)
	ds_read_b64 v[8:9], v0
	ds_read_b64 v[6:7], v18
	s_waitcnt lgkmcnt(1)
	v_cmp_neq_f32_e32 vcc, 0, v8
	v_cmp_neq_f32_e64 s[2:3], 0, v9
	s_or_b64 vcc, vcc, s[2:3]
	s_or_b64 s[2:3], vcc, s[0:1]
	v_cndmask_b32_e32 v8, 1.0, v8, vcc
	s_xor_b64 s[24:25], s[2:3], -1
	v_cndmask_b32_e32 v10, 0, v9, vcc
	s_and_saveexec_b64 s[2:3], s[24:25]
	s_cbranch_execz .LBB46_45
; %bb.42:                               ;   in Loop: Header=BB46_19 Depth=1
	v_mbcnt_lo_u32_b32 v8, exec_lo, 0
	v_mbcnt_hi_u32_b32 v8, exec_hi, v8
	v_cmp_eq_u32_e32 vcc, 0, v8
	s_and_saveexec_b64 s[24:25], vcc
	s_cbranch_execz .LBB46_44
; %bb.43:                               ;   in Loop: Header=BB46_19 Depth=1
	v_mov_b32_e32 v8, s23
	global_atomic_smin v0, v8, s[14:15]
.LBB46_44:                              ;   in Loop: Header=BB46_19 Depth=1
	s_or_b64 exec, exec, s[24:25]
	v_mov_b32_e32 v8, 1.0
	v_mov_b32_e32 v10, 0
.LBB46_45:                              ;   in Loop: Header=BB46_19 Depth=1
	s_or_b64 exec, exec, s[2:3]
	v_mul_f32_e32 v9, v10, v10
	v_fmac_f32_e32 v9, v8, v8
	v_div_scale_f32 v11, s[2:3], v9, v9, 1.0
	v_rcp_f32_e32 v26, v11
	v_div_scale_f32 v24, vcc, 1.0, v9, 1.0
	s_waitcnt lgkmcnt(0)
	v_mov_b32_e32 v28, v7
	v_fma_f32 v25, -v11, v26, 1.0
	v_fmac_f32_e32 v26, v25, v26
	v_mul_f32_e32 v27, v24, v26
	v_fma_f32 v25, -v11, v27, v24
	v_fmac_f32_e32 v27, v25, v26
	v_fma_f32 v11, -v11, v27, v24
	ds_read_b64 v[24:25], v21
	v_mov_b32_e32 v29, v6
	v_div_fmas_f32 v11, v11, v26, v27
	v_div_fixup_f32 v26, v11, v9, 1.0
	s_waitcnt lgkmcnt(0)
	v_pk_add_f32 v[6:7], v[28:29], v[24:25] op_sel:[0,1] op_sel_hi:[1,0] neg_lo:[0,1] neg_hi:[0,1]
	v_pk_mul_f32 v[10:11], v[10:11], v[6:7] op_sel:[0,1] op_sel_hi:[0,0] neg_lo:[0,1]
	v_pk_fma_f32 v[6:7], v[6:7], v[8:9], v[10:11] op_sel_hi:[1,0,1]
	v_pk_mul_f32 v[6:7], v[26:27], v[6:7] op_sel_hi:[0,1]
	v_mov_b32_e32 v8, v7
	v_mov_b32_e32 v9, v6
	ds_write_b64 v18, v[8:9]
	s_waitcnt lgkmcnt(0)
	ds_read_b64 v[8:9], v23
	ds_read_b64 v[10:11], v3
	s_waitcnt lgkmcnt(0)
	v_pk_fma_f32 v[10:11], v[6:7], v[8:9], v[10:11] op_sel:[1,0,0] op_sel_hi:[0,0,1]
	v_pk_fma_f32 v[6:7], v[6:7], v[8:9], v[10:11] op_sel:[0,1,0] neg_hi:[0,1,0]
	ds_write_b64 v3, v[6:7]
	s_waitcnt lgkmcnt(0)
	ds_read_b64 v[8:9], v0 offset:72
	ds_read_b64 v[6:7], v18 offset:8
	s_waitcnt lgkmcnt(1)
	v_cmp_neq_f32_e32 vcc, 0, v8
	v_cmp_neq_f32_e64 s[2:3], 0, v9
	s_or_b64 vcc, vcc, s[2:3]
	s_or_b64 s[2:3], vcc, s[0:1]
	v_cndmask_b32_e32 v8, 1.0, v8, vcc
	s_xor_b64 s[24:25], s[2:3], -1
	v_cndmask_b32_e32 v10, 0, v9, vcc
	s_and_saveexec_b64 s[2:3], s[24:25]
	s_cbranch_execz .LBB46_49
; %bb.46:                               ;   in Loop: Header=BB46_19 Depth=1
	v_mbcnt_lo_u32_b32 v8, exec_lo, 0
	v_mbcnt_hi_u32_b32 v8, exec_hi, v8
	v_cmp_eq_u32_e32 vcc, 0, v8
	s_and_saveexec_b64 s[24:25], vcc
	s_cbranch_execz .LBB46_48
; %bb.47:                               ;   in Loop: Header=BB46_19 Depth=1
	v_mov_b32_e32 v8, s23
	global_atomic_smin v0, v8, s[14:15]
.LBB46_48:                              ;   in Loop: Header=BB46_19 Depth=1
	s_or_b64 exec, exec, s[24:25]
	v_mov_b32_e32 v8, 1.0
	v_mov_b32_e32 v10, 0
.LBB46_49:                              ;   in Loop: Header=BB46_19 Depth=1
	s_or_b64 exec, exec, s[2:3]
	v_mul_f32_e32 v9, v10, v10
	v_fmac_f32_e32 v9, v8, v8
	v_div_scale_f32 v11, s[2:3], v9, v9, 1.0
	v_rcp_f32_e32 v30, v11
	v_div_scale_f32 v31, vcc, 1.0, v9, 1.0
	ds_read_b64 v[24:25], v18
	v_fma_f32 v26, -v11, v30, 1.0
	v_fmac_f32_e32 v30, v26, v30
	v_mul_f32_e32 v32, v31, v30
	v_fma_f32 v26, -v11, v32, v31
	v_fmac_f32_e32 v32, v26, v30
	ds_read_b64 v[26:27], v0 offset:64
	ds_read_b64 v[28:29], v21 offset:8
	v_fma_f32 v11, -v11, v32, v31
	v_div_fmas_f32 v11, v11, v30, v32
	v_div_fixup_f32 v30, v11, v9, 1.0
	s_waitcnt lgkmcnt(0)
	v_pk_fma_f32 v[28:29], v[26:27], v[24:25], v[28:29] op_sel_hi:[1,0,1]
	v_pk_fma_f32 v[24:25], v[26:27], v[24:25], v[28:29] op_sel:[0,1,1] op_sel_hi:[1,1,0] neg_lo:[0,1,0]
	v_mov_b32_e32 v26, v7
	v_mov_b32_e32 v27, v6
	v_pk_add_f32 v[6:7], v[26:27], v[24:25] neg_lo:[0,1] neg_hi:[0,1]
	v_pk_mul_f32 v[10:11], v[10:11], v[6:7] op_sel:[0,1] op_sel_hi:[0,0] neg_lo:[0,1]
	v_pk_fma_f32 v[6:7], v[6:7], v[8:9], v[10:11] op_sel_hi:[1,0,1]
	v_pk_mul_f32 v[6:7], v[30:31], v[6:7] op_sel_hi:[0,1]
	v_mov_b32_e32 v8, v7
	v_mov_b32_e32 v9, v6
	ds_write_b64 v18, v[8:9] offset:8
	s_waitcnt lgkmcnt(0)
	ds_read_b64 v[8:9], v23 offset:8
	ds_read_b64 v[10:11], v3
	s_waitcnt lgkmcnt(0)
	v_pk_fma_f32 v[10:11], v[6:7], v[8:9], v[10:11] op_sel:[1,0,0] op_sel_hi:[0,0,1]
	v_pk_fma_f32 v[6:7], v[6:7], v[8:9], v[10:11] op_sel:[0,1,0] neg_hi:[0,1,0]
	ds_write_b64 v3, v[6:7]
	s_waitcnt lgkmcnt(0)
	ds_read_b64 v[8:9], v0 offset:144
	ds_read_b64 v[6:7], v18 offset:16
	s_waitcnt lgkmcnt(1)
	v_cmp_neq_f32_e32 vcc, 0, v8
	v_cmp_neq_f32_e64 s[2:3], 0, v9
	s_or_b64 vcc, vcc, s[2:3]
	s_or_b64 s[2:3], vcc, s[0:1]
	v_cndmask_b32_e32 v8, 1.0, v8, vcc
	s_xor_b64 s[24:25], s[2:3], -1
	v_cndmask_b32_e32 v10, 0, v9, vcc
	s_and_saveexec_b64 s[2:3], s[24:25]
	s_cbranch_execz .LBB46_53
; %bb.50:                               ;   in Loop: Header=BB46_19 Depth=1
	v_mbcnt_lo_u32_b32 v8, exec_lo, 0
	v_mbcnt_hi_u32_b32 v8, exec_hi, v8
	v_cmp_eq_u32_e32 vcc, 0, v8
	s_and_saveexec_b64 s[24:25], vcc
	s_cbranch_execz .LBB46_52
; %bb.51:                               ;   in Loop: Header=BB46_19 Depth=1
	v_mov_b32_e32 v8, s23
	global_atomic_smin v0, v8, s[14:15]
.LBB46_52:                              ;   in Loop: Header=BB46_19 Depth=1
	s_or_b64 exec, exec, s[24:25]
	v_mov_b32_e32 v8, 1.0
	v_mov_b32_e32 v10, 0
.LBB46_53:                              ;   in Loop: Header=BB46_19 Depth=1
	s_or_b64 exec, exec, s[2:3]
	v_mul_f32_e32 v9, v10, v10
	v_fmac_f32_e32 v9, v8, v8
	v_div_scale_f32 v11, s[2:3], v9, v9, 1.0
	v_rcp_f32_e32 v34, v11
	v_div_scale_f32 v35, vcc, 1.0, v9, 1.0
	v_fma_f32 v24, -v11, v34, 1.0
	v_fmac_f32_e32 v34, v24, v34
	v_mul_f32_e32 v36, v35, v34
	v_fma_f32 v24, -v11, v36, v35
	v_fmac_f32_e32 v36, v24, v34
	ds_read_b128 v[24:27], v0 offset:128
	ds_read_b128 v[28:31], v18
	ds_read_b64 v[32:33], v21 offset:16
	v_fma_f32 v11, -v11, v36, v35
	v_div_fmas_f32 v11, v11, v34, v36
	v_div_fixup_f32 v34, v11, v9, 1.0
	s_waitcnt lgkmcnt(0)
	v_pk_fma_f32 v[32:33], v[24:25], v[28:29], v[32:33] op_sel_hi:[1,0,1]
	v_pk_fma_f32 v[24:25], v[24:25], v[28:29], v[32:33] op_sel:[0,1,1] op_sel_hi:[1,1,0] neg_lo:[0,1,0]
	v_mov_b32_e32 v28, v27
	v_mov_b32_e32 v29, v26
	v_pk_fma_f32 v[24:25], v[28:29], v[30:31], v[24:25] op_sel_hi:[1,0,1]
	v_mov_b32_e32 v28, v31
	v_pk_fma_f32 v[24:25], v[26:27], v[28:29], v[24:25] op_sel_hi:[1,0,1] neg_lo:[0,1,0]
	v_mov_b32_e32 v26, v7
	v_mov_b32_e32 v27, v6
	v_pk_add_f32 v[6:7], v[26:27], v[24:25] neg_lo:[0,1] neg_hi:[0,1]
	v_pk_mul_f32 v[10:11], v[10:11], v[6:7] op_sel:[0,1] op_sel_hi:[0,0] neg_lo:[0,1]
	v_pk_fma_f32 v[6:7], v[6:7], v[8:9], v[10:11] op_sel_hi:[1,0,1]
	v_pk_mul_f32 v[6:7], v[34:35], v[6:7] op_sel_hi:[0,1]
	v_mov_b32_e32 v8, v7
	v_mov_b32_e32 v9, v6
	ds_write_b64 v18, v[8:9] offset:16
	s_waitcnt lgkmcnt(0)
	ds_read_b64 v[8:9], v23 offset:16
	ds_read_b64 v[10:11], v3
	s_waitcnt lgkmcnt(0)
	v_pk_fma_f32 v[10:11], v[6:7], v[8:9], v[10:11] op_sel:[1,0,0] op_sel_hi:[0,0,1]
	v_pk_fma_f32 v[6:7], v[6:7], v[8:9], v[10:11] op_sel:[0,1,0] neg_hi:[0,1,0]
	ds_write_b64 v3, v[6:7]
	s_waitcnt lgkmcnt(0)
	ds_read_b64 v[8:9], v0 offset:216
	ds_read_b64 v[6:7], v18 offset:24
	s_waitcnt lgkmcnt(1)
	v_cmp_neq_f32_e32 vcc, 0, v8
	v_cmp_neq_f32_e64 s[2:3], 0, v9
	s_or_b64 vcc, vcc, s[2:3]
	s_or_b64 s[2:3], vcc, s[0:1]
	v_cndmask_b32_e32 v8, 1.0, v8, vcc
	s_xor_b64 s[24:25], s[2:3], -1
	v_cndmask_b32_e32 v10, 0, v9, vcc
	s_and_saveexec_b64 s[2:3], s[24:25]
	s_cbranch_execz .LBB46_57
; %bb.54:                               ;   in Loop: Header=BB46_19 Depth=1
	v_mbcnt_lo_u32_b32 v8, exec_lo, 0
	v_mbcnt_hi_u32_b32 v8, exec_hi, v8
	v_cmp_eq_u32_e32 vcc, 0, v8
	s_and_saveexec_b64 s[24:25], vcc
	s_cbranch_execz .LBB46_56
; %bb.55:                               ;   in Loop: Header=BB46_19 Depth=1
	v_mov_b32_e32 v8, s23
	global_atomic_smin v0, v8, s[14:15]
.LBB46_56:                              ;   in Loop: Header=BB46_19 Depth=1
	s_or_b64 exec, exec, s[24:25]
	v_mov_b32_e32 v8, 1.0
	v_mov_b32_e32 v10, 0
.LBB46_57:                              ;   in Loop: Header=BB46_19 Depth=1
	s_or_b64 exec, exec, s[2:3]
	v_mul_f32_e32 v9, v10, v10
	v_fmac_f32_e32 v9, v8, v8
	v_div_scale_f32 v11, s[2:3], v9, v9, 1.0
	v_rcp_f32_e32 v36, v11
	ds_read_b128 v[24:27], v18
	ds_read_b64 v[32:33], v18 offset:16
	v_fma_f32 v28, -v11, v36, 1.0
	v_fmac_f32_e32 v36, v28, v36
	v_div_scale_f32 v28, vcc, 1.0, v9, 1.0
	v_mul_f32_e32 v37, v28, v36
	v_fma_f32 v29, -v11, v37, v28
	v_fmac_f32_e32 v37, v29, v36
	v_fma_f32 v11, -v11, v37, v28
	ds_read_b128 v[28:31], v0 offset:192
	ds_read_b64 v[34:35], v21 offset:24
	ds_read_b64 v[38:39], v0 offset:208
	v_div_fmas_f32 v11, v11, v36, v37
	v_div_fixup_f32 v36, v11, v9, 1.0
	s_waitcnt lgkmcnt(1)
	v_pk_fma_f32 v[34:35], v[28:29], v[24:25], v[34:35] op_sel_hi:[1,0,1]
	v_pk_fma_f32 v[24:25], v[28:29], v[24:25], v[34:35] op_sel:[0,1,1] op_sel_hi:[1,1,0] neg_lo:[0,1,0]
	v_mov_b32_e32 v28, v31
	v_mov_b32_e32 v29, v30
	v_pk_fma_f32 v[24:25], v[28:29], v[26:27], v[24:25] op_sel_hi:[1,0,1]
	v_mov_b32_e32 v26, v27
	v_pk_fma_f32 v[24:25], v[30:31], v[26:27], v[24:25] op_sel_hi:[1,0,1] neg_lo:[0,1,0]
	s_waitcnt lgkmcnt(0)
	v_pk_fma_f32 v[24:25], v[38:39], v[32:33], v[24:25] op_sel:[1,0,0] op_sel_hi:[0,0,1]
	v_pk_fma_f32 v[24:25], v[38:39], v[32:33], v[24:25] op_sel:[0,1,0] neg_lo:[0,1,0]
	v_mov_b32_e32 v26, v7
	v_mov_b32_e32 v27, v6
	v_pk_add_f32 v[6:7], v[26:27], v[24:25] neg_lo:[0,1] neg_hi:[0,1]
	v_pk_mul_f32 v[10:11], v[10:11], v[6:7] op_sel:[0,1] op_sel_hi:[0,0] neg_lo:[0,1]
	v_pk_fma_f32 v[6:7], v[6:7], v[8:9], v[10:11] op_sel_hi:[1,0,1]
	v_pk_mul_f32 v[6:7], v[36:37], v[6:7] op_sel_hi:[0,1]
	v_mov_b32_e32 v8, v7
	v_mov_b32_e32 v9, v6
	ds_write_b64 v18, v[8:9] offset:24
	s_waitcnt lgkmcnt(0)
	ds_read_b64 v[8:9], v23 offset:24
	ds_read_b64 v[10:11], v3
	s_waitcnt lgkmcnt(0)
	v_pk_fma_f32 v[10:11], v[6:7], v[8:9], v[10:11] op_sel:[1,0,0] op_sel_hi:[0,0,1]
	v_pk_fma_f32 v[6:7], v[6:7], v[8:9], v[10:11] op_sel:[0,1,0] neg_hi:[0,1,0]
	ds_write_b64 v3, v[6:7]
	s_waitcnt lgkmcnt(0)
	ds_read_b64 v[8:9], v0 offset:288
	ds_read_b64 v[6:7], v18 offset:32
	s_waitcnt lgkmcnt(1)
	v_cmp_neq_f32_e32 vcc, 0, v8
	v_cmp_neq_f32_e64 s[2:3], 0, v9
	s_or_b64 vcc, vcc, s[2:3]
	s_or_b64 s[2:3], vcc, s[0:1]
	v_cndmask_b32_e32 v8, 1.0, v8, vcc
	s_xor_b64 s[24:25], s[2:3], -1
	v_cndmask_b32_e32 v10, 0, v9, vcc
	s_and_saveexec_b64 s[2:3], s[24:25]
	s_cbranch_execz .LBB46_61
; %bb.58:                               ;   in Loop: Header=BB46_19 Depth=1
	v_mbcnt_lo_u32_b32 v8, exec_lo, 0
	v_mbcnt_hi_u32_b32 v8, exec_hi, v8
	v_cmp_eq_u32_e32 vcc, 0, v8
	s_and_saveexec_b64 s[24:25], vcc
	s_cbranch_execz .LBB46_60
; %bb.59:                               ;   in Loop: Header=BB46_19 Depth=1
	v_mov_b32_e32 v8, s23
	global_atomic_smin v0, v8, s[14:15]
.LBB46_60:                              ;   in Loop: Header=BB46_19 Depth=1
	s_or_b64 exec, exec, s[24:25]
	v_mov_b32_e32 v8, 1.0
	v_mov_b32_e32 v10, 0
.LBB46_61:                              ;   in Loop: Header=BB46_19 Depth=1
	s_or_b64 exec, exec, s[2:3]
	ds_read_b128 v[24:27], v0 offset:256
	ds_read_b64 v[40:41], v21 offset:32
	v_mul_f32_e32 v9, v10, v10
	ds_read_b128 v[28:31], v18
	v_fmac_f32_e32 v9, v8, v8
	v_div_scale_f32 v11, s[2:3], v9, v9, 1.0
	v_rcp_f32_e32 v42, v11
	ds_read_b128 v[32:35], v18 offset:16
	ds_read_b128 v[36:39], v0 offset:272
	s_waitcnt lgkmcnt(2)
	v_pk_fma_f32 v[40:41], v[24:25], v[28:29], v[40:41] op_sel_hi:[1,0,1]
	v_pk_fma_f32 v[24:25], v[24:25], v[28:29], v[40:41] op_sel:[0,1,1] op_sel_hi:[1,1,0] neg_lo:[0,1,0]
	v_mov_b32_e32 v28, v27
	v_mov_b32_e32 v29, v26
	v_fma_f32 v43, -v11, v42, 1.0
	v_pk_fma_f32 v[24:25], v[28:29], v[30:31], v[24:25] op_sel_hi:[1,0,1]
	v_mov_b32_e32 v28, v31
	v_fmac_f32_e32 v42, v43, v42
	v_div_scale_f32 v43, vcc, 1.0, v9, 1.0
	v_pk_fma_f32 v[24:25], v[26:27], v[28:29], v[24:25] op_sel_hi:[1,0,1] neg_lo:[0,1,0]
	v_mul_f32_e32 v44, v43, v42
	s_waitcnt lgkmcnt(0)
	v_pk_fma_f32 v[24:25], v[36:37], v[32:33], v[24:25] op_sel:[1,0,0] op_sel_hi:[0,0,1]
	v_fma_f32 v45, -v11, v44, v43
	v_pk_fma_f32 v[24:25], v[36:37], v[32:33], v[24:25] op_sel:[0,1,0] neg_lo:[0,1,0]
	v_mov_b32_e32 v26, v39
	v_mov_b32_e32 v27, v38
	v_fmac_f32_e32 v44, v45, v42
	v_pk_fma_f32 v[24:25], v[26:27], v[34:35], v[24:25] op_sel_hi:[1,0,1]
	v_mov_b32_e32 v26, v35
	v_fma_f32 v11, -v11, v44, v43
	v_pk_fma_f32 v[24:25], v[38:39], v[26:27], v[24:25] op_sel_hi:[1,0,1] neg_lo:[0,1,0]
	v_mov_b32_e32 v26, v7
	v_mov_b32_e32 v27, v6
	v_div_fmas_f32 v11, v11, v42, v44
	v_pk_add_f32 v[6:7], v[26:27], v[24:25] neg_lo:[0,1] neg_hi:[0,1]
	v_div_fixup_f32 v42, v11, v9, 1.0
	v_pk_mul_f32 v[10:11], v[10:11], v[6:7] op_sel:[0,1] op_sel_hi:[0,0] neg_lo:[0,1]
	v_pk_fma_f32 v[6:7], v[6:7], v[8:9], v[10:11] op_sel_hi:[1,0,1]
	v_pk_mul_f32 v[6:7], v[42:43], v[6:7] op_sel_hi:[0,1]
	v_mov_b32_e32 v8, v7
	v_mov_b32_e32 v9, v6
	ds_write_b64 v18, v[8:9] offset:32
	s_waitcnt lgkmcnt(0)
	ds_read_b64 v[8:9], v23 offset:32
	ds_read_b64 v[10:11], v3
	s_waitcnt lgkmcnt(0)
	v_pk_fma_f32 v[10:11], v[6:7], v[8:9], v[10:11] op_sel:[1,0,0] op_sel_hi:[0,0,1]
	v_pk_fma_f32 v[6:7], v[6:7], v[8:9], v[10:11] op_sel:[0,1,0] neg_hi:[0,1,0]
	ds_write_b64 v3, v[6:7]
	s_waitcnt lgkmcnt(0)
	ds_read_b64 v[8:9], v0 offset:360
	ds_read_b64 v[6:7], v18 offset:40
	s_waitcnt lgkmcnt(1)
	v_cmp_neq_f32_e32 vcc, 0, v8
	v_cmp_neq_f32_e64 s[2:3], 0, v9
	s_or_b64 vcc, vcc, s[2:3]
	s_or_b64 s[2:3], vcc, s[0:1]
	v_cndmask_b32_e32 v8, 1.0, v8, vcc
	s_xor_b64 s[24:25], s[2:3], -1
	v_cndmask_b32_e32 v10, 0, v9, vcc
	s_and_saveexec_b64 s[2:3], s[24:25]
	s_cbranch_execz .LBB46_65
; %bb.62:                               ;   in Loop: Header=BB46_19 Depth=1
	v_mbcnt_lo_u32_b32 v8, exec_lo, 0
	v_mbcnt_hi_u32_b32 v8, exec_hi, v8
	v_cmp_eq_u32_e32 vcc, 0, v8
	s_and_saveexec_b64 s[24:25], vcc
	s_cbranch_execz .LBB46_64
; %bb.63:                               ;   in Loop: Header=BB46_19 Depth=1
	v_mov_b32_e32 v8, s23
	global_atomic_smin v0, v8, s[14:15]
.LBB46_64:                              ;   in Loop: Header=BB46_19 Depth=1
	s_or_b64 exec, exec, s[24:25]
	v_mov_b32_e32 v8, 1.0
	v_mov_b32_e32 v10, 0
.LBB46_65:                              ;   in Loop: Header=BB46_19 Depth=1
	s_or_b64 exec, exec, s[2:3]
	ds_read_b128 v[24:27], v18
	ds_read_b128 v[28:31], v18 offset:16
	ds_read_b128 v[32:35], v0 offset:320
	;; [unrolled: 1-line block ×3, first 2 shown]
	ds_read_b64 v[40:41], v0 offset:352
	ds_read_b64 v[42:43], v18 offset:32
	;; [unrolled: 1-line block ×3, first 2 shown]
	v_mul_f32_e32 v9, v10, v10
	v_fmac_f32_e32 v9, v8, v8
	v_div_scale_f32 v11, s[2:3], v9, v9, 1.0
	v_rcp_f32_e32 v46, v11
	s_waitcnt lgkmcnt(0)
	v_pk_fma_f32 v[44:45], v[32:33], v[24:25], v[44:45] op_sel_hi:[1,0,1]
	v_pk_fma_f32 v[24:25], v[32:33], v[24:25], v[44:45] op_sel:[1,1,0] op_sel_hi:[0,1,1] neg_hi:[0,1,0]
	v_pk_fma_f32 v[24:25], v[34:35], v[26:27], v[24:25] op_sel_hi:[1,0,1]
	v_fma_f32 v26, -v11, v46, 1.0
	v_fmac_f32_e32 v46, v26, v46
	v_div_scale_f32 v26, vcc, 1.0, v9, 1.0
	v_mul_f32_e32 v32, v26, v46
	v_fma_f32 v33, -v11, v32, v26
	v_fmac_f32_e32 v32, v33, v46
	v_fma_f32 v11, -v11, v32, v26
	v_div_fmas_f32 v11, v11, v46, v32
	v_mov_b32_e32 v32, v27
	v_pk_fma_f32 v[24:25], v[34:35], v[32:33], v[24:25] op_sel:[0,0,1] op_sel_hi:[1,0,0] neg_lo:[0,1,0]
	v_pk_fma_f32 v[24:25], v[36:37], v[28:29], v[24:25] op_sel:[1,0,0] op_sel_hi:[0,0,1]
	v_pk_fma_f32 v[24:25], v[36:37], v[28:29], v[24:25] op_sel:[0,1,0] neg_lo:[0,1,0]
	v_mov_b32_e32 v28, v39
	v_mov_b32_e32 v29, v38
	v_pk_fma_f32 v[24:25], v[28:29], v[30:31], v[24:25] op_sel_hi:[1,0,1]
	v_mov_b32_e32 v28, v31
	v_pk_fma_f32 v[24:25], v[38:39], v[28:29], v[24:25] op_sel_hi:[1,0,1] neg_lo:[0,1,0]
	v_pk_fma_f32 v[24:25], v[40:41], v[42:43], v[24:25] op_sel:[1,0,0] op_sel_hi:[0,0,1]
	v_pk_fma_f32 v[24:25], v[40:41], v[42:43], v[24:25] op_sel:[0,1,0] neg_lo:[0,1,0]
	v_mov_b32_e32 v28, v7
	v_mov_b32_e32 v29, v6
	v_pk_add_f32 v[6:7], v[28:29], v[24:25] neg_lo:[0,1] neg_hi:[0,1]
	v_div_fixup_f32 v26, v11, v9, 1.0
	v_pk_mul_f32 v[10:11], v[10:11], v[6:7] op_sel:[0,1] op_sel_hi:[0,0] neg_lo:[0,1]
	v_pk_fma_f32 v[6:7], v[6:7], v[8:9], v[10:11] op_sel_hi:[1,0,1]
	v_pk_mul_f32 v[6:7], v[26:27], v[6:7] op_sel_hi:[0,1]
	v_mov_b32_e32 v8, v7
	v_mov_b32_e32 v9, v6
	ds_write_b64 v18, v[8:9] offset:40
	s_waitcnt lgkmcnt(0)
	ds_read_b64 v[8:9], v23 offset:40
	ds_read_b64 v[10:11], v3
	s_waitcnt lgkmcnt(0)
	v_pk_fma_f32 v[10:11], v[6:7], v[8:9], v[10:11] op_sel:[1,0,0] op_sel_hi:[0,0,1]
	v_pk_fma_f32 v[6:7], v[6:7], v[8:9], v[10:11] op_sel:[0,1,0] neg_hi:[0,1,0]
	ds_write_b64 v3, v[6:7]
	s_waitcnt lgkmcnt(0)
	ds_read_b64 v[8:9], v0 offset:432
	ds_read_b64 v[6:7], v18 offset:48
	s_waitcnt lgkmcnt(1)
	v_cmp_neq_f32_e32 vcc, 0, v8
	v_cmp_neq_f32_e64 s[2:3], 0, v9
	s_or_b64 vcc, vcc, s[2:3]
	s_or_b64 s[2:3], vcc, s[0:1]
	v_cndmask_b32_e32 v8, 1.0, v8, vcc
	s_xor_b64 s[24:25], s[2:3], -1
	v_cndmask_b32_e32 v10, 0, v9, vcc
	s_and_saveexec_b64 s[2:3], s[24:25]
	s_cbranch_execz .LBB46_17
; %bb.66:                               ;   in Loop: Header=BB46_19 Depth=1
	v_mbcnt_lo_u32_b32 v8, exec_lo, 0
	v_mbcnt_hi_u32_b32 v8, exec_hi, v8
	v_cmp_eq_u32_e32 vcc, 0, v8
	s_and_saveexec_b64 s[24:25], vcc
	s_cbranch_execz .LBB46_16
; %bb.67:                               ;   in Loop: Header=BB46_19 Depth=1
	v_mov_b32_e32 v8, s23
	global_atomic_smin v0, v8, s[14:15]
	s_branch .LBB46_16
.LBB46_68:
	s_cmp_lg_u32 s33, 0
	s_cselect_b64 s[8:9], -1, 0
	s_cmp_eq_u32 s33, 0
	v_mov_b32_e32 v0, v14
	s_cbranch_scc1 .LBB46_70
; %bb.69:
	v_mad_u32_u24 v0, v12, 7, v13
.LBB46_70:
	s_mul_i32 s30, s30, 49
	v_add_u32_e32 v4, s30, v0
	v_ashrrev_i32_e32 v5, 31, v4
	v_lshlrev_b64 v[4:5], 3, v[4:5]
	v_mov_b32_e32 v0, s21
	v_add_co_u32_e32 v4, vcc, s20, v4
	v_addc_co_u32_e32 v5, vcc, v0, v5, vcc
	global_load_dwordx2 v[4:5], v[4:5], off
	v_cmp_ne_u32_e64 s[2:3], 0, v13
	v_cmp_eq_u32_e32 vcc, 0, v13
	s_waitcnt vmcnt(0)
	ds_write_b64 v16, v[4:5] offset:896
	s_waitcnt lgkmcnt(0)
	s_and_saveexec_b64 s[4:5], vcc
	s_cbranch_execz .LBB46_79
; %bb.71:
	v_mov_b32_e32 v4, 0
	ds_read2_b64 v[6:9], v4 offset0:112 offset1:168
	s_waitcnt lgkmcnt(0)
	v_sub_f32_e32 v0, v6, v8
	v_sub_f32_e32 v5, v7, v9
	v_cmp_gt_f32_e32 vcc, 0, v0
	v_cndmask_b32_e64 v0, v0, -v0, vcc
	v_cmp_gt_f32_e32 vcc, 0, v5
	v_cndmask_b32_e64 v2, v5, -v5, vcc
	v_cmp_ngt_f32_e32 vcc, v0, v2
	s_cbranch_vccz .LBB46_76
; %bb.72:
	v_cmp_eq_f32_e32 vcc, 0, v5
	s_cbranch_vccnz .LBB46_74
; %bb.73:
	v_div_scale_f32 v4, s[0:1], v2, v2, v0
	v_rcp_f32_e32 v5, v4
	v_div_scale_f32 v6, vcc, v0, v2, v0
	s_mov_b32 s0, 0xf800000
	v_fma_f32 v7, -v4, v5, 1.0
	v_fmac_f32_e32 v5, v7, v5
	v_mul_f32_e32 v7, v6, v5
	v_fma_f32 v8, -v4, v7, v6
	v_fmac_f32_e32 v7, v8, v5
	v_fma_f32 v4, -v4, v7, v6
	v_div_fmas_f32 v4, v4, v5, v7
	v_div_fixup_f32 v4, v4, v2, v0
	v_fma_f32 v4, v4, v4, 1.0
	v_mul_f32_e32 v5, 0x4f800000, v4
	v_cmp_gt_f32_e32 vcc, s0, v4
	v_cndmask_b32_e32 v4, v4, v5, vcc
	v_sqrt_f32_e32 v5, v4
	v_add_u32_e32 v6, -1, v5
	v_fma_f32 v7, -v6, v5, v4
	v_cmp_ge_f32_e64 s[0:1], 0, v7
	v_add_u32_e32 v7, 1, v5
	v_cndmask_b32_e64 v6, v5, v6, s[0:1]
	v_fma_f32 v5, -v7, v5, v4
	v_cmp_lt_f32_e64 s[0:1], 0, v5
	v_cndmask_b32_e64 v5, v6, v7, s[0:1]
	v_mul_f32_e32 v6, 0x37800000, v5
	v_cndmask_b32_e32 v5, v5, v6, vcc
	v_mov_b32_e32 v6, 0x260
	v_cmp_class_f32_e32 vcc, v4, v6
	v_cndmask_b32_e32 v4, v5, v4, vcc
	v_mul_f32_e32 v4, v2, v4
.LBB46_74:
	s_cbranch_execz .LBB46_77
	s_branch .LBB46_78
.LBB46_75:
	s_mov_b64 s[0:1], 0
	s_cbranch_execnz .LBB46_168
	s_branch .LBB46_173
.LBB46_76:
                                        ; implicit-def: $vgpr4
.LBB46_77:
	v_div_scale_f32 v4, s[0:1], v0, v0, v2
	v_rcp_f32_e32 v5, v4
	v_div_scale_f32 v6, vcc, v2, v0, v2
	s_mov_b32 s0, 0xf800000
	v_fma_f32 v7, -v4, v5, 1.0
	v_fmac_f32_e32 v5, v7, v5
	v_mul_f32_e32 v7, v6, v5
	v_fma_f32 v8, -v4, v7, v6
	v_fmac_f32_e32 v7, v8, v5
	v_fma_f32 v4, -v4, v7, v6
	v_div_fmas_f32 v4, v4, v5, v7
	v_div_fixup_f32 v2, v4, v0, v2
	v_fma_f32 v2, v2, v2, 1.0
	v_mul_f32_e32 v4, 0x4f800000, v2
	v_cmp_gt_f32_e32 vcc, s0, v2
	v_cndmask_b32_e32 v2, v2, v4, vcc
	v_sqrt_f32_e32 v4, v2
	v_add_u32_e32 v5, -1, v4
	v_fma_f32 v6, -v5, v4, v2
	v_cmp_ge_f32_e64 s[0:1], 0, v6
	v_add_u32_e32 v6, 1, v4
	v_cndmask_b32_e64 v5, v4, v5, s[0:1]
	v_fma_f32 v4, -v6, v4, v2
	v_cmp_lt_f32_e64 s[0:1], 0, v4
	v_cndmask_b32_e64 v4, v5, v6, s[0:1]
	v_mul_f32_e32 v5, 0x37800000, v4
	v_cndmask_b32_e32 v4, v4, v5, vcc
	v_mov_b32_e32 v5, 0x260
	v_cmp_class_f32_e32 vcc, v2, v5
	v_cndmask_b32_e32 v2, v4, v2, vcc
	v_mul_f32_e32 v4, v0, v2
.LBB46_78:
	s_mov_b32 s0, 0xf800000
	v_mul_f32_e32 v0, 0x4f800000, v4
	v_cmp_gt_f32_e32 vcc, s0, v4
	v_cndmask_b32_e32 v0, v4, v0, vcc
	v_sqrt_f32_e32 v2, v0
	v_add_u32_e32 v4, -1, v2
	v_fma_f32 v5, -v4, v2, v0
	v_cmp_ge_f32_e64 s[0:1], 0, v5
	v_add_u32_e32 v5, 1, v2
	v_cndmask_b32_e64 v4, v2, v4, s[0:1]
	v_fma_f32 v2, -v5, v2, v0
	v_cmp_lt_f32_e64 s[0:1], 0, v2
	v_cndmask_b32_e64 v2, v4, v5, s[0:1]
	v_mul_f32_e32 v4, 0x37800000, v2
	v_cndmask_b32_e32 v2, v2, v4, vcc
	v_mov_b32_e32 v4, 0x260
	v_cmp_class_f32_e32 vcc, v0, v4
	v_cndmask_b32_e32 v4, v2, v0, vcc
	v_mov_b32_e32 v5, 0
	ds_write_b64 v5, v[4:5] offset:896
.LBB46_79:
	s_or_b64 exec, exec, s[4:5]
	v_mov_b32_e32 v0, 0
	s_waitcnt lgkmcnt(0)
	ds_read_b64 v[6:7], v0 offset:896
	v_or_b32_e32 v5, v12, v13
	v_cmp_ne_u32_e64 s[0:1], 0, v5
	v_add_u32_e32 v4, 0x380, v16
	s_add_i32 s18, s12, s13
	s_waitcnt lgkmcnt(0)
	v_cmp_neq_f32_e32 vcc, 0, v6
	v_cmp_neq_f32_e64 s[4:5], 0, v7
	s_or_b64 vcc, vcc, s[4:5]
	s_or_b64 s[4:5], vcc, s[0:1]
	v_cndmask_b32_e32 v0, 1.0, v6, vcc
	s_xor_b64 s[16:17], s[4:5], -1
	v_cndmask_b32_e32 v2, 0, v7, vcc
	s_and_saveexec_b64 s[4:5], s[16:17]
	s_cbranch_execz .LBB46_83
; %bb.80:
	v_mbcnt_lo_u32_b32 v0, exec_lo, 0
	v_mbcnt_hi_u32_b32 v0, exec_hi, v0
	v_cmp_eq_u32_e32 vcc, 0, v0
	s_and_saveexec_b64 s[16:17], vcc
	s_cbranch_execz .LBB46_82
; %bb.81:
	v_mov_b32_e32 v0, 0
	v_mov_b32_e32 v2, s18
	global_atomic_smin v0, v2, s[14:15]
.LBB46_82:
	s_or_b64 exec, exec, s[16:17]
	v_mov_b32_e32 v0, 1.0
	v_mov_b32_e32 v2, 0
.LBB46_83:
	s_or_b64 exec, exec, s[4:5]
	s_and_saveexec_b64 s[4:5], s[2:3]
	s_cbranch_execz .LBB46_85
; %bb.84:
	v_mul_f32_e32 v10, v2, v2
	v_fmac_f32_e32 v10, v0, v0
	v_div_scale_f32 v11, s[2:3], v10, v10, 1.0
	v_rcp_f32_e32 v15, v11
	v_lshlrev_b32_e32 v16, 6, v13
	ds_read2_b64 v[6:9], v16 offset0:112 offset1:168
	v_fma_f32 v17, -v11, v15, 1.0
	v_fmac_f32_e32 v15, v17, v15
	v_div_scale_f32 v17, vcc, 1.0, v10, 1.0
	v_mul_f32_e32 v18, v17, v15
	v_fma_f32 v19, -v11, v18, v17
	v_fmac_f32_e32 v18, v19, v15
	v_fma_f32 v11, -v11, v18, v17
	s_waitcnt lgkmcnt(0)
	v_pk_add_f32 v[6:7], v[6:7], v[8:9] op_sel:[1,1] op_sel_hi:[0,0] neg_lo:[0,1] neg_hi:[0,1]
	v_div_fmas_f32 v11, v11, v15, v18
	v_pk_mul_f32 v[8:9], v[2:3], v[6:7] op_sel:[0,1] op_sel_hi:[0,0] neg_lo:[0,1]
	v_div_fixup_f32 v10, v11, v10, 1.0
	v_lshlrev_b32_e32 v11, 6, v12
	v_pk_fma_f32 v[6:7], v[6:7], v[0:1], v[8:9] op_sel_hi:[1,0,1]
	v_pk_mul_f32 v[6:7], v[10:11], v[6:7] op_sel_hi:[0,1]
	v_mov_b32_e32 v8, v7
	v_mov_b32_e32 v9, v6
	ds_write_b64 v16, v[8:9] offset:896
	s_waitcnt lgkmcnt(0)
	ds_read_b64 v[8:9], v11 offset:896
	ds_read_b64 v[10:11], v3
	s_waitcnt lgkmcnt(0)
	v_pk_fma_f32 v[10:11], v[6:7], v[8:9], v[10:11] op_sel:[1,0,0] op_sel_hi:[0,0,1]
	v_pk_fma_f32 v[6:7], v[6:7], v[8:9], v[10:11] op_sel:[0,1,0] neg_hi:[0,1,0]
	ds_write_b64 v3, v[6:7]
.LBB46_85:
	s_or_b64 exec, exec, s[4:5]
	v_cmp_eq_u32_e32 vcc, 1, v13
	s_waitcnt lgkmcnt(0)
	s_and_saveexec_b64 s[4:5], vcc
	s_cbranch_execz .LBB46_93
; %bb.86:
	v_mov_b32_e32 v6, 0
	ds_read2_b64 v[8:11], v6 offset0:121 offset1:177
	s_waitcnt lgkmcnt(0)
	v_sub_f32_e32 v0, v8, v10
	v_sub_f32_e32 v7, v9, v11
	v_cmp_gt_f32_e32 vcc, 0, v0
	v_cndmask_b32_e64 v0, v0, -v0, vcc
	v_cmp_gt_f32_e32 vcc, 0, v7
	v_cndmask_b32_e64 v2, v7, -v7, vcc
	v_cmp_gt_f32_e32 vcc, v0, v2
	s_cbranch_vccnz .LBB46_90
; %bb.87:
	v_cmp_eq_f32_e32 vcc, 0, v7
	s_cbranch_vccnz .LBB46_89
; %bb.88:
	v_div_scale_f32 v6, s[2:3], v2, v2, v0
	v_rcp_f32_e32 v7, v6
	v_div_scale_f32 v8, vcc, v0, v2, v0
	s_mov_b32 s2, 0xf800000
	v_fma_f32 v9, -v6, v7, 1.0
	v_fmac_f32_e32 v7, v9, v7
	v_mul_f32_e32 v9, v8, v7
	v_fma_f32 v10, -v6, v9, v8
	v_fmac_f32_e32 v9, v10, v7
	v_fma_f32 v6, -v6, v9, v8
	v_div_fmas_f32 v6, v6, v7, v9
	v_div_fixup_f32 v6, v6, v2, v0
	v_fma_f32 v6, v6, v6, 1.0
	v_mul_f32_e32 v7, 0x4f800000, v6
	v_cmp_gt_f32_e32 vcc, s2, v6
	v_cndmask_b32_e32 v6, v6, v7, vcc
	v_sqrt_f32_e32 v7, v6
	v_add_u32_e32 v8, -1, v7
	v_fma_f32 v9, -v8, v7, v6
	v_cmp_ge_f32_e64 s[2:3], 0, v9
	v_add_u32_e32 v9, 1, v7
	v_cndmask_b32_e64 v8, v7, v8, s[2:3]
	v_fma_f32 v7, -v9, v7, v6
	v_cmp_lt_f32_e64 s[2:3], 0, v7
	v_cndmask_b32_e64 v7, v8, v9, s[2:3]
	v_mul_f32_e32 v8, 0x37800000, v7
	v_cndmask_b32_e32 v7, v7, v8, vcc
	v_mov_b32_e32 v8, 0x260
	v_cmp_class_f32_e32 vcc, v6, v8
	v_cndmask_b32_e32 v6, v7, v6, vcc
	v_mul_f32_e32 v6, v2, v6
.LBB46_89:
	s_cbranch_execz .LBB46_91
	s_branch .LBB46_92
.LBB46_90:
                                        ; implicit-def: $vgpr6
.LBB46_91:
	v_div_scale_f32 v6, s[2:3], v0, v0, v2
	v_rcp_f32_e32 v7, v6
	v_div_scale_f32 v8, vcc, v2, v0, v2
	s_mov_b32 s2, 0xf800000
	v_fma_f32 v9, -v6, v7, 1.0
	v_fmac_f32_e32 v7, v9, v7
	v_mul_f32_e32 v9, v8, v7
	v_fma_f32 v10, -v6, v9, v8
	v_fmac_f32_e32 v9, v10, v7
	v_fma_f32 v6, -v6, v9, v8
	v_div_fmas_f32 v6, v6, v7, v9
	v_div_fixup_f32 v2, v6, v0, v2
	v_fma_f32 v2, v2, v2, 1.0
	v_mul_f32_e32 v6, 0x4f800000, v2
	v_cmp_gt_f32_e32 vcc, s2, v2
	v_cndmask_b32_e32 v2, v2, v6, vcc
	v_sqrt_f32_e32 v6, v2
	v_add_u32_e32 v7, -1, v6
	v_fma_f32 v8, -v7, v6, v2
	v_cmp_ge_f32_e64 s[2:3], 0, v8
	v_add_u32_e32 v8, 1, v6
	v_cndmask_b32_e64 v7, v6, v7, s[2:3]
	v_fma_f32 v6, -v8, v6, v2
	v_cmp_lt_f32_e64 s[2:3], 0, v6
	v_cndmask_b32_e64 v6, v7, v8, s[2:3]
	v_mul_f32_e32 v7, 0x37800000, v6
	v_cndmask_b32_e32 v6, v6, v7, vcc
	v_mov_b32_e32 v7, 0x260
	v_cmp_class_f32_e32 vcc, v2, v7
	v_cndmask_b32_e32 v2, v6, v2, vcc
	v_mul_f32_e32 v6, v0, v2
.LBB46_92:
	s_mov_b32 s2, 0xf800000
	v_mul_f32_e32 v0, 0x4f800000, v6
	v_cmp_gt_f32_e32 vcc, s2, v6
	v_cndmask_b32_e32 v0, v6, v0, vcc
	v_sqrt_f32_e32 v2, v0
	v_add_u32_e32 v6, -1, v2
	v_fma_f32 v7, -v6, v2, v0
	v_cmp_ge_f32_e64 s[2:3], 0, v7
	v_add_u32_e32 v7, 1, v2
	v_cndmask_b32_e64 v6, v2, v6, s[2:3]
	v_fma_f32 v2, -v7, v2, v0
	v_cmp_lt_f32_e64 s[2:3], 0, v2
	v_cndmask_b32_e64 v2, v6, v7, s[2:3]
	v_mul_f32_e32 v6, 0x37800000, v2
	v_cndmask_b32_e32 v2, v2, v6, vcc
	v_mov_b32_e32 v6, 0x260
	v_cmp_class_f32_e32 vcc, v0, v6
	v_cndmask_b32_e32 v6, v2, v0, vcc
	v_mov_b32_e32 v7, 0
	ds_write_b64 v7, v[6:7] offset:968
.LBB46_93:
	s_or_b64 exec, exec, s[4:5]
	v_mov_b32_e32 v0, 0
	s_waitcnt lgkmcnt(0)
	ds_read_b64 v[6:7], v0 offset:968
	s_waitcnt lgkmcnt(0)
	v_cmp_neq_f32_e32 vcc, 0, v6
	v_cmp_neq_f32_e64 s[2:3], 0, v7
	s_or_b64 vcc, vcc, s[2:3]
	s_or_b64 s[2:3], vcc, s[0:1]
	v_cndmask_b32_e32 v0, 1.0, v6, vcc
	s_xor_b64 s[4:5], s[2:3], -1
	v_cndmask_b32_e32 v2, 0, v7, vcc
	s_and_saveexec_b64 s[2:3], s[4:5]
	s_cbranch_execz .LBB46_97
; %bb.94:
	v_mbcnt_lo_u32_b32 v0, exec_lo, 0
	v_mbcnt_hi_u32_b32 v0, exec_hi, v0
	v_cmp_eq_u32_e32 vcc, 0, v0
	s_and_saveexec_b64 s[4:5], vcc
	s_cbranch_execz .LBB46_96
; %bb.95:
	v_mov_b32_e32 v0, 0
	v_mov_b32_e32 v2, s18
	global_atomic_smin v0, v2, s[14:15]
.LBB46_96:
	s_or_b64 exec, exec, s[4:5]
	v_mov_b32_e32 v0, 1.0
	v_mov_b32_e32 v2, 0
.LBB46_97:
	s_or_b64 exec, exec, s[2:3]
	v_cmp_lt_u32_e32 vcc, 1, v13
	s_and_saveexec_b64 s[2:3], vcc
	s_cbranch_execz .LBB46_99
; %bb.98:
	v_mul_f32_e32 v10, v2, v2
	v_fmac_f32_e32 v10, v0, v0
	v_div_scale_f32 v11, s[4:5], v10, v10, 1.0
	v_rcp_f32_e32 v15, v11
	v_lshlrev_b32_e32 v16, 6, v13
	ds_read2_b64 v[6:9], v16 offset0:113 offset1:169
	v_fma_f32 v17, -v11, v15, 1.0
	v_fmac_f32_e32 v15, v17, v15
	v_div_scale_f32 v17, vcc, 1.0, v10, 1.0
	v_mul_f32_e32 v18, v17, v15
	v_fma_f32 v19, -v11, v18, v17
	v_fmac_f32_e32 v18, v19, v15
	v_fma_f32 v11, -v11, v18, v17
	s_waitcnt lgkmcnt(0)
	v_pk_add_f32 v[6:7], v[6:7], v[8:9] op_sel:[1,1] op_sel_hi:[0,0] neg_lo:[0,1] neg_hi:[0,1]
	v_div_fmas_f32 v11, v11, v15, v18
	v_pk_mul_f32 v[8:9], v[2:3], v[6:7] op_sel:[0,1] op_sel_hi:[0,0] neg_lo:[0,1]
	v_div_fixup_f32 v10, v11, v10, 1.0
	v_lshlrev_b32_e32 v11, 6, v12
	v_pk_fma_f32 v[6:7], v[6:7], v[0:1], v[8:9] op_sel_hi:[1,0,1]
	v_pk_mul_f32 v[6:7], v[10:11], v[6:7] op_sel_hi:[0,1]
	v_mov_b32_e32 v8, v7
	v_mov_b32_e32 v9, v6
	ds_write_b64 v16, v[8:9] offset:904
	s_waitcnt lgkmcnt(0)
	ds_read_b64 v[8:9], v11 offset:904
	ds_read_b64 v[10:11], v3
	s_waitcnt lgkmcnt(0)
	v_pk_fma_f32 v[10:11], v[6:7], v[8:9], v[10:11] op_sel:[1,0,0] op_sel_hi:[0,0,1]
	v_pk_fma_f32 v[6:7], v[6:7], v[8:9], v[10:11] op_sel:[0,1,0] neg_hi:[0,1,0]
	ds_write_b64 v3, v[6:7]
.LBB46_99:
	s_or_b64 exec, exec, s[2:3]
	v_cmp_eq_u32_e32 vcc, 2, v13
	s_waitcnt lgkmcnt(0)
	s_and_saveexec_b64 s[4:5], vcc
	s_cbranch_execz .LBB46_107
; %bb.100:
	v_mov_b32_e32 v6, 0
	ds_read2_b64 v[8:11], v6 offset0:130 offset1:186
	s_waitcnt lgkmcnt(0)
	v_sub_f32_e32 v0, v8, v10
	v_sub_f32_e32 v7, v9, v11
	v_cmp_gt_f32_e32 vcc, 0, v0
	v_cndmask_b32_e64 v0, v0, -v0, vcc
	v_cmp_gt_f32_e32 vcc, 0, v7
	v_cndmask_b32_e64 v2, v7, -v7, vcc
	v_cmp_gt_f32_e32 vcc, v0, v2
	s_cbranch_vccnz .LBB46_104
; %bb.101:
	v_cmp_eq_f32_e32 vcc, 0, v7
	s_cbranch_vccnz .LBB46_103
; %bb.102:
	v_div_scale_f32 v6, s[2:3], v2, v2, v0
	v_rcp_f32_e32 v7, v6
	v_div_scale_f32 v8, vcc, v0, v2, v0
	s_mov_b32 s2, 0xf800000
	v_fma_f32 v9, -v6, v7, 1.0
	v_fmac_f32_e32 v7, v9, v7
	v_mul_f32_e32 v9, v8, v7
	v_fma_f32 v10, -v6, v9, v8
	v_fmac_f32_e32 v9, v10, v7
	v_fma_f32 v6, -v6, v9, v8
	v_div_fmas_f32 v6, v6, v7, v9
	v_div_fixup_f32 v6, v6, v2, v0
	v_fma_f32 v6, v6, v6, 1.0
	v_mul_f32_e32 v7, 0x4f800000, v6
	v_cmp_gt_f32_e32 vcc, s2, v6
	v_cndmask_b32_e32 v6, v6, v7, vcc
	v_sqrt_f32_e32 v7, v6
	v_add_u32_e32 v8, -1, v7
	v_fma_f32 v9, -v8, v7, v6
	v_cmp_ge_f32_e64 s[2:3], 0, v9
	v_add_u32_e32 v9, 1, v7
	v_cndmask_b32_e64 v8, v7, v8, s[2:3]
	v_fma_f32 v7, -v9, v7, v6
	v_cmp_lt_f32_e64 s[2:3], 0, v7
	v_cndmask_b32_e64 v7, v8, v9, s[2:3]
	v_mul_f32_e32 v8, 0x37800000, v7
	v_cndmask_b32_e32 v7, v7, v8, vcc
	v_mov_b32_e32 v8, 0x260
	v_cmp_class_f32_e32 vcc, v6, v8
	v_cndmask_b32_e32 v6, v7, v6, vcc
	v_mul_f32_e32 v6, v2, v6
.LBB46_103:
	s_cbranch_execz .LBB46_105
	s_branch .LBB46_106
.LBB46_104:
                                        ; implicit-def: $vgpr6
.LBB46_105:
	v_div_scale_f32 v6, s[2:3], v0, v0, v2
	v_rcp_f32_e32 v7, v6
	v_div_scale_f32 v8, vcc, v2, v0, v2
	s_mov_b32 s2, 0xf800000
	v_fma_f32 v9, -v6, v7, 1.0
	v_fmac_f32_e32 v7, v9, v7
	v_mul_f32_e32 v9, v8, v7
	v_fma_f32 v10, -v6, v9, v8
	v_fmac_f32_e32 v9, v10, v7
	v_fma_f32 v6, -v6, v9, v8
	v_div_fmas_f32 v6, v6, v7, v9
	v_div_fixup_f32 v2, v6, v0, v2
	v_fma_f32 v2, v2, v2, 1.0
	v_mul_f32_e32 v6, 0x4f800000, v2
	v_cmp_gt_f32_e32 vcc, s2, v2
	v_cndmask_b32_e32 v2, v2, v6, vcc
	v_sqrt_f32_e32 v6, v2
	v_add_u32_e32 v7, -1, v6
	v_fma_f32 v8, -v7, v6, v2
	v_cmp_ge_f32_e64 s[2:3], 0, v8
	v_add_u32_e32 v8, 1, v6
	v_cndmask_b32_e64 v7, v6, v7, s[2:3]
	v_fma_f32 v6, -v8, v6, v2
	v_cmp_lt_f32_e64 s[2:3], 0, v6
	v_cndmask_b32_e64 v6, v7, v8, s[2:3]
	v_mul_f32_e32 v7, 0x37800000, v6
	v_cndmask_b32_e32 v6, v6, v7, vcc
	v_mov_b32_e32 v7, 0x260
	v_cmp_class_f32_e32 vcc, v2, v7
	v_cndmask_b32_e32 v2, v6, v2, vcc
	v_mul_f32_e32 v6, v0, v2
.LBB46_106:
	s_mov_b32 s2, 0xf800000
	v_mul_f32_e32 v0, 0x4f800000, v6
	v_cmp_gt_f32_e32 vcc, s2, v6
	v_cndmask_b32_e32 v0, v6, v0, vcc
	v_sqrt_f32_e32 v2, v0
	v_add_u32_e32 v6, -1, v2
	v_fma_f32 v7, -v6, v2, v0
	v_cmp_ge_f32_e64 s[2:3], 0, v7
	v_add_u32_e32 v7, 1, v2
	v_cndmask_b32_e64 v6, v2, v6, s[2:3]
	v_fma_f32 v2, -v7, v2, v0
	v_cmp_lt_f32_e64 s[2:3], 0, v2
	v_cndmask_b32_e64 v2, v6, v7, s[2:3]
	v_mul_f32_e32 v6, 0x37800000, v2
	v_cndmask_b32_e32 v2, v2, v6, vcc
	v_mov_b32_e32 v6, 0x260
	v_cmp_class_f32_e32 vcc, v0, v6
	v_cndmask_b32_e32 v6, v2, v0, vcc
	v_mov_b32_e32 v7, 0
	ds_write_b64 v7, v[6:7] offset:1040
.LBB46_107:
	s_or_b64 exec, exec, s[4:5]
	v_mov_b32_e32 v0, 0
	s_waitcnt lgkmcnt(0)
	ds_read_b64 v[6:7], v0 offset:1040
	s_waitcnt lgkmcnt(0)
	v_cmp_neq_f32_e32 vcc, 0, v6
	v_cmp_neq_f32_e64 s[2:3], 0, v7
	s_or_b64 vcc, vcc, s[2:3]
	s_or_b64 s[2:3], vcc, s[0:1]
	v_cndmask_b32_e32 v0, 1.0, v6, vcc
	s_xor_b64 s[4:5], s[2:3], -1
	v_cndmask_b32_e32 v2, 0, v7, vcc
	s_and_saveexec_b64 s[2:3], s[4:5]
	s_cbranch_execz .LBB46_111
; %bb.108:
	v_mbcnt_lo_u32_b32 v0, exec_lo, 0
	v_mbcnt_hi_u32_b32 v0, exec_hi, v0
	v_cmp_eq_u32_e32 vcc, 0, v0
	s_and_saveexec_b64 s[4:5], vcc
	s_cbranch_execz .LBB46_110
; %bb.109:
	v_mov_b32_e32 v0, 0
	v_mov_b32_e32 v2, s18
	global_atomic_smin v0, v2, s[14:15]
.LBB46_110:
	s_or_b64 exec, exec, s[4:5]
	v_mov_b32_e32 v0, 1.0
	v_mov_b32_e32 v2, 0
.LBB46_111:
	s_or_b64 exec, exec, s[2:3]
	v_cmp_lt_u32_e32 vcc, 2, v13
	s_and_saveexec_b64 s[2:3], vcc
	s_cbranch_execz .LBB46_113
; %bb.112:
	v_mul_f32_e32 v10, v2, v2
	v_fmac_f32_e32 v10, v0, v0
	v_div_scale_f32 v11, s[4:5], v10, v10, 1.0
	v_rcp_f32_e32 v15, v11
	v_lshlrev_b32_e32 v16, 6, v13
	ds_read2_b64 v[6:9], v16 offset0:114 offset1:170
	v_fma_f32 v17, -v11, v15, 1.0
	v_fmac_f32_e32 v15, v17, v15
	v_div_scale_f32 v17, vcc, 1.0, v10, 1.0
	v_mul_f32_e32 v18, v17, v15
	v_fma_f32 v19, -v11, v18, v17
	v_fmac_f32_e32 v18, v19, v15
	v_fma_f32 v11, -v11, v18, v17
	s_waitcnt lgkmcnt(0)
	v_pk_add_f32 v[6:7], v[6:7], v[8:9] op_sel:[1,1] op_sel_hi:[0,0] neg_lo:[0,1] neg_hi:[0,1]
	v_div_fmas_f32 v11, v11, v15, v18
	v_pk_mul_f32 v[8:9], v[2:3], v[6:7] op_sel:[0,1] op_sel_hi:[0,0] neg_lo:[0,1]
	v_div_fixup_f32 v10, v11, v10, 1.0
	v_lshlrev_b32_e32 v11, 6, v12
	v_pk_fma_f32 v[6:7], v[6:7], v[0:1], v[8:9] op_sel_hi:[1,0,1]
	v_pk_mul_f32 v[6:7], v[10:11], v[6:7] op_sel_hi:[0,1]
	v_mov_b32_e32 v8, v7
	v_mov_b32_e32 v9, v6
	ds_write_b64 v16, v[8:9] offset:912
	s_waitcnt lgkmcnt(0)
	ds_read_b64 v[8:9], v11 offset:912
	ds_read_b64 v[10:11], v3
	s_waitcnt lgkmcnt(0)
	v_pk_fma_f32 v[10:11], v[6:7], v[8:9], v[10:11] op_sel:[1,0,0] op_sel_hi:[0,0,1]
	v_pk_fma_f32 v[6:7], v[6:7], v[8:9], v[10:11] op_sel:[0,1,0] neg_hi:[0,1,0]
	ds_write_b64 v3, v[6:7]
.LBB46_113:
	s_or_b64 exec, exec, s[2:3]
	v_cmp_eq_u32_e32 vcc, 3, v13
	s_waitcnt lgkmcnt(0)
	s_and_saveexec_b64 s[4:5], vcc
	s_cbranch_execz .LBB46_121
; %bb.114:
	v_mov_b32_e32 v6, 0
	ds_read2_b64 v[8:11], v6 offset0:139 offset1:195
	s_waitcnt lgkmcnt(0)
	v_sub_f32_e32 v0, v8, v10
	v_sub_f32_e32 v7, v9, v11
	v_cmp_gt_f32_e32 vcc, 0, v0
	v_cndmask_b32_e64 v0, v0, -v0, vcc
	v_cmp_gt_f32_e32 vcc, 0, v7
	v_cndmask_b32_e64 v2, v7, -v7, vcc
	v_cmp_gt_f32_e32 vcc, v0, v2
	s_cbranch_vccnz .LBB46_118
; %bb.115:
	v_cmp_eq_f32_e32 vcc, 0, v7
	s_cbranch_vccnz .LBB46_117
; %bb.116:
	v_div_scale_f32 v6, s[2:3], v2, v2, v0
	v_rcp_f32_e32 v7, v6
	v_div_scale_f32 v8, vcc, v0, v2, v0
	s_mov_b32 s2, 0xf800000
	v_fma_f32 v9, -v6, v7, 1.0
	v_fmac_f32_e32 v7, v9, v7
	v_mul_f32_e32 v9, v8, v7
	v_fma_f32 v10, -v6, v9, v8
	v_fmac_f32_e32 v9, v10, v7
	v_fma_f32 v6, -v6, v9, v8
	v_div_fmas_f32 v6, v6, v7, v9
	v_div_fixup_f32 v6, v6, v2, v0
	v_fma_f32 v6, v6, v6, 1.0
	v_mul_f32_e32 v7, 0x4f800000, v6
	v_cmp_gt_f32_e32 vcc, s2, v6
	v_cndmask_b32_e32 v6, v6, v7, vcc
	v_sqrt_f32_e32 v7, v6
	v_add_u32_e32 v8, -1, v7
	v_fma_f32 v9, -v8, v7, v6
	v_cmp_ge_f32_e64 s[2:3], 0, v9
	v_add_u32_e32 v9, 1, v7
	v_cndmask_b32_e64 v8, v7, v8, s[2:3]
	v_fma_f32 v7, -v9, v7, v6
	v_cmp_lt_f32_e64 s[2:3], 0, v7
	v_cndmask_b32_e64 v7, v8, v9, s[2:3]
	v_mul_f32_e32 v8, 0x37800000, v7
	v_cndmask_b32_e32 v7, v7, v8, vcc
	v_mov_b32_e32 v8, 0x260
	v_cmp_class_f32_e32 vcc, v6, v8
	v_cndmask_b32_e32 v6, v7, v6, vcc
	v_mul_f32_e32 v6, v2, v6
.LBB46_117:
	s_cbranch_execz .LBB46_119
	s_branch .LBB46_120
.LBB46_118:
                                        ; implicit-def: $vgpr6
.LBB46_119:
	v_div_scale_f32 v6, s[2:3], v0, v0, v2
	v_rcp_f32_e32 v7, v6
	v_div_scale_f32 v8, vcc, v2, v0, v2
	s_mov_b32 s2, 0xf800000
	v_fma_f32 v9, -v6, v7, 1.0
	v_fmac_f32_e32 v7, v9, v7
	v_mul_f32_e32 v9, v8, v7
	v_fma_f32 v10, -v6, v9, v8
	v_fmac_f32_e32 v9, v10, v7
	v_fma_f32 v6, -v6, v9, v8
	v_div_fmas_f32 v6, v6, v7, v9
	v_div_fixup_f32 v2, v6, v0, v2
	v_fma_f32 v2, v2, v2, 1.0
	v_mul_f32_e32 v6, 0x4f800000, v2
	v_cmp_gt_f32_e32 vcc, s2, v2
	v_cndmask_b32_e32 v2, v2, v6, vcc
	v_sqrt_f32_e32 v6, v2
	v_add_u32_e32 v7, -1, v6
	v_fma_f32 v8, -v7, v6, v2
	v_cmp_ge_f32_e64 s[2:3], 0, v8
	v_add_u32_e32 v8, 1, v6
	v_cndmask_b32_e64 v7, v6, v7, s[2:3]
	v_fma_f32 v6, -v8, v6, v2
	v_cmp_lt_f32_e64 s[2:3], 0, v6
	v_cndmask_b32_e64 v6, v7, v8, s[2:3]
	v_mul_f32_e32 v7, 0x37800000, v6
	v_cndmask_b32_e32 v6, v6, v7, vcc
	v_mov_b32_e32 v7, 0x260
	v_cmp_class_f32_e32 vcc, v2, v7
	v_cndmask_b32_e32 v2, v6, v2, vcc
	v_mul_f32_e32 v6, v0, v2
.LBB46_120:
	s_mov_b32 s2, 0xf800000
	v_mul_f32_e32 v0, 0x4f800000, v6
	v_cmp_gt_f32_e32 vcc, s2, v6
	v_cndmask_b32_e32 v0, v6, v0, vcc
	v_sqrt_f32_e32 v2, v0
	v_add_u32_e32 v6, -1, v2
	v_fma_f32 v7, -v6, v2, v0
	v_cmp_ge_f32_e64 s[2:3], 0, v7
	v_add_u32_e32 v7, 1, v2
	v_cndmask_b32_e64 v6, v2, v6, s[2:3]
	v_fma_f32 v2, -v7, v2, v0
	v_cmp_lt_f32_e64 s[2:3], 0, v2
	v_cndmask_b32_e64 v2, v6, v7, s[2:3]
	v_mul_f32_e32 v6, 0x37800000, v2
	v_cndmask_b32_e32 v2, v2, v6, vcc
	v_mov_b32_e32 v6, 0x260
	v_cmp_class_f32_e32 vcc, v0, v6
	v_cndmask_b32_e32 v6, v2, v0, vcc
	v_mov_b32_e32 v7, 0
	ds_write_b64 v7, v[6:7] offset:1112
.LBB46_121:
	s_or_b64 exec, exec, s[4:5]
	v_mov_b32_e32 v0, 0
	s_waitcnt lgkmcnt(0)
	ds_read_b64 v[6:7], v0 offset:1112
	s_waitcnt lgkmcnt(0)
	v_cmp_neq_f32_e32 vcc, 0, v6
	v_cmp_neq_f32_e64 s[2:3], 0, v7
	s_or_b64 vcc, vcc, s[2:3]
	s_or_b64 s[2:3], vcc, s[0:1]
	v_cndmask_b32_e32 v0, 1.0, v6, vcc
	s_xor_b64 s[4:5], s[2:3], -1
	v_cndmask_b32_e32 v2, 0, v7, vcc
	s_and_saveexec_b64 s[2:3], s[4:5]
	s_cbranch_execz .LBB46_125
; %bb.122:
	v_mbcnt_lo_u32_b32 v0, exec_lo, 0
	v_mbcnt_hi_u32_b32 v0, exec_hi, v0
	v_cmp_eq_u32_e32 vcc, 0, v0
	s_and_saveexec_b64 s[4:5], vcc
	s_cbranch_execz .LBB46_124
; %bb.123:
	v_mov_b32_e32 v0, 0
	v_mov_b32_e32 v2, s18
	global_atomic_smin v0, v2, s[14:15]
.LBB46_124:
	s_or_b64 exec, exec, s[4:5]
	v_mov_b32_e32 v0, 1.0
	v_mov_b32_e32 v2, 0
.LBB46_125:
	s_or_b64 exec, exec, s[2:3]
	v_cmp_lt_u32_e32 vcc, 3, v13
	s_and_saveexec_b64 s[2:3], vcc
	s_cbranch_execz .LBB46_127
; %bb.126:
	v_mul_f32_e32 v10, v2, v2
	v_fmac_f32_e32 v10, v0, v0
	v_div_scale_f32 v11, s[4:5], v10, v10, 1.0
	v_rcp_f32_e32 v15, v11
	v_lshlrev_b32_e32 v16, 6, v13
	ds_read2_b64 v[6:9], v16 offset0:115 offset1:171
	v_fma_f32 v17, -v11, v15, 1.0
	v_fmac_f32_e32 v15, v17, v15
	v_div_scale_f32 v17, vcc, 1.0, v10, 1.0
	v_mul_f32_e32 v18, v17, v15
	v_fma_f32 v19, -v11, v18, v17
	v_fmac_f32_e32 v18, v19, v15
	v_fma_f32 v11, -v11, v18, v17
	s_waitcnt lgkmcnt(0)
	v_pk_add_f32 v[6:7], v[6:7], v[8:9] op_sel:[1,1] op_sel_hi:[0,0] neg_lo:[0,1] neg_hi:[0,1]
	v_div_fmas_f32 v11, v11, v15, v18
	v_pk_mul_f32 v[8:9], v[2:3], v[6:7] op_sel:[0,1] op_sel_hi:[0,0] neg_lo:[0,1]
	v_div_fixup_f32 v10, v11, v10, 1.0
	v_lshlrev_b32_e32 v11, 6, v12
	v_pk_fma_f32 v[6:7], v[6:7], v[0:1], v[8:9] op_sel_hi:[1,0,1]
	v_pk_mul_f32 v[6:7], v[10:11], v[6:7] op_sel_hi:[0,1]
	v_mov_b32_e32 v8, v7
	v_mov_b32_e32 v9, v6
	ds_write_b64 v16, v[8:9] offset:920
	s_waitcnt lgkmcnt(0)
	ds_read_b64 v[8:9], v11 offset:920
	ds_read_b64 v[10:11], v3
	s_waitcnt lgkmcnt(0)
	v_pk_fma_f32 v[10:11], v[6:7], v[8:9], v[10:11] op_sel:[1,0,0] op_sel_hi:[0,0,1]
	v_pk_fma_f32 v[6:7], v[6:7], v[8:9], v[10:11] op_sel:[0,1,0] neg_hi:[0,1,0]
	ds_write_b64 v3, v[6:7]
.LBB46_127:
	s_or_b64 exec, exec, s[2:3]
	v_cmp_eq_u32_e32 vcc, 4, v13
	s_waitcnt lgkmcnt(0)
	s_and_saveexec_b64 s[4:5], vcc
	s_cbranch_execz .LBB46_135
; %bb.128:
	v_mov_b32_e32 v6, 0
	ds_read2_b64 v[8:11], v6 offset0:148 offset1:204
	s_waitcnt lgkmcnt(0)
	v_sub_f32_e32 v0, v8, v10
	v_sub_f32_e32 v7, v9, v11
	v_cmp_gt_f32_e32 vcc, 0, v0
	v_cndmask_b32_e64 v0, v0, -v0, vcc
	v_cmp_gt_f32_e32 vcc, 0, v7
	v_cndmask_b32_e64 v2, v7, -v7, vcc
	v_cmp_gt_f32_e32 vcc, v0, v2
	s_cbranch_vccnz .LBB46_132
; %bb.129:
	v_cmp_eq_f32_e32 vcc, 0, v7
	s_cbranch_vccnz .LBB46_131
; %bb.130:
	v_div_scale_f32 v6, s[2:3], v2, v2, v0
	v_rcp_f32_e32 v7, v6
	v_div_scale_f32 v8, vcc, v0, v2, v0
	s_mov_b32 s2, 0xf800000
	v_fma_f32 v9, -v6, v7, 1.0
	v_fmac_f32_e32 v7, v9, v7
	v_mul_f32_e32 v9, v8, v7
	v_fma_f32 v10, -v6, v9, v8
	v_fmac_f32_e32 v9, v10, v7
	v_fma_f32 v6, -v6, v9, v8
	v_div_fmas_f32 v6, v6, v7, v9
	v_div_fixup_f32 v6, v6, v2, v0
	v_fma_f32 v6, v6, v6, 1.0
	v_mul_f32_e32 v7, 0x4f800000, v6
	v_cmp_gt_f32_e32 vcc, s2, v6
	v_cndmask_b32_e32 v6, v6, v7, vcc
	v_sqrt_f32_e32 v7, v6
	v_add_u32_e32 v8, -1, v7
	v_fma_f32 v9, -v8, v7, v6
	v_cmp_ge_f32_e64 s[2:3], 0, v9
	v_add_u32_e32 v9, 1, v7
	v_cndmask_b32_e64 v8, v7, v8, s[2:3]
	v_fma_f32 v7, -v9, v7, v6
	v_cmp_lt_f32_e64 s[2:3], 0, v7
	v_cndmask_b32_e64 v7, v8, v9, s[2:3]
	v_mul_f32_e32 v8, 0x37800000, v7
	v_cndmask_b32_e32 v7, v7, v8, vcc
	v_mov_b32_e32 v8, 0x260
	v_cmp_class_f32_e32 vcc, v6, v8
	v_cndmask_b32_e32 v6, v7, v6, vcc
	v_mul_f32_e32 v6, v2, v6
.LBB46_131:
	s_cbranch_execz .LBB46_133
	s_branch .LBB46_134
.LBB46_132:
                                        ; implicit-def: $vgpr6
.LBB46_133:
	v_div_scale_f32 v6, s[2:3], v0, v0, v2
	v_rcp_f32_e32 v7, v6
	v_div_scale_f32 v8, vcc, v2, v0, v2
	s_mov_b32 s2, 0xf800000
	v_fma_f32 v9, -v6, v7, 1.0
	v_fmac_f32_e32 v7, v9, v7
	v_mul_f32_e32 v9, v8, v7
	v_fma_f32 v10, -v6, v9, v8
	v_fmac_f32_e32 v9, v10, v7
	v_fma_f32 v6, -v6, v9, v8
	v_div_fmas_f32 v6, v6, v7, v9
	v_div_fixup_f32 v2, v6, v0, v2
	v_fma_f32 v2, v2, v2, 1.0
	v_mul_f32_e32 v6, 0x4f800000, v2
	v_cmp_gt_f32_e32 vcc, s2, v2
	v_cndmask_b32_e32 v2, v2, v6, vcc
	v_sqrt_f32_e32 v6, v2
	v_add_u32_e32 v7, -1, v6
	v_fma_f32 v8, -v7, v6, v2
	v_cmp_ge_f32_e64 s[2:3], 0, v8
	v_add_u32_e32 v8, 1, v6
	v_cndmask_b32_e64 v7, v6, v7, s[2:3]
	v_fma_f32 v6, -v8, v6, v2
	v_cmp_lt_f32_e64 s[2:3], 0, v6
	v_cndmask_b32_e64 v6, v7, v8, s[2:3]
	v_mul_f32_e32 v7, 0x37800000, v6
	v_cndmask_b32_e32 v6, v6, v7, vcc
	v_mov_b32_e32 v7, 0x260
	v_cmp_class_f32_e32 vcc, v2, v7
	v_cndmask_b32_e32 v2, v6, v2, vcc
	v_mul_f32_e32 v6, v0, v2
.LBB46_134:
	s_mov_b32 s2, 0xf800000
	v_mul_f32_e32 v0, 0x4f800000, v6
	v_cmp_gt_f32_e32 vcc, s2, v6
	v_cndmask_b32_e32 v0, v6, v0, vcc
	v_sqrt_f32_e32 v2, v0
	v_add_u32_e32 v6, -1, v2
	v_fma_f32 v7, -v6, v2, v0
	v_cmp_ge_f32_e64 s[2:3], 0, v7
	v_add_u32_e32 v7, 1, v2
	v_cndmask_b32_e64 v6, v2, v6, s[2:3]
	v_fma_f32 v2, -v7, v2, v0
	v_cmp_lt_f32_e64 s[2:3], 0, v2
	v_cndmask_b32_e64 v2, v6, v7, s[2:3]
	v_mul_f32_e32 v6, 0x37800000, v2
	v_cndmask_b32_e32 v2, v2, v6, vcc
	v_mov_b32_e32 v6, 0x260
	v_cmp_class_f32_e32 vcc, v0, v6
	v_cndmask_b32_e32 v6, v2, v0, vcc
	v_mov_b32_e32 v7, 0
	ds_write_b64 v7, v[6:7] offset:1184
.LBB46_135:
	s_or_b64 exec, exec, s[4:5]
	v_mov_b32_e32 v0, 0
	s_waitcnt lgkmcnt(0)
	ds_read_b64 v[6:7], v0 offset:1184
	s_waitcnt lgkmcnt(0)
	v_cmp_neq_f32_e32 vcc, 0, v6
	v_cmp_neq_f32_e64 s[2:3], 0, v7
	s_or_b64 vcc, vcc, s[2:3]
	s_or_b64 s[2:3], vcc, s[0:1]
	v_cndmask_b32_e32 v0, 1.0, v6, vcc
	s_xor_b64 s[4:5], s[2:3], -1
	v_cndmask_b32_e32 v2, 0, v7, vcc
	s_and_saveexec_b64 s[2:3], s[4:5]
	s_cbranch_execz .LBB46_139
; %bb.136:
	v_mbcnt_lo_u32_b32 v0, exec_lo, 0
	v_mbcnt_hi_u32_b32 v0, exec_hi, v0
	v_cmp_eq_u32_e32 vcc, 0, v0
	s_and_saveexec_b64 s[4:5], vcc
	s_cbranch_execz .LBB46_138
; %bb.137:
	v_mov_b32_e32 v0, 0
	v_mov_b32_e32 v2, s18
	global_atomic_smin v0, v2, s[14:15]
.LBB46_138:
	s_or_b64 exec, exec, s[4:5]
	v_mov_b32_e32 v0, 1.0
	v_mov_b32_e32 v2, 0
.LBB46_139:
	s_or_b64 exec, exec, s[2:3]
	v_cmp_lt_u32_e32 vcc, 4, v13
	s_and_saveexec_b64 s[2:3], vcc
	s_cbranch_execz .LBB46_141
; %bb.140:
	v_mul_f32_e32 v10, v2, v2
	v_fmac_f32_e32 v10, v0, v0
	v_div_scale_f32 v11, s[4:5], v10, v10, 1.0
	v_rcp_f32_e32 v15, v11
	v_lshlrev_b32_e32 v16, 6, v13
	ds_read2_b64 v[6:9], v16 offset0:116 offset1:172
	v_fma_f32 v17, -v11, v15, 1.0
	v_fmac_f32_e32 v15, v17, v15
	v_div_scale_f32 v17, vcc, 1.0, v10, 1.0
	v_mul_f32_e32 v18, v17, v15
	v_fma_f32 v19, -v11, v18, v17
	v_fmac_f32_e32 v18, v19, v15
	v_fma_f32 v11, -v11, v18, v17
	s_waitcnt lgkmcnt(0)
	v_pk_add_f32 v[6:7], v[6:7], v[8:9] op_sel:[1,1] op_sel_hi:[0,0] neg_lo:[0,1] neg_hi:[0,1]
	v_div_fmas_f32 v11, v11, v15, v18
	v_pk_mul_f32 v[8:9], v[2:3], v[6:7] op_sel:[0,1] op_sel_hi:[0,0] neg_lo:[0,1]
	v_div_fixup_f32 v10, v11, v10, 1.0
	v_lshlrev_b32_e32 v11, 6, v12
	v_pk_fma_f32 v[6:7], v[6:7], v[0:1], v[8:9] op_sel_hi:[1,0,1]
	v_pk_mul_f32 v[6:7], v[10:11], v[6:7] op_sel_hi:[0,1]
	v_mov_b32_e32 v8, v7
	v_mov_b32_e32 v9, v6
	ds_write_b64 v16, v[8:9] offset:928
	s_waitcnt lgkmcnt(0)
	ds_read_b64 v[8:9], v11 offset:928
	ds_read_b64 v[10:11], v3
	s_waitcnt lgkmcnt(0)
	v_pk_fma_f32 v[10:11], v[6:7], v[8:9], v[10:11] op_sel:[1,0,0] op_sel_hi:[0,0,1]
	v_pk_fma_f32 v[6:7], v[6:7], v[8:9], v[10:11] op_sel:[0,1,0] neg_hi:[0,1,0]
	ds_write_b64 v3, v[6:7]
.LBB46_141:
	s_or_b64 exec, exec, s[2:3]
	v_cmp_eq_u32_e32 vcc, 5, v13
	s_waitcnt lgkmcnt(0)
	s_and_saveexec_b64 s[4:5], vcc
	s_cbranch_execz .LBB46_149
; %bb.142:
	v_mov_b32_e32 v6, 0
	ds_read2_b64 v[8:11], v6 offset0:157 offset1:213
	s_waitcnt lgkmcnt(0)
	v_sub_f32_e32 v0, v8, v10
	v_sub_f32_e32 v7, v9, v11
	v_cmp_gt_f32_e32 vcc, 0, v0
	v_cndmask_b32_e64 v0, v0, -v0, vcc
	v_cmp_gt_f32_e32 vcc, 0, v7
	v_cndmask_b32_e64 v2, v7, -v7, vcc
	v_cmp_gt_f32_e32 vcc, v0, v2
	s_cbranch_vccnz .LBB46_146
; %bb.143:
	v_cmp_eq_f32_e32 vcc, 0, v7
	s_cbranch_vccnz .LBB46_145
; %bb.144:
	v_div_scale_f32 v6, s[2:3], v2, v2, v0
	v_rcp_f32_e32 v7, v6
	v_div_scale_f32 v8, vcc, v0, v2, v0
	s_mov_b32 s2, 0xf800000
	v_fma_f32 v9, -v6, v7, 1.0
	v_fmac_f32_e32 v7, v9, v7
	v_mul_f32_e32 v9, v8, v7
	v_fma_f32 v10, -v6, v9, v8
	v_fmac_f32_e32 v9, v10, v7
	v_fma_f32 v6, -v6, v9, v8
	v_div_fmas_f32 v6, v6, v7, v9
	v_div_fixup_f32 v6, v6, v2, v0
	v_fma_f32 v6, v6, v6, 1.0
	v_mul_f32_e32 v7, 0x4f800000, v6
	v_cmp_gt_f32_e32 vcc, s2, v6
	v_cndmask_b32_e32 v6, v6, v7, vcc
	v_sqrt_f32_e32 v7, v6
	v_add_u32_e32 v8, -1, v7
	v_fma_f32 v9, -v8, v7, v6
	v_cmp_ge_f32_e64 s[2:3], 0, v9
	v_add_u32_e32 v9, 1, v7
	v_cndmask_b32_e64 v8, v7, v8, s[2:3]
	v_fma_f32 v7, -v9, v7, v6
	v_cmp_lt_f32_e64 s[2:3], 0, v7
	v_cndmask_b32_e64 v7, v8, v9, s[2:3]
	v_mul_f32_e32 v8, 0x37800000, v7
	v_cndmask_b32_e32 v7, v7, v8, vcc
	v_mov_b32_e32 v8, 0x260
	v_cmp_class_f32_e32 vcc, v6, v8
	v_cndmask_b32_e32 v6, v7, v6, vcc
	v_mul_f32_e32 v6, v2, v6
.LBB46_145:
	s_cbranch_execz .LBB46_147
	s_branch .LBB46_148
.LBB46_146:
                                        ; implicit-def: $vgpr6
.LBB46_147:
	v_div_scale_f32 v6, s[2:3], v0, v0, v2
	v_rcp_f32_e32 v7, v6
	v_div_scale_f32 v8, vcc, v2, v0, v2
	s_mov_b32 s2, 0xf800000
	v_fma_f32 v9, -v6, v7, 1.0
	v_fmac_f32_e32 v7, v9, v7
	v_mul_f32_e32 v9, v8, v7
	v_fma_f32 v10, -v6, v9, v8
	v_fmac_f32_e32 v9, v10, v7
	v_fma_f32 v6, -v6, v9, v8
	v_div_fmas_f32 v6, v6, v7, v9
	v_div_fixup_f32 v2, v6, v0, v2
	v_fma_f32 v2, v2, v2, 1.0
	v_mul_f32_e32 v6, 0x4f800000, v2
	v_cmp_gt_f32_e32 vcc, s2, v2
	v_cndmask_b32_e32 v2, v2, v6, vcc
	v_sqrt_f32_e32 v6, v2
	v_add_u32_e32 v7, -1, v6
	v_fma_f32 v8, -v7, v6, v2
	v_cmp_ge_f32_e64 s[2:3], 0, v8
	v_add_u32_e32 v8, 1, v6
	v_cndmask_b32_e64 v7, v6, v7, s[2:3]
	v_fma_f32 v6, -v8, v6, v2
	v_cmp_lt_f32_e64 s[2:3], 0, v6
	v_cndmask_b32_e64 v6, v7, v8, s[2:3]
	v_mul_f32_e32 v7, 0x37800000, v6
	v_cndmask_b32_e32 v6, v6, v7, vcc
	v_mov_b32_e32 v7, 0x260
	v_cmp_class_f32_e32 vcc, v2, v7
	v_cndmask_b32_e32 v2, v6, v2, vcc
	v_mul_f32_e32 v6, v0, v2
.LBB46_148:
	s_mov_b32 s2, 0xf800000
	v_mul_f32_e32 v0, 0x4f800000, v6
	v_cmp_gt_f32_e32 vcc, s2, v6
	v_cndmask_b32_e32 v0, v6, v0, vcc
	v_sqrt_f32_e32 v2, v0
	v_add_u32_e32 v6, -1, v2
	v_fma_f32 v7, -v6, v2, v0
	v_cmp_ge_f32_e64 s[2:3], 0, v7
	v_add_u32_e32 v7, 1, v2
	v_cndmask_b32_e64 v6, v2, v6, s[2:3]
	v_fma_f32 v2, -v7, v2, v0
	v_cmp_lt_f32_e64 s[2:3], 0, v2
	v_cndmask_b32_e64 v2, v6, v7, s[2:3]
	v_mul_f32_e32 v6, 0x37800000, v2
	v_cndmask_b32_e32 v2, v2, v6, vcc
	v_mov_b32_e32 v6, 0x260
	v_cmp_class_f32_e32 vcc, v0, v6
	v_cndmask_b32_e32 v6, v2, v0, vcc
	v_mov_b32_e32 v7, 0
	ds_write_b64 v7, v[6:7] offset:1256
.LBB46_149:
	s_or_b64 exec, exec, s[4:5]
	v_mov_b32_e32 v0, 0
	s_waitcnt lgkmcnt(0)
	ds_read_b64 v[6:7], v0 offset:1256
	s_waitcnt lgkmcnt(0)
	v_cmp_neq_f32_e32 vcc, 0, v6
	v_cmp_neq_f32_e64 s[2:3], 0, v7
	s_or_b64 vcc, vcc, s[2:3]
	s_or_b64 s[2:3], vcc, s[0:1]
	v_cndmask_b32_e32 v0, 1.0, v6, vcc
	s_xor_b64 s[4:5], s[2:3], -1
	v_cndmask_b32_e32 v2, 0, v7, vcc
	s_and_saveexec_b64 s[2:3], s[4:5]
	s_cbranch_execz .LBB46_153
; %bb.150:
	v_mbcnt_lo_u32_b32 v0, exec_lo, 0
	v_mbcnt_hi_u32_b32 v0, exec_hi, v0
	v_cmp_eq_u32_e32 vcc, 0, v0
	s_and_saveexec_b64 s[4:5], vcc
	s_cbranch_execz .LBB46_152
; %bb.151:
	v_mov_b32_e32 v0, 0
	v_mov_b32_e32 v2, s18
	global_atomic_smin v0, v2, s[14:15]
.LBB46_152:
	s_or_b64 exec, exec, s[4:5]
	v_mov_b32_e32 v0, 1.0
	v_mov_b32_e32 v2, 0
.LBB46_153:
	s_or_b64 exec, exec, s[2:3]
	v_cmp_lt_u32_e32 vcc, 5, v13
	s_and_saveexec_b64 s[2:3], vcc
	s_cbranch_execz .LBB46_155
; %bb.154:
	v_mul_f32_e32 v10, v2, v2
	v_fmac_f32_e32 v10, v0, v0
	v_div_scale_f32 v11, s[4:5], v10, v10, 1.0
	v_rcp_f32_e32 v15, v11
	v_lshlrev_b32_e32 v16, 6, v13
	ds_read2_b64 v[6:9], v16 offset0:117 offset1:173
	v_fma_f32 v17, -v11, v15, 1.0
	v_fmac_f32_e32 v15, v17, v15
	v_div_scale_f32 v17, vcc, 1.0, v10, 1.0
	v_mul_f32_e32 v18, v17, v15
	v_fma_f32 v19, -v11, v18, v17
	v_fmac_f32_e32 v18, v19, v15
	v_fma_f32 v11, -v11, v18, v17
	s_waitcnt lgkmcnt(0)
	v_pk_add_f32 v[6:7], v[6:7], v[8:9] op_sel:[1,1] op_sel_hi:[0,0] neg_lo:[0,1] neg_hi:[0,1]
	v_div_fmas_f32 v11, v11, v15, v18
	v_pk_mul_f32 v[8:9], v[2:3], v[6:7] op_sel:[0,1] op_sel_hi:[0,0] neg_lo:[0,1]
	v_div_fixup_f32 v10, v11, v10, 1.0
	v_lshlrev_b32_e32 v11, 6, v12
	v_pk_fma_f32 v[6:7], v[6:7], v[0:1], v[8:9] op_sel_hi:[1,0,1]
	v_pk_mul_f32 v[6:7], v[10:11], v[6:7] op_sel_hi:[0,1]
	v_mov_b32_e32 v8, v7
	v_mov_b32_e32 v9, v6
	ds_write_b64 v16, v[8:9] offset:936
	s_waitcnt lgkmcnt(0)
	ds_read_b64 v[8:9], v11 offset:936
	ds_read_b64 v[10:11], v3
	s_waitcnt lgkmcnt(0)
	v_pk_fma_f32 v[10:11], v[6:7], v[8:9], v[10:11] op_sel:[1,0,0] op_sel_hi:[0,0,1]
	v_pk_fma_f32 v[6:7], v[6:7], v[8:9], v[10:11] op_sel:[0,1,0] neg_hi:[0,1,0]
	ds_write_b64 v3, v[6:7]
.LBB46_155:
	s_or_b64 exec, exec, s[2:3]
	v_cmp_eq_u32_e32 vcc, 6, v13
	s_waitcnt lgkmcnt(0)
	s_and_saveexec_b64 s[4:5], vcc
	s_cbranch_execz .LBB46_163
; %bb.156:
	v_mov_b32_e32 v6, 0
	ds_read2_b64 v[8:11], v6 offset0:166 offset1:222
	s_waitcnt lgkmcnt(0)
	v_sub_f32_e32 v0, v8, v10
	v_sub_f32_e32 v7, v9, v11
	v_cmp_gt_f32_e32 vcc, 0, v0
	v_cndmask_b32_e64 v0, v0, -v0, vcc
	v_cmp_gt_f32_e32 vcc, 0, v7
	v_cndmask_b32_e64 v2, v7, -v7, vcc
	v_cmp_gt_f32_e32 vcc, v0, v2
	s_cbranch_vccnz .LBB46_160
; %bb.157:
	v_cmp_eq_f32_e32 vcc, 0, v7
	s_cbranch_vccnz .LBB46_159
; %bb.158:
	v_div_scale_f32 v6, s[2:3], v2, v2, v0
	v_rcp_f32_e32 v7, v6
	v_div_scale_f32 v8, vcc, v0, v2, v0
	s_mov_b32 s2, 0xf800000
	v_fma_f32 v9, -v6, v7, 1.0
	v_fmac_f32_e32 v7, v9, v7
	v_mul_f32_e32 v9, v8, v7
	v_fma_f32 v10, -v6, v9, v8
	v_fmac_f32_e32 v9, v10, v7
	v_fma_f32 v6, -v6, v9, v8
	v_div_fmas_f32 v6, v6, v7, v9
	v_div_fixup_f32 v6, v6, v2, v0
	v_fma_f32 v6, v6, v6, 1.0
	v_mul_f32_e32 v7, 0x4f800000, v6
	v_cmp_gt_f32_e32 vcc, s2, v6
	v_cndmask_b32_e32 v6, v6, v7, vcc
	v_sqrt_f32_e32 v7, v6
	v_add_u32_e32 v8, -1, v7
	v_fma_f32 v9, -v8, v7, v6
	v_cmp_ge_f32_e64 s[2:3], 0, v9
	v_add_u32_e32 v9, 1, v7
	v_cndmask_b32_e64 v8, v7, v8, s[2:3]
	v_fma_f32 v7, -v9, v7, v6
	v_cmp_lt_f32_e64 s[2:3], 0, v7
	v_cndmask_b32_e64 v7, v8, v9, s[2:3]
	v_mul_f32_e32 v8, 0x37800000, v7
	v_cndmask_b32_e32 v7, v7, v8, vcc
	v_mov_b32_e32 v8, 0x260
	v_cmp_class_f32_e32 vcc, v6, v8
	v_cndmask_b32_e32 v6, v7, v6, vcc
	v_mul_f32_e32 v6, v2, v6
.LBB46_159:
	s_cbranch_execz .LBB46_161
	s_branch .LBB46_162
.LBB46_160:
                                        ; implicit-def: $vgpr6
.LBB46_161:
	v_div_scale_f32 v6, s[2:3], v0, v0, v2
	v_rcp_f32_e32 v7, v6
	v_div_scale_f32 v8, vcc, v2, v0, v2
	s_mov_b32 s2, 0xf800000
	v_fma_f32 v9, -v6, v7, 1.0
	v_fmac_f32_e32 v7, v9, v7
	v_mul_f32_e32 v9, v8, v7
	v_fma_f32 v10, -v6, v9, v8
	v_fmac_f32_e32 v9, v10, v7
	v_fma_f32 v6, -v6, v9, v8
	v_div_fmas_f32 v6, v6, v7, v9
	v_div_fixup_f32 v2, v6, v0, v2
	v_fma_f32 v2, v2, v2, 1.0
	v_mul_f32_e32 v6, 0x4f800000, v2
	v_cmp_gt_f32_e32 vcc, s2, v2
	v_cndmask_b32_e32 v2, v2, v6, vcc
	v_sqrt_f32_e32 v6, v2
	v_add_u32_e32 v7, -1, v6
	v_fma_f32 v8, -v7, v6, v2
	v_cmp_ge_f32_e64 s[2:3], 0, v8
	v_add_u32_e32 v8, 1, v6
	v_cndmask_b32_e64 v7, v6, v7, s[2:3]
	v_fma_f32 v6, -v8, v6, v2
	v_cmp_lt_f32_e64 s[2:3], 0, v6
	v_cndmask_b32_e64 v6, v7, v8, s[2:3]
	v_mul_f32_e32 v7, 0x37800000, v6
	v_cndmask_b32_e32 v6, v6, v7, vcc
	v_mov_b32_e32 v7, 0x260
	v_cmp_class_f32_e32 vcc, v2, v7
	v_cndmask_b32_e32 v2, v6, v2, vcc
	v_mul_f32_e32 v6, v0, v2
.LBB46_162:
	s_mov_b32 s2, 0xf800000
	v_mul_f32_e32 v0, 0x4f800000, v6
	v_cmp_gt_f32_e32 vcc, s2, v6
	v_cndmask_b32_e32 v0, v6, v0, vcc
	v_sqrt_f32_e32 v2, v0
	v_add_u32_e32 v6, -1, v2
	v_fma_f32 v7, -v6, v2, v0
	v_cmp_ge_f32_e64 s[2:3], 0, v7
	v_add_u32_e32 v7, 1, v2
	v_cndmask_b32_e64 v6, v2, v6, s[2:3]
	v_fma_f32 v2, -v7, v2, v0
	v_cmp_lt_f32_e64 s[2:3], 0, v2
	v_cndmask_b32_e64 v2, v6, v7, s[2:3]
	v_mul_f32_e32 v6, 0x37800000, v2
	v_cndmask_b32_e32 v2, v2, v6, vcc
	v_mov_b32_e32 v6, 0x260
	v_cmp_class_f32_e32 vcc, v0, v6
	v_cndmask_b32_e32 v6, v2, v0, vcc
	v_mov_b32_e32 v7, 0
	ds_write_b64 v7, v[6:7] offset:1328
.LBB46_163:
	s_or_b64 exec, exec, s[4:5]
	v_mov_b32_e32 v0, 0
	s_waitcnt lgkmcnt(0)
	ds_read_b64 v[6:7], v0 offset:1328
	s_waitcnt lgkmcnt(0)
	v_cmp_neq_f32_e32 vcc, 0, v6
	v_cmp_neq_f32_e64 s[2:3], 0, v7
	s_or_b64 vcc, vcc, s[2:3]
	s_or_b64 s[0:1], vcc, s[0:1]
	v_cndmask_b32_e32 v0, 1.0, v6, vcc
	s_xor_b64 s[2:3], s[0:1], -1
	v_cndmask_b32_e32 v2, 0, v7, vcc
	s_and_saveexec_b64 s[0:1], s[2:3]
	s_cbranch_execnz .LBB46_176
; %bb.164:
	s_or_b64 exec, exec, s[0:1]
	v_cmp_lt_u32_e32 vcc, 6, v13
	s_and_saveexec_b64 s[0:1], vcc
	s_cbranch_execnz .LBB46_179
.LBB46_165:
	s_or_b64 exec, exec, s[0:1]
	s_andn2_b64 vcc, exec, s[8:9]
	s_cbranch_vccnz .LBB46_167
.LBB46_166:
	v_mov_b32_e32 v14, v1
.LBB46_167:
	v_add_u32_e32 v0, s30, v14
	ds_read_b64 v[2:3], v4
	v_ashrrev_i32_e32 v1, 31, v0
	v_lshlrev_b64 v[0:1], 3, v[0:1]
	v_mov_b32_e32 v6, s21
	v_add_co_u32_e32 v0, vcc, s20, v0
	v_addc_co_u32_e32 v1, vcc, v6, v1, vcc
	s_waitcnt lgkmcnt(0)
	global_store_dwordx2 v[0:1], v[2:3], off
	v_cmp_eq_u32_e64 s[0:1], 0, v5
	s_branch .LBB46_173
.LBB46_168:
	v_or_b32_e32 v0, v12, v13
	v_cmp_eq_u32_e32 vcc, 0, v0
	s_and_saveexec_b64 s[2:3], vcc
	s_cbranch_execz .LBB46_172
; %bb.169:
	v_mbcnt_lo_u32_b32 v0, exec_lo, 0
	v_mbcnt_hi_u32_b32 v0, exec_hi, v0
	v_cmp_eq_u32_e32 vcc, 0, v0
	s_and_saveexec_b64 s[4:5], vcc
	s_cbranch_execz .LBB46_171
; %bb.170:
	s_add_i32 s8, s12, s13
	v_mov_b32_e32 v0, 0
	v_mov_b32_e32 v1, s8
	global_atomic_smin v0, v1, s[14:15]
.LBB46_171:
	s_or_b64 exec, exec, s[4:5]
	s_or_b64 s[0:1], s[0:1], exec
.LBB46_172:
	s_or_b64 exec, exec, s[2:3]
.LBB46_173:
	s_and_saveexec_b64 s[2:3], s[0:1]
	s_cbranch_execnz .LBB46_175
; %bb.174:
	s_endpgm
.LBB46_175:
	s_add_u32 s0, s10, s6
	s_addc_u32 s1, s11, s7
	v_mov_b32_e32 v0, 0
	v_mov_b32_e32 v1, 1
	s_waitcnt vmcnt(0)
	global_store_dword v0, v1, s[0:1]
	s_endpgm
.LBB46_176:
	v_mbcnt_lo_u32_b32 v0, exec_lo, 0
	v_mbcnt_hi_u32_b32 v0, exec_hi, v0
	v_cmp_eq_u32_e32 vcc, 0, v0
	s_and_saveexec_b64 s[2:3], vcc
	s_cbranch_execz .LBB46_178
; %bb.177:
	v_mov_b32_e32 v0, 0
	v_mov_b32_e32 v2, s18
	global_atomic_smin v0, v2, s[14:15]
.LBB46_178:
	s_or_b64 exec, exec, s[2:3]
	v_mov_b32_e32 v0, 1.0
	v_mov_b32_e32 v2, 0
	s_or_b64 exec, exec, s[0:1]
	v_cmp_lt_u32_e32 vcc, 6, v13
	s_and_saveexec_b64 s[0:1], vcc
	s_cbranch_execz .LBB46_165
.LBB46_179:
	v_mul_f32_e32 v10, v2, v2
	v_fmac_f32_e32 v10, v0, v0
	v_div_scale_f32 v11, s[2:3], v10, v10, 1.0
	v_rcp_f32_e32 v15, v11
	v_lshlrev_b32_e32 v16, 6, v13
	ds_read2_b64 v[6:9], v16 offset0:118 offset1:174
	v_fma_f32 v17, -v11, v15, 1.0
	v_fmac_f32_e32 v15, v17, v15
	v_div_scale_f32 v17, vcc, 1.0, v10, 1.0
	v_mul_f32_e32 v18, v17, v15
	v_fma_f32 v19, -v11, v18, v17
	v_fmac_f32_e32 v18, v19, v15
	v_fma_f32 v11, -v11, v18, v17
	s_waitcnt lgkmcnt(0)
	v_pk_add_f32 v[6:7], v[6:7], v[8:9] op_sel:[1,1] op_sel_hi:[0,0] neg_lo:[0,1] neg_hi:[0,1]
	v_div_fmas_f32 v11, v11, v15, v18
	v_pk_mul_f32 v[8:9], v[2:3], v[6:7] op_sel:[0,1] op_sel_hi:[0,0] neg_lo:[0,1]
	v_div_fixup_f32 v10, v11, v10, 1.0
	v_lshlrev_b32_e32 v11, 6, v12
	v_pk_fma_f32 v[6:7], v[6:7], v[0:1], v[8:9] op_sel_hi:[1,0,1]
	v_pk_mul_f32 v[6:7], v[10:11], v[6:7] op_sel_hi:[0,1]
	v_mov_b32_e32 v8, v7
	v_mov_b32_e32 v9, v6
	ds_write_b64 v16, v[8:9] offset:944
	s_waitcnt lgkmcnt(0)
	ds_read_b64 v[8:9], v11 offset:944
	ds_read_b64 v[10:11], v3
	s_waitcnt lgkmcnt(0)
	v_pk_fma_f32 v[10:11], v[6:7], v[8:9], v[10:11] op_sel:[1,0,0] op_sel_hi:[0,0,1]
	v_pk_fma_f32 v[6:7], v[6:7], v[8:9], v[10:11] op_sel:[0,1,0] neg_hi:[0,1,0]
	ds_write_b64 v3, v[6:7]
	s_or_b64 exec, exec, s[0:1]
	s_andn2_b64 vcc, exec, s[8:9]
	s_waitcnt lgkmcnt(0)
	s_cbranch_vccz .LBB46_166
	s_branch .LBB46_167
	.section	.rodata,"a",@progbits
	.p2align	6, 0x0
	.amdhsa_kernel _ZN9rocsparseL26bsric0_2_8_unrolled_kernelILi49ELi32ELi7E21rocsparse_complex_numIfEEEv20rocsparse_direction_iiPKiS5_PT2_S5_PiS5_S8_21rocsparse_index_base_
		.amdhsa_group_segment_fixed_size 2176
		.amdhsa_private_segment_fixed_size 0
		.amdhsa_kernarg_size 76
		.amdhsa_user_sgpr_count 6
		.amdhsa_user_sgpr_private_segment_buffer 1
		.amdhsa_user_sgpr_dispatch_ptr 0
		.amdhsa_user_sgpr_queue_ptr 0
		.amdhsa_user_sgpr_kernarg_segment_ptr 1
		.amdhsa_user_sgpr_dispatch_id 0
		.amdhsa_user_sgpr_flat_scratch_init 0
		.amdhsa_user_sgpr_kernarg_preload_length 0
		.amdhsa_user_sgpr_kernarg_preload_offset 0
		.amdhsa_user_sgpr_private_segment_size 0
		.amdhsa_uses_dynamic_stack 0
		.amdhsa_system_sgpr_private_segment_wavefront_offset 0
		.amdhsa_system_sgpr_workgroup_id_x 1
		.amdhsa_system_sgpr_workgroup_id_y 0
		.amdhsa_system_sgpr_workgroup_id_z 0
		.amdhsa_system_sgpr_workgroup_info 0
		.amdhsa_system_vgpr_workitem_id 1
		.amdhsa_next_free_vgpr 72
		.amdhsa_next_free_sgpr 40
		.amdhsa_accum_offset 72
		.amdhsa_reserve_vcc 1
		.amdhsa_reserve_flat_scratch 0
		.amdhsa_float_round_mode_32 0
		.amdhsa_float_round_mode_16_64 0
		.amdhsa_float_denorm_mode_32 3
		.amdhsa_float_denorm_mode_16_64 3
		.amdhsa_dx10_clamp 1
		.amdhsa_ieee_mode 1
		.amdhsa_fp16_overflow 0
		.amdhsa_tg_split 0
		.amdhsa_exception_fp_ieee_invalid_op 0
		.amdhsa_exception_fp_denorm_src 0
		.amdhsa_exception_fp_ieee_div_zero 0
		.amdhsa_exception_fp_ieee_overflow 0
		.amdhsa_exception_fp_ieee_underflow 0
		.amdhsa_exception_fp_ieee_inexact 0
		.amdhsa_exception_int_div_zero 0
	.end_amdhsa_kernel
	.section	.text._ZN9rocsparseL26bsric0_2_8_unrolled_kernelILi49ELi32ELi7E21rocsparse_complex_numIfEEEv20rocsparse_direction_iiPKiS5_PT2_S5_PiS5_S8_21rocsparse_index_base_,"axG",@progbits,_ZN9rocsparseL26bsric0_2_8_unrolled_kernelILi49ELi32ELi7E21rocsparse_complex_numIfEEEv20rocsparse_direction_iiPKiS5_PT2_S5_PiS5_S8_21rocsparse_index_base_,comdat
.Lfunc_end46:
	.size	_ZN9rocsparseL26bsric0_2_8_unrolled_kernelILi49ELi32ELi7E21rocsparse_complex_numIfEEEv20rocsparse_direction_iiPKiS5_PT2_S5_PiS5_S8_21rocsparse_index_base_, .Lfunc_end46-_ZN9rocsparseL26bsric0_2_8_unrolled_kernelILi49ELi32ELi7E21rocsparse_complex_numIfEEEv20rocsparse_direction_iiPKiS5_PT2_S5_PiS5_S8_21rocsparse_index_base_
                                        ; -- End function
	.section	.AMDGPU.csdata,"",@progbits
; Kernel info:
; codeLenInByte = 13144
; NumSgprs: 44
; NumVgprs: 72
; NumAgprs: 0
; TotalNumVgprs: 72
; ScratchSize: 0
; MemoryBound: 0
; FloatMode: 240
; IeeeMode: 1
; LDSByteSize: 2176 bytes/workgroup (compile time only)
; SGPRBlocks: 5
; VGPRBlocks: 8
; NumSGPRsForWavesPerEU: 44
; NumVGPRsForWavesPerEU: 72
; AccumOffset: 72
; Occupancy: 7
; WaveLimiterHint : 1
; COMPUTE_PGM_RSRC2:SCRATCH_EN: 0
; COMPUTE_PGM_RSRC2:USER_SGPR: 6
; COMPUTE_PGM_RSRC2:TRAP_HANDLER: 0
; COMPUTE_PGM_RSRC2:TGID_X_EN: 1
; COMPUTE_PGM_RSRC2:TGID_Y_EN: 0
; COMPUTE_PGM_RSRC2:TGID_Z_EN: 0
; COMPUTE_PGM_RSRC2:TIDIG_COMP_CNT: 1
; COMPUTE_PGM_RSRC3_GFX90A:ACCUM_OFFSET: 17
; COMPUTE_PGM_RSRC3_GFX90A:TG_SPLIT: 0
	.section	.text._ZN9rocsparseL26bsric0_2_8_unrolled_kernelILi64ELi32ELi8E21rocsparse_complex_numIfEEEv20rocsparse_direction_iiPKiS5_PT2_S5_PiS5_S8_21rocsparse_index_base_,"axG",@progbits,_ZN9rocsparseL26bsric0_2_8_unrolled_kernelILi64ELi32ELi8E21rocsparse_complex_numIfEEEv20rocsparse_direction_iiPKiS5_PT2_S5_PiS5_S8_21rocsparse_index_base_,comdat
	.globl	_ZN9rocsparseL26bsric0_2_8_unrolled_kernelILi64ELi32ELi8E21rocsparse_complex_numIfEEEv20rocsparse_direction_iiPKiS5_PT2_S5_PiS5_S8_21rocsparse_index_base_ ; -- Begin function _ZN9rocsparseL26bsric0_2_8_unrolled_kernelILi64ELi32ELi8E21rocsparse_complex_numIfEEEv20rocsparse_direction_iiPKiS5_PT2_S5_PiS5_S8_21rocsparse_index_base_
	.p2align	8
	.type	_ZN9rocsparseL26bsric0_2_8_unrolled_kernelILi64ELi32ELi8E21rocsparse_complex_numIfEEEv20rocsparse_direction_iiPKiS5_PT2_S5_PiS5_S8_21rocsparse_index_base_,@function
_ZN9rocsparseL26bsric0_2_8_unrolled_kernelILi64ELi32ELi8E21rocsparse_complex_numIfEEEv20rocsparse_direction_iiPKiS5_PT2_S5_PiS5_S8_21rocsparse_index_base_: ; @_ZN9rocsparseL26bsric0_2_8_unrolled_kernelILi64ELi32ELi8E21rocsparse_complex_numIfEEEv20rocsparse_direction_iiPKiS5_PT2_S5_PiS5_S8_21rocsparse_index_base_
; %bb.0:
	s_load_dwordx8 s[8:15], s[4:5], 0x28
	s_mov_b32 s7, 0
	s_lshl_b64 s[0:1], s[6:7], 2
	v_and_b32_e32 v12, 0x3ff, v0
	v_bfe_u32 v13, v0, 10, 10
	s_waitcnt lgkmcnt(0)
	s_add_u32 s0, s12, s0
	s_addc_u32 s1, s13, s1
	s_load_dword s12, s[0:1], 0x0
	s_waitcnt lgkmcnt(0)
	s_ashr_i32 s13, s12, 31
	s_lshl_b64 s[6:7], s[12:13], 2
	s_add_u32 s0, s8, s6
	s_addc_u32 s1, s9, s7
	s_load_dword s30, s[0:1], 0x0
	s_load_dword s13, s[4:5], 0x48
	s_waitcnt lgkmcnt(0)
	s_cmp_lg_u32 s30, -1
	s_cbranch_scc0 .LBB47_16
; %bb.1:
	s_load_dwordx4 s[16:19], s[4:5], 0x10
	v_lshlrev_b32_e32 v15, 3, v13
	v_add_u32_e32 v14, v15, v12
	s_waitcnt lgkmcnt(0)
	s_add_u32 s0, s16, s6
	s_addc_u32 s1, s17, s7
	s_load_dword s24, s[0:1], 0x0
	s_waitcnt lgkmcnt(0)
	s_sub_i32 s31, s24, s13
	v_add_u32_e32 v0, s31, v14
	v_cmp_ge_i32_e32 vcc, s30, v0
	s_and_saveexec_b64 s[0:1], vcc
	s_cbranch_execz .LBB47_14
; %bb.2:
	v_add_u32_e32 v1, s24, v14
	v_subrev_u32_e32 v1, s13, v1
	v_add_u32_e32 v1, 64, v1
	s_add_i32 s2, s30, 1
	v_max_i32_e32 v1, s2, v1
	v_not_b32_e32 v2, v12
	v_add3_u32 v1, v1, s13, v2
	v_add_u32_e32 v2, s24, v15
	v_sub_u32_e32 v1, v1, v2
	v_cmp_lt_u32_e32 vcc, 63, v1
	s_mov_b64 s[20:21], -1
	s_and_saveexec_b64 s[2:3], vcc
	s_cbranch_execz .LBB47_11
; %bb.3:
	v_lshrrev_b32_e32 v16, 6, v1
	v_add_u32_e32 v2, -1, v16
	v_add_u32_e32 v1, 64, v0
	v_lshrrev_b32_e32 v3, 1, v2
	v_add_u32_e32 v17, 1, v3
	v_cmp_lt_u32_e32 vcc, 13, v2
	v_pk_mov_b32 v[2:3], v[0:1], v[0:1] op_sel:[0,1]
	s_and_saveexec_b64 s[20:21], vcc
	s_cbranch_execz .LBB47_7
; %bb.4:
	v_and_b32_e32 v18, -8, v17
	s_mov_b64 s[22:23], 0
	v_mov_b32_e32 v19, s19
	v_pk_mov_b32 v[2:3], v[0:1], v[0:1] op_sel:[0,1]
.LBB47_5:                               ; =>This Inner Loop Header: Depth=1
	v_ashrrev_i32_e32 v23, 31, v2
	v_mov_b32_e32 v22, v2
	v_lshlrev_b64 v[22:23], 2, v[22:23]
	v_ashrrev_i32_e32 v21, 31, v3
	v_mov_b32_e32 v20, v3
	v_add_co_u32_e32 v22, vcc, s18, v22
	v_add_u32_e32 v4, 0x80, v2
	v_lshlrev_b64 v[20:21], 2, v[20:21]
	v_addc_co_u32_e32 v23, vcc, v19, v23, vcc
	v_ashrrev_i32_e32 v5, 31, v4
	v_add_co_u32_e32 v20, vcc, s18, v20
	v_add_u32_e32 v6, 0x80, v3
	v_addc_co_u32_e32 v21, vcc, v19, v21, vcc
	v_lshlrev_b64 v[44:45], 2, v[4:5]
	v_ashrrev_i32_e32 v7, 31, v6
	global_load_dword v1, v[22:23], off
	global_load_dword v5, v[20:21], off
	v_add_co_u32_e32 v20, vcc, s18, v44
	v_add_u32_e32 v8, 0x100, v2
	v_lshlrev_b64 v[46:47], 2, v[6:7]
	v_addc_co_u32_e32 v21, vcc, v19, v45, vcc
	v_ashrrev_i32_e32 v9, 31, v8
	v_add_co_u32_e32 v22, vcc, s18, v46
	v_add_u32_e32 v10, 0x100, v3
	v_lshlrev_b64 v[48:49], 2, v[8:9]
	v_addc_co_u32_e32 v23, vcc, v19, v47, vcc
	v_ashrrev_i32_e32 v11, 31, v10
	;; [unrolled: 5-line block ×12, first 2 shown]
	v_add_co_u32_e32 v64, vcc, s18, v68
	v_lshlrev_b64 v[70:71], 2, v[42:43]
	v_addc_co_u32_e32 v65, vcc, v19, v69, vcc
	v_add_co_u32_e32 v66, vcc, s18, v70
	v_addc_co_u32_e32 v67, vcc, v19, v71, vcc
	global_load_dword v7, v[22:23], off
	global_load_dword v9, v[20:21], off
	;; [unrolled: 1-line block ×14, first 2 shown]
	v_subrev_u32_e32 v21, s31, v2
	v_add_u32_e32 v18, -8, v18
	v_subrev_u32_e32 v20, s31, v3
	v_lshlrev_b32_e32 v21, 2, v21
	v_subrev_u32_e32 v4, s31, v4
	v_cmp_eq_u32_e32 vcc, 0, v18
	s_waitcnt vmcnt(14)
	v_subrev_u32_e32 v5, s13, v5
	v_subrev_u32_e32 v1, s13, v1
	v_add_u32_e32 v3, 0x400, v3
	v_add_u32_e32 v2, 0x400, v2
	v_lshlrev_b32_e32 v20, 2, v20
	v_subrev_u32_e32 v6, s31, v6
	v_subrev_u32_e32 v10, s31, v10
	;; [unrolled: 1-line block ×13, first 2 shown]
	v_lshlrev_b32_e32 v4, 2, v4
	s_or_b64 s[22:23], vcc, s[22:23]
	ds_write_b32 v21, v1 offset:2560
	ds_write_b32 v20, v5 offset:2560
	v_lshlrev_b32_e32 v6, 2, v6
	v_lshlrev_b32_e32 v8, 2, v8
	;; [unrolled: 1-line block ×13, first 2 shown]
	s_waitcnt vmcnt(13)
	v_subrev_u32_e32 v1, s13, v7
	s_waitcnt vmcnt(12)
	v_subrev_u32_e32 v5, s13, v9
	;; [unrolled: 2-line block ×14, first 2 shown]
	ds_write_b32 v4, v5 offset:2560
	ds_write_b32 v6, v1 offset:2560
	;; [unrolled: 1-line block ×14, first 2 shown]
	s_andn2_b64 exec, exec, s[22:23]
	s_cbranch_execnz .LBB47_5
; %bb.6:
	s_or_b64 exec, exec, s[22:23]
.LBB47_7:
	s_or_b64 exec, exec, s[20:21]
	v_and_b32_e32 v1, 7, v17
	v_cmp_ne_u32_e32 vcc, 0, v1
	s_and_saveexec_b64 s[20:21], vcc
	s_cbranch_execz .LBB47_10
; %bb.8:
	s_mov_b64 s[22:23], 0
	v_mov_b32_e32 v4, s19
.LBB47_9:                               ; =>This Inner Loop Header: Depth=1
	v_ashrrev_i32_e32 v9, 31, v2
	v_mov_b32_e32 v8, v2
	v_lshlrev_b64 v[8:9], 2, v[8:9]
	v_ashrrev_i32_e32 v7, 31, v3
	v_mov_b32_e32 v6, v3
	v_add_co_u32_e32 v8, vcc, s18, v8
	v_lshlrev_b64 v[6:7], 2, v[6:7]
	v_addc_co_u32_e32 v9, vcc, v4, v9, vcc
	v_add_co_u32_e32 v6, vcc, s18, v6
	v_addc_co_u32_e32 v7, vcc, v4, v7, vcc
	global_load_dword v5, v[6:7], off
	global_load_dword v10, v[8:9], off
	v_add_u32_e32 v1, -1, v1
	v_subrev_u32_e32 v7, s31, v2
	v_cmp_eq_u32_e32 vcc, 0, v1
	v_subrev_u32_e32 v6, s31, v3
	v_add_u32_e32 v3, 0x80, v3
	v_add_u32_e32 v2, 0x80, v2
	v_lshlrev_b32_e32 v7, 2, v7
	s_or_b64 s[22:23], vcc, s[22:23]
	v_lshlrev_b32_e32 v6, 2, v6
	s_waitcnt vmcnt(1)
	v_subrev_u32_e32 v5, s13, v5
	s_waitcnt vmcnt(0)
	v_subrev_u32_e32 v8, s13, v10
	ds_write_b32 v7, v8 offset:2560
	ds_write_b32 v6, v5 offset:2560
	s_andn2_b64 exec, exec, s[22:23]
	s_cbranch_execnz .LBB47_9
.LBB47_10:
	s_or_b64 exec, exec, s[20:21]
	v_add_u32_e32 v1, 1, v16
	v_and_b32_e32 v2, 0x7fffffe, v1
	v_cmp_ne_u32_e32 vcc, v1, v2
	v_lshl_add_u32 v0, v2, 6, v0
	s_orn2_b64 s[20:21], vcc, exec
.LBB47_11:
	s_or_b64 exec, exec, s[2:3]
	s_and_b64 exec, exec, s[20:21]
	s_cbranch_execz .LBB47_14
; %bb.12:
	v_add_u32_e32 v1, s13, v0
	v_subrev_u32_e32 v1, s24, v1
	v_mov_b32_e32 v2, 0xa00
	v_lshl_add_u32 v4, v1, 2, v2
	v_ashrrev_i32_e32 v1, 31, v0
	v_lshlrev_b64 v[2:3], 2, v[0:1]
	v_mov_b32_e32 v1, s19
	v_add_co_u32_e32 v2, vcc, s18, v2
	v_addc_co_u32_e32 v3, vcc, v1, v3, vcc
	s_mov_b64 s[2:3], 0
.LBB47_13:                              ; =>This Inner Loop Header: Depth=1
	global_load_dword v1, v[2:3], off
	v_add_co_u32_e32 v2, vcc, 0x100, v2
	v_add_u32_e32 v0, 64, v0
	v_addc_co_u32_e32 v3, vcc, 0, v3, vcc
	v_cmp_lt_i32_e32 vcc, s30, v0
	s_or_b64 s[2:3], vcc, s[2:3]
	s_waitcnt vmcnt(0)
	v_subrev_u32_e32 v1, s13, v1
	ds_write_b32 v4, v1
	v_add_u32_e32 v4, 0x100, v4
	s_andn2_b64 exec, exec, s[2:3]
	s_cbranch_execnz .LBB47_13
.LBB47_14:
	s_or_b64 exec, exec, s[0:1]
	s_load_dwordx2 s[20:21], s[4:5], 0x20
	v_lshlrev_b32_e32 v10, 3, v12
	s_movk_i32 s0, 0x48
	v_mov_b32_e32 v2, 0
	v_mad_u32_u24 v0, v13, s0, v10
	v_mov_b32_e32 v3, v2
	s_cmp_lt_i32 s31, s30
	ds_write_b64 v0, v[2:3] offset:1728
	s_waitcnt lgkmcnt(0)
	s_cbranch_scc1 .LBB47_17
; %bb.15:
	v_lshl_add_u32 v11, v12, 3, v13
	v_or_b32_e32 v8, v12, v13
	s_load_dword s33, s[4:5], 0x0
	v_add_u32_e32 v9, 0x6c0, v0
	s_cbranch_execz .LBB47_18
	s_branch .LBB47_75
.LBB47_16:
	s_mov_b64 s[0:1], 0
	s_cbranch_execnz .LBB47_188
	s_branch .LBB47_193
.LBB47_17:
                                        ; implicit-def: $vgpr11
                                        ; implicit-def: $vgpr8
	s_load_dword s33, s[4:5], 0x0
	v_add_u32_e32 v9, 0x6c0, v0
.LBB47_18:
	s_waitcnt lgkmcnt(0)
	s_cmp_eq_u32 s33, 0
	s_movk_i32 s2, 0x48
	v_mov_b32_e32 v0, 0x480
	v_mov_b32_e32 v1, 0x240
	v_add_u32_e32 v11, v10, v13
	s_cselect_b64 vcc, -1, 0
	s_cmp_lg_u32 s33, 0
	v_mad_u32_u24 v16, v13, s2, v0
	v_mad_u32_u24 v19, v13, s2, v1
	v_or_b32_e32 v8, v12, v13
	s_cselect_b64 s[4:5], -1, 0
	v_add_u32_e32 v17, v16, v10
	v_mad_u32_u24 v18, v13, s2, v10
	v_add_u32_e32 v20, v19, v10
	v_cmp_ne_u32_e64 s[0:1], 0, v8
	v_mad_u32_u24 v21, v12, s2, v0
	v_cndmask_b32_e32 v22, v11, v14, vcc
	v_mov_b32_e32 v23, 0
	s_mov_b32 s22, s31
	s_branch .LBB47_22
.LBB47_19:                              ;   in Loop: Header=BB47_22 Depth=1
	s_or_b64 exec, exec, s[24:25]
	v_mov_b32_e32 v4, 1.0
	v_mov_b32_e32 v6, 0
.LBB47_20:                              ;   in Loop: Header=BB47_22 Depth=1
	s_or_b64 exec, exec, s[2:3]
	ds_read2_b64 v[24:27], v23 offset0:63 offset1:64
	ds_read2_b64 v[28:31], v16 offset0:2 offset1:3
	ds_read2_b64 v[32:35], v16 offset1:1
	ds_read_b64 v[40:41], v19 offset:56
	ds_read_b64 v[42:43], v16 offset:48
	ds_read2_b64 v[36:39], v16 offset0:4 offset1:5
	s_waitcnt lgkmcnt(5)
	v_mov_b32_e32 v44, v27
	v_mov_b32_e32 v45, v26
	s_waitcnt lgkmcnt(2)
	v_pk_fma_f32 v[40:41], v[24:25], v[32:33], v[40:41] op_sel_hi:[1,0,1]
	v_pk_fma_f32 v[24:25], v[24:25], v[32:33], v[40:41] op_sel:[1,1,0] op_sel_hi:[0,1,1] neg_hi:[0,1,0]
	v_pk_fma_f32 v[24:25], v[26:27], v[34:35], v[24:25] op_sel_hi:[1,0,1]
	v_mov_b32_e32 v26, v35
	v_mul_f32_e32 v5, v6, v6
	v_pk_fma_f32 v[40:41], v[44:45], v[26:27], v[24:25] op_sel_hi:[1,0,1] neg_hi:[0,1,0]
	v_fmac_f32_e32 v5, v4, v4
	ds_read2_b64 v[24:27], v23 offset0:65 offset1:66
	ds_read2_b64 v[32:35], v23 offset0:67 offset1:68
	v_div_scale_f32 v7, s[2:3], v5, v5, 1.0
	v_rcp_f32_e32 v44, v7
	s_waitcnt lgkmcnt(1)
	v_pk_fma_f32 v[40:41], v[24:25], v[28:29], v[40:41] op_sel_hi:[1,0,1]
	v_pk_fma_f32 v[24:25], v[24:25], v[28:29], v[40:41] op_sel:[1,1,0] op_sel_hi:[0,1,1] neg_hi:[0,1,0]
	v_pk_fma_f32 v[24:25], v[26:27], v[30:31], v[24:25] op_sel_hi:[1,0,1]
	v_fma_f32 v28, -v7, v44, 1.0
	v_fmac_f32_e32 v44, v28, v44
	v_div_scale_f32 v28, vcc, 1.0, v5, 1.0
	v_mul_f32_e32 v29, v28, v44
	v_fma_f32 v30, -v7, v29, v28
	v_fmac_f32_e32 v29, v30, v44
	v_mov_b32_e32 v30, v31
	ds_read_b64 v[40:41], v23 offset:552
	v_pk_fma_f32 v[24:25], v[26:27], v[30:31], v[24:25] op_sel:[0,0,1] op_sel_hi:[1,0,0] neg_lo:[0,1,0]
	s_waitcnt lgkmcnt(1)
	v_pk_fma_f32 v[24:25], v[32:33], v[36:37], v[24:25] op_sel:[1,0,0] op_sel_hi:[0,0,1]
	v_pk_fma_f32 v[24:25], v[32:33], v[36:37], v[24:25] op_sel:[0,1,0] neg_lo:[0,1,0]
	v_mov_b32_e32 v26, v35
	v_mov_b32_e32 v27, v34
	v_pk_fma_f32 v[24:25], v[26:27], v[38:39], v[24:25] op_sel_hi:[1,0,1]
	v_mov_b32_e32 v26, v39
	v_pk_fma_f32 v[24:25], v[34:35], v[26:27], v[24:25] op_sel_hi:[1,0,1] neg_lo:[0,1,0]
	s_waitcnt lgkmcnt(0)
	v_pk_fma_f32 v[24:25], v[40:41], v[42:43], v[24:25] op_sel:[1,0,0] op_sel_hi:[0,0,1]
	v_fma_f32 v7, -v7, v29, v28
	v_pk_fma_f32 v[24:25], v[40:41], v[42:43], v[24:25] op_sel:[0,1,0] neg_lo:[0,1,0]
	v_mov_b32_e32 v26, v3
	v_mov_b32_e32 v27, v2
	v_div_fmas_f32 v7, v7, v44, v29
	v_pk_add_f32 v[2:3], v[26:27], v[24:25] neg_lo:[0,1] neg_hi:[0,1]
	v_div_fixup_f32 v28, v7, v5, 1.0
	v_pk_mul_f32 v[6:7], v[6:7], v[2:3] op_sel:[0,1] op_sel_hi:[0,0] neg_lo:[0,1]
	v_pk_fma_f32 v[2:3], v[2:3], v[4:5], v[6:7] op_sel_hi:[1,0,1]
	v_pk_mul_f32 v[2:3], v[28:29], v[2:3] op_sel_hi:[0,1]
	v_mov_b32_e32 v4, v3
	v_mov_b32_e32 v5, v2
	ds_write_b64 v16, v[4:5] offset:56
	s_waitcnt lgkmcnt(0)
	ds_read_b64 v[4:5], v21 offset:56
	ds_read_b64 v[6:7], v9
	s_add_i32 s22, s22, 1
	s_cmp_ge_i32 s22, s30
	s_cselect_b64 s[26:27], -1, 0
	s_waitcnt lgkmcnt(0)
	v_pk_fma_f32 v[6:7], v[2:3], v[4:5], v[6:7] op_sel:[1,0,0] op_sel_hi:[0,0,1]
	v_pk_fma_f32 v[2:3], v[2:3], v[4:5], v[6:7] op_sel:[0,1,0] neg_hi:[0,1,0]
	ds_write_b64 v9, v[2:3]
	s_waitcnt lgkmcnt(0)
	ds_read_b64 v[2:3], v17
	s_waitcnt lgkmcnt(0)
	global_store_dwordx2 v[0:1], v[2:3], off
	s_waitcnt vmcnt(0)
	buffer_wbinvl1_vol
.LBB47_21:                              ;   in Loop: Header=BB47_22 Depth=1
	s_and_b64 vcc, exec, s[26:27]
	s_cbranch_vccnz .LBB47_75
.LBB47_22:                              ; =>This Loop Header: Depth=1
                                        ;     Child Loop BB47_25 Depth 2
                                        ;     Child Loop BB47_36 Depth 2
	;; [unrolled: 1-line block ×3, first 2 shown]
	s_ashr_i32 s23, s22, 31
	s_lshl_b64 s[2:3], s[22:23], 2
	s_add_u32 s2, s18, s2
	s_addc_u32 s3, s19, s3
	s_load_dword s23, s[2:3], 0x0
	s_waitcnt lgkmcnt(0)
	s_sub_i32 s24, s23, s13
	s_ashr_i32 s25, s24, 31
	s_lshl_b64 s[2:3], s[24:25], 2
	s_add_u32 s26, s8, s2
	s_addc_u32 s27, s9, s3
	s_load_dword s25, s[26:27], 0x0
	s_mov_b64 s[26:27], -1
	s_waitcnt lgkmcnt(0)
	s_cmp_eq_u32 s25, -1
	s_cbranch_scc1 .LBB47_21
; %bb.23:                               ;   in Loop: Header=BB47_22 Depth=1
	v_lshl_add_u32 v0, s22, 6, v22
	v_ashrrev_i32_e32 v1, 31, v0
	v_lshlrev_b64 v[0:1], 3, v[0:1]
	v_mov_b32_e32 v2, s21
	v_add_co_u32_e32 v0, vcc, s20, v0
	v_addc_co_u32_e32 v1, vcc, v2, v1, vcc
	global_load_dwordx2 v[2:3], v[0:1], off
	s_add_u32 s26, s16, s2
	s_addc_u32 s27, s17, s3
	s_load_dword s26, s[26:27], 0x0
	ds_read_b32 v4, v23 offset:2560
	s_mov_b32 s27, 0
	s_waitcnt lgkmcnt(0)
	s_sub_i32 s26, s26, s13
	s_cmp_le_i32 s26, s25
	v_cmp_ge_i32_e32 vcc, s24, v4
	s_cselect_b64 s[28:29], -1, 0
	s_and_b64 s[28:29], s[28:29], vcc
	s_andn2_b64 vcc, exec, s[28:29]
	s_waitcnt vmcnt(0)
	ds_write_b64 v17, v[2:3]
	s_cbranch_vccnz .LBB47_35
; %bb.24:                               ;   in Loop: Header=BB47_22 Depth=1
	s_mov_b32 s34, 0
	s_mov_b32 s35, 0
.LBB47_25:                              ;   Parent Loop BB47_22 Depth=1
                                        ; =>  This Inner Loop Header: Depth=2
	s_ashr_i32 s27, s26, 31
	s_lshl_b64 s[28:29], s[26:27], 2
	s_add_u32 s28, s18, s28
	s_addc_u32 s29, s19, s29
	s_load_dword s27, s[28:29], 0x0
	s_lshl_b32 s28, s35, 2
	v_mov_b32_e32 v2, s28
	ds_read_b32 v2, v2 offset:2560
	s_mov_b64 s[28:29], -1
	s_waitcnt lgkmcnt(0)
	s_sub_i32 s39, s27, s13
                                        ; implicit-def: $sgpr27
                                        ; implicit-def: $sgpr38
                                        ; implicit-def: $sgpr37
	v_cmp_ge_i32_e32 vcc, s39, v2
	v_readfirstlane_b32 s36, v2
	s_cbranch_vccz .LBB47_31
; %bb.26:                               ;   in Loop: Header=BB47_25 Depth=2
	s_cmp_le_i32 s39, s36
                                        ; implicit-def: $sgpr27
                                        ; implicit-def: $sgpr38
                                        ; implicit-def: $sgpr37
	s_cbranch_scc0 .LBB47_28
; %bb.27:                               ;   in Loop: Header=BB47_25 Depth=2
	s_add_i32 s27, s35, s31
	s_lshl_b32 s27, s27, 6
	s_lshl_b32 s28, s34, 2
	v_mov_b32_e32 v2, s28
	v_mov_b32_e32 v3, s27
	s_lshl_b32 s27, s26, 6
	v_mov_b32_e32 v4, s27
	v_add_u32_e32 v2, 0x800, v2
	ds_write2_b32 v2, v4, v3 offset0:64 offset1:96
	s_add_i32 s37, s35, 1
	s_add_i32 s38, s26, 1
	;; [unrolled: 1-line block ×3, first 2 shown]
	s_mov_b64 s[28:29], 0
.LBB47_28:                              ;   in Loop: Header=BB47_25 Depth=2
	s_andn2_b64 vcc, exec, s[28:29]
	s_cbranch_vccnz .LBB47_30
; %bb.29:                               ;   in Loop: Header=BB47_25 Depth=2
	s_add_i32 s37, s35, 1
	s_mov_b32 s27, s34
	s_mov_b32 s38, s26
.LBB47_30:                              ;   in Loop: Header=BB47_25 Depth=2
	s_mov_b64 s[28:29], 0
.LBB47_31:                              ;   in Loop: Header=BB47_25 Depth=2
	s_andn2_b64 vcc, exec, s[28:29]
	s_cbranch_vccnz .LBB47_33
; %bb.32:                               ;   in Loop: Header=BB47_25 Depth=2
	s_add_i32 s38, s26, 1
	s_mov_b32 s37, s35
	s_mov_b32 s27, s34
.LBB47_33:                              ;   in Loop: Header=BB47_25 Depth=2
	s_cmp_le_i32 s38, s25
	s_cselect_b64 s[28:29], -1, 0
	s_cmp_le_i32 s36, s24
	s_cselect_b64 s[34:35], -1, 0
	s_and_b64 s[28:29], s[28:29], s[34:35]
	s_and_b64 vcc, exec, s[28:29]
	s_cbranch_vccz .LBB47_35
; %bb.34:                               ;   in Loop: Header=BB47_25 Depth=2
	s_mov_b32 s34, s27
	s_mov_b32 s26, s38
	s_mov_b32 s35, s37
	s_branch .LBB47_25
.LBB47_35:                              ;   in Loop: Header=BB47_22 Depth=1
	s_add_u32 s2, s10, s2
	s_addc_u32 s3, s11, s3
	s_waitcnt lgkmcnt(0)
.LBB47_36:                              ;   Parent Loop BB47_22 Depth=1
                                        ; =>  This Inner Loop Header: Depth=2
	global_load_dword v2, v23, s[2:3] glc
	s_waitcnt vmcnt(0)
	v_cmp_eq_u32_e32 vcc, 0, v2
	s_cbranch_vccnz .LBB47_36
; %bb.37:                               ;   in Loop: Header=BB47_22 Depth=1
	v_lshl_add_u32 v2, s25, 6, v22
	v_ashrrev_i32_e32 v3, 31, v2
	v_lshlrev_b64 v[2:3], 3, v[2:3]
	v_mov_b32_e32 v4, s21
	v_add_co_u32_e32 v2, vcc, s20, v2
	v_addc_co_u32_e32 v3, vcc, v4, v3, vcc
	buffer_wbinvl1_vol
	global_load_dwordx2 v[2:3], v[2:3], off
	v_mov_b32_e32 v7, 0
	s_cmp_lt_i32 s27, 2
	v_mov_b32_e32 v6, v7
	s_waitcnt vmcnt(0)
	ds_write_b64 v18, v[2:3]
	s_waitcnt lgkmcnt(0)
	s_cbranch_scc1 .LBB47_44
; %bb.38:                               ;   in Loop: Header=BB47_22 Depth=1
	v_mov_b32_e32 v6, 0
	s_add_i32 s24, s27, -1
	s_movk_i32 s25, 0x900
	v_mov_b32_e32 v7, v6
	s_branch .LBB47_40
.LBB47_39:                              ;   in Loop: Header=BB47_40 Depth=2
	s_add_i32 s24, s24, -1
	s_add_i32 s25, s25, 4
	s_cmp_eq_u32 s24, 0
	s_cbranch_scc1 .LBB47_44
.LBB47_40:                              ;   Parent Loop BB47_22 Depth=1
                                        ; =>  This Inner Loop Header: Depth=2
	v_mov_b32_e32 v3, s25
	s_waitcnt lgkmcnt(0)
	ds_read2_b32 v[4:5], v3 offset1:32
	v_mov_b32_e32 v2, v6
	v_mov_b32_e32 v3, v7
	s_and_b64 vcc, exec, s[4:5]
	s_cbranch_vccz .LBB47_42
; %bb.41:                               ;   in Loop: Header=BB47_40 Depth=2
	s_waitcnt lgkmcnt(0)
	v_add_u32_e32 v6, v4, v12
	v_ashrrev_i32_e32 v7, 31, v6
	v_lshlrev_b64 v[24:25], 3, v[6:7]
	v_add_u32_e32 v26, v5, v13
	v_mov_b32_e32 v68, s21
	v_add_co_u32_e32 v24, vcc, s20, v24
	v_ashrrev_i32_e32 v27, 31, v26
	v_addc_co_u32_e32 v25, vcc, v68, v25, vcc
	v_lshlrev_b64 v[28:29], 3, v[26:27]
	v_add_u32_e32 v30, 8, v6
	v_add_co_u32_e32 v28, vcc, s20, v28
	v_ashrrev_i32_e32 v31, 31, v30
	v_addc_co_u32_e32 v29, vcc, v68, v29, vcc
	v_lshlrev_b64 v[30:31], 3, v[30:31]
	v_add_u32_e32 v32, 8, v26
	;; [unrolled: 5-line block ×6, first 2 shown]
	v_add_co_u32_e32 v38, vcc, s20, v38
	v_ashrrev_i32_e32 v41, 31, v40
	v_addc_co_u32_e32 v39, vcc, v68, v39, vcc
	v_lshlrev_b64 v[40:41], 3, v[40:41]
	v_add_co_u32_e32 v40, vcc, s20, v40
	v_addc_co_u32_e32 v41, vcc, v68, v41, vcc
	global_load_dwordx2 v[42:43], v[32:33], off
	global_load_dwordx2 v[44:45], v[30:31], off
	;; [unrolled: 1-line block ×8, first 2 shown]
	v_add_u32_e32 v24, 32, v6
	v_ashrrev_i32_e32 v25, 31, v24
	v_lshlrev_b64 v[24:25], 3, v[24:25]
	v_add_u32_e32 v28, 32, v26
	v_add_co_u32_e32 v24, vcc, s20, v24
	v_ashrrev_i32_e32 v29, 31, v28
	v_addc_co_u32_e32 v25, vcc, v68, v25, vcc
	v_lshlrev_b64 v[28:29], 3, v[28:29]
	v_add_u32_e32 v30, 40, v6
	v_add_co_u32_e32 v28, vcc, s20, v28
	v_ashrrev_i32_e32 v31, 31, v30
	v_addc_co_u32_e32 v29, vcc, v68, v29, vcc
	v_lshlrev_b64 v[30:31], 3, v[30:31]
	v_add_u32_e32 v32, 40, v26
	v_add_co_u32_e32 v30, vcc, s20, v30
	v_ashrrev_i32_e32 v33, 31, v32
	v_addc_co_u32_e32 v31, vcc, v68, v31, vcc
	v_lshlrev_b64 v[32:33], 3, v[32:33]
	v_add_u32_e32 v34, 48, v6
	v_add_co_u32_e32 v32, vcc, s20, v32
	v_ashrrev_i32_e32 v35, 31, v34
	v_addc_co_u32_e32 v33, vcc, v68, v33, vcc
	v_lshlrev_b64 v[34:35], 3, v[34:35]
	v_add_u32_e32 v36, 48, v26
	v_add_co_u32_e32 v34, vcc, s20, v34
	v_ashrrev_i32_e32 v37, 31, v36
	v_addc_co_u32_e32 v35, vcc, v68, v35, vcc
	v_lshlrev_b64 v[36:37], 3, v[36:37]
	v_add_u32_e32 v6, 56, v6
	v_add_co_u32_e32 v36, vcc, s20, v36
	v_ashrrev_i32_e32 v7, 31, v6
	v_addc_co_u32_e32 v37, vcc, v68, v37, vcc
	v_lshlrev_b64 v[6:7], 3, v[6:7]
	v_add_u32_e32 v26, 56, v26
	v_add_co_u32_e32 v6, vcc, s20, v6
	v_ashrrev_i32_e32 v27, 31, v26
	v_addc_co_u32_e32 v7, vcc, v68, v7, vcc
	v_lshlrev_b64 v[26:27], 3, v[26:27]
	global_load_dwordx2 v[38:39], v[32:33], off
	global_load_dwordx2 v[40:41], v[30:31], off
	;; [unrolled: 1-line block ×7, first 2 shown]
	v_add_co_u32_e32 v6, vcc, s20, v26
	v_addc_co_u32_e32 v7, vcc, v68, v27, vcc
	global_load_dwordx2 v[6:7], v[6:7], off
	s_waitcnt vmcnt(12)
	v_pk_fma_f32 v[24:25], v[48:49], v[46:47], v[2:3] op_sel_hi:[1,0,1]
	v_pk_fma_f32 v[24:25], v[48:49], v[46:47], v[24:25] op_sel:[1,1,0] op_sel_hi:[0,1,1] neg_hi:[0,1,0]
	v_pk_fma_f32 v[24:25], v[44:45], v[42:43], v[24:25] op_sel_hi:[1,0,1]
	v_pk_fma_f32 v[24:25], v[44:45], v[42:43], v[24:25] op_sel:[1,1,0] op_sel_hi:[0,1,1] neg_hi:[0,1,0]
	s_waitcnt vmcnt(8)
	v_pk_fma_f32 v[24:25], v[56:57], v[54:55], v[24:25] op_sel_hi:[1,0,1]
	v_pk_fma_f32 v[24:25], v[56:57], v[54:55], v[24:25] op_sel:[1,1,0] op_sel_hi:[0,1,1] neg_hi:[0,1,0]
	v_pk_fma_f32 v[24:25], v[52:53], v[50:51], v[24:25] op_sel_hi:[1,0,1]
	v_pk_fma_f32 v[24:25], v[52:53], v[50:51], v[24:25] op_sel:[1,1,0] op_sel_hi:[0,1,1] neg_hi:[0,1,0]
	;; [unrolled: 5-line block ×3, first 2 shown]
	s_waitcnt vmcnt(1)
	v_pk_fma_f32 v[24:25], v[66:67], v[64:65], v[24:25] op_sel_hi:[1,0,1]
	v_pk_fma_f32 v[24:25], v[66:67], v[64:65], v[24:25] op_sel:[1,1,0] op_sel_hi:[0,1,1] neg_hi:[0,1,0]
	s_waitcnt vmcnt(0)
	v_pk_fma_f32 v[24:25], v[62:63], v[6:7], v[24:25] op_sel_hi:[1,0,1]
	v_pk_fma_f32 v[6:7], v[62:63], v[6:7], v[24:25] op_sel:[1,1,0] op_sel_hi:[0,1,1] neg_hi:[0,1,0]
	s_cbranch_execnz .LBB47_39
	s_branch .LBB47_43
.LBB47_42:                              ;   in Loop: Header=BB47_40 Depth=2
                                        ; implicit-def: $vgpr7
.LBB47_43:                              ;   in Loop: Header=BB47_40 Depth=2
	s_waitcnt lgkmcnt(0)
	v_add_u32_e32 v6, v4, v10
	v_ashrrev_i32_e32 v7, 31, v6
	v_lshlrev_b64 v[6:7], 3, v[6:7]
	v_add_u32_e32 v4, v5, v15
	v_mov_b32_e32 v24, s21
	v_add_co_u32_e32 v52, vcc, s20, v6
	v_ashrrev_i32_e32 v5, 31, v4
	v_addc_co_u32_e32 v53, vcc, v24, v7, vcc
	v_lshlrev_b64 v[4:5], 3, v[4:5]
	v_add_co_u32_e32 v54, vcc, s20, v4
	v_addc_co_u32_e32 v55, vcc, v24, v5, vcc
	global_load_dwordx4 v[4:7], v[54:55], off
	global_load_dwordx4 v[24:27], v[52:53], off
	global_load_dwordx4 v[28:31], v[52:53], off offset:16
	global_load_dwordx4 v[32:35], v[54:55], off offset:16
	;; [unrolled: 1-line block ×6, first 2 shown]
	s_waitcnt vmcnt(7)
	v_mov_b32_e32 v54, v7
	s_waitcnt vmcnt(6)
	v_pk_fma_f32 v[2:3], v[24:25], v[4:5], v[2:3] op_sel_hi:[1,0,1]
	v_pk_fma_f32 v[2:3], v[24:25], v[4:5], v[2:3] op_sel:[1,1,0] op_sel_hi:[0,1,1] neg_hi:[0,1,0]
	v_mov_b32_e32 v52, v27
	v_mov_b32_e32 v53, v26
	v_pk_fma_f32 v[2:3], v[26:27], v[6:7], v[2:3] op_sel_hi:[1,0,1]
	v_pk_fma_f32 v[2:3], v[52:53], v[54:55], v[2:3] op_sel_hi:[1,0,1] neg_hi:[0,1,0]
	s_waitcnt vmcnt(4)
	v_pk_fma_f32 v[2:3], v[28:29], v[32:33], v[2:3] op_sel_hi:[1,0,1]
	v_pk_fma_f32 v[2:3], v[28:29], v[32:33], v[2:3] op_sel:[1,1,0] op_sel_hi:[0,1,1] neg_hi:[0,1,0]
	v_mov_b32_e32 v56, v31
	v_mov_b32_e32 v57, v30
	v_mov_b32_e32 v58, v35
	v_pk_fma_f32 v[2:3], v[30:31], v[34:35], v[2:3] op_sel_hi:[1,0,1]
	v_pk_fma_f32 v[2:3], v[56:57], v[58:59], v[2:3] op_sel_hi:[1,0,1] neg_hi:[0,1,0]
	s_waitcnt vmcnt(2)
	v_pk_fma_f32 v[2:3], v[36:37], v[40:41], v[2:3] op_sel_hi:[1,0,1]
	v_pk_fma_f32 v[2:3], v[36:37], v[40:41], v[2:3] op_sel:[1,1,0] op_sel_hi:[0,1,1] neg_hi:[0,1,0]
	v_mov_b32_e32 v60, v39
	;; [unrolled: 8-line block ×3, first 2 shown]
	v_mov_b32_e32 v65, v46
	v_pk_fma_f32 v[2:3], v[46:47], v[50:51], v[2:3] op_sel_hi:[1,0,1]
	v_mov_b32_e32 v4, v51
	v_pk_fma_f32 v[6:7], v[64:65], v[4:5], v[2:3] op_sel_hi:[1,0,1] neg_hi:[0,1,0]
	s_branch .LBB47_39
.LBB47_44:                              ;   in Loop: Header=BB47_22 Depth=1
	ds_write_b64 v20, v[6:7]
	s_waitcnt lgkmcnt(0)
	ds_read_b64 v[4:5], v23
	ds_read_b64 v[2:3], v16
	s_waitcnt lgkmcnt(1)
	v_cmp_neq_f32_e32 vcc, 0, v4
	v_cmp_neq_f32_e64 s[2:3], 0, v5
	s_or_b64 vcc, vcc, s[2:3]
	s_or_b64 s[2:3], vcc, s[0:1]
	v_cndmask_b32_e32 v4, 1.0, v4, vcc
	s_xor_b64 s[24:25], s[2:3], -1
	v_cndmask_b32_e32 v6, 0, v5, vcc
	s_and_saveexec_b64 s[2:3], s[24:25]
	s_cbranch_execz .LBB47_48
; %bb.45:                               ;   in Loop: Header=BB47_22 Depth=1
	v_mbcnt_lo_u32_b32 v4, exec_lo, 0
	v_mbcnt_hi_u32_b32 v4, exec_hi, v4
	v_cmp_eq_u32_e32 vcc, 0, v4
	s_and_saveexec_b64 s[24:25], vcc
	s_cbranch_execz .LBB47_47
; %bb.46:                               ;   in Loop: Header=BB47_22 Depth=1
	v_mov_b32_e32 v4, s23
	global_atomic_smin v23, v4, s[14:15]
.LBB47_47:                              ;   in Loop: Header=BB47_22 Depth=1
	s_or_b64 exec, exec, s[24:25]
	v_mov_b32_e32 v4, 1.0
	v_mov_b32_e32 v6, 0
.LBB47_48:                              ;   in Loop: Header=BB47_22 Depth=1
	s_or_b64 exec, exec, s[2:3]
	v_mul_f32_e32 v5, v6, v6
	v_fmac_f32_e32 v5, v4, v4
	v_div_scale_f32 v7, s[2:3], v5, v5, 1.0
	v_rcp_f32_e32 v26, v7
	v_div_scale_f32 v24, vcc, 1.0, v5, 1.0
	s_waitcnt lgkmcnt(0)
	v_mov_b32_e32 v28, v3
	v_fma_f32 v25, -v7, v26, 1.0
	v_fmac_f32_e32 v26, v25, v26
	v_mul_f32_e32 v27, v24, v26
	v_fma_f32 v25, -v7, v27, v24
	v_fmac_f32_e32 v27, v25, v26
	v_fma_f32 v7, -v7, v27, v24
	ds_read_b64 v[24:25], v19
	v_mov_b32_e32 v29, v2
	v_div_fmas_f32 v7, v7, v26, v27
	v_div_fixup_f32 v26, v7, v5, 1.0
	s_waitcnt lgkmcnt(0)
	v_pk_add_f32 v[2:3], v[28:29], v[24:25] op_sel:[0,1] op_sel_hi:[1,0] neg_lo:[0,1] neg_hi:[0,1]
	v_pk_mul_f32 v[6:7], v[6:7], v[2:3] op_sel:[0,1] op_sel_hi:[0,0] neg_lo:[0,1]
	v_pk_fma_f32 v[2:3], v[2:3], v[4:5], v[6:7] op_sel_hi:[1,0,1]
	v_pk_mul_f32 v[2:3], v[26:27], v[2:3] op_sel_hi:[0,1]
	v_mov_b32_e32 v4, v3
	v_mov_b32_e32 v5, v2
	ds_write_b64 v16, v[4:5]
	s_waitcnt lgkmcnt(0)
	ds_read_b64 v[4:5], v21
	ds_read_b64 v[6:7], v9
	s_waitcnt lgkmcnt(0)
	v_pk_fma_f32 v[6:7], v[2:3], v[4:5], v[6:7] op_sel:[1,0,0] op_sel_hi:[0,0,1]
	v_pk_fma_f32 v[2:3], v[2:3], v[4:5], v[6:7] op_sel:[0,1,0] neg_hi:[0,1,0]
	ds_write_b64 v9, v[2:3]
	s_waitcnt lgkmcnt(0)
	ds_read_b64 v[4:5], v23 offset:80
	ds_read_b64 v[2:3], v16 offset:8
	s_waitcnt lgkmcnt(1)
	v_cmp_neq_f32_e32 vcc, 0, v4
	v_cmp_neq_f32_e64 s[2:3], 0, v5
	s_or_b64 vcc, vcc, s[2:3]
	s_or_b64 s[2:3], vcc, s[0:1]
	v_cndmask_b32_e32 v4, 1.0, v4, vcc
	s_xor_b64 s[24:25], s[2:3], -1
	v_cndmask_b32_e32 v6, 0, v5, vcc
	s_and_saveexec_b64 s[2:3], s[24:25]
	s_cbranch_execz .LBB47_52
; %bb.49:                               ;   in Loop: Header=BB47_22 Depth=1
	v_mbcnt_lo_u32_b32 v4, exec_lo, 0
	v_mbcnt_hi_u32_b32 v4, exec_hi, v4
	v_cmp_eq_u32_e32 vcc, 0, v4
	s_and_saveexec_b64 s[24:25], vcc
	s_cbranch_execz .LBB47_51
; %bb.50:                               ;   in Loop: Header=BB47_22 Depth=1
	v_mov_b32_e32 v4, s23
	global_atomic_smin v23, v4, s[14:15]
.LBB47_51:                              ;   in Loop: Header=BB47_22 Depth=1
	s_or_b64 exec, exec, s[24:25]
	v_mov_b32_e32 v4, 1.0
	v_mov_b32_e32 v6, 0
.LBB47_52:                              ;   in Loop: Header=BB47_22 Depth=1
	s_or_b64 exec, exec, s[2:3]
	v_mul_f32_e32 v5, v6, v6
	v_fmac_f32_e32 v5, v4, v4
	v_div_scale_f32 v7, s[2:3], v5, v5, 1.0
	v_rcp_f32_e32 v30, v7
	v_div_scale_f32 v31, vcc, 1.0, v5, 1.0
	ds_read_b64 v[24:25], v16
	v_fma_f32 v26, -v7, v30, 1.0
	v_fmac_f32_e32 v30, v26, v30
	v_mul_f32_e32 v32, v31, v30
	v_fma_f32 v26, -v7, v32, v31
	v_fmac_f32_e32 v32, v26, v30
	ds_read_b64 v[26:27], v23 offset:72
	ds_read_b64 v[28:29], v19 offset:8
	v_fma_f32 v7, -v7, v32, v31
	v_div_fmas_f32 v7, v7, v30, v32
	v_div_fixup_f32 v30, v7, v5, 1.0
	s_waitcnt lgkmcnt(0)
	v_pk_fma_f32 v[28:29], v[26:27], v[24:25], v[28:29] op_sel_hi:[1,0,1]
	v_pk_fma_f32 v[24:25], v[26:27], v[24:25], v[28:29] op_sel:[0,1,1] op_sel_hi:[1,1,0] neg_lo:[0,1,0]
	v_mov_b32_e32 v26, v3
	v_mov_b32_e32 v27, v2
	v_pk_add_f32 v[2:3], v[26:27], v[24:25] neg_lo:[0,1] neg_hi:[0,1]
	v_pk_mul_f32 v[6:7], v[6:7], v[2:3] op_sel:[0,1] op_sel_hi:[0,0] neg_lo:[0,1]
	v_pk_fma_f32 v[2:3], v[2:3], v[4:5], v[6:7] op_sel_hi:[1,0,1]
	v_pk_mul_f32 v[2:3], v[30:31], v[2:3] op_sel_hi:[0,1]
	v_mov_b32_e32 v4, v3
	v_mov_b32_e32 v5, v2
	ds_write_b64 v16, v[4:5] offset:8
	s_waitcnt lgkmcnt(0)
	ds_read_b64 v[4:5], v21 offset:8
	ds_read_b64 v[6:7], v9
	s_waitcnt lgkmcnt(0)
	v_pk_fma_f32 v[6:7], v[2:3], v[4:5], v[6:7] op_sel:[1,0,0] op_sel_hi:[0,0,1]
	v_pk_fma_f32 v[2:3], v[2:3], v[4:5], v[6:7] op_sel:[0,1,0] neg_hi:[0,1,0]
	ds_write_b64 v9, v[2:3]
	s_waitcnt lgkmcnt(0)
	ds_read_b64 v[4:5], v23 offset:160
	ds_read_b64 v[2:3], v16 offset:16
	s_waitcnt lgkmcnt(1)
	v_cmp_neq_f32_e32 vcc, 0, v4
	v_cmp_neq_f32_e64 s[2:3], 0, v5
	s_or_b64 vcc, vcc, s[2:3]
	s_or_b64 s[2:3], vcc, s[0:1]
	v_cndmask_b32_e32 v4, 1.0, v4, vcc
	s_xor_b64 s[24:25], s[2:3], -1
	v_cndmask_b32_e32 v6, 0, v5, vcc
	s_and_saveexec_b64 s[2:3], s[24:25]
	s_cbranch_execz .LBB47_56
; %bb.53:                               ;   in Loop: Header=BB47_22 Depth=1
	v_mbcnt_lo_u32_b32 v4, exec_lo, 0
	v_mbcnt_hi_u32_b32 v4, exec_hi, v4
	v_cmp_eq_u32_e32 vcc, 0, v4
	s_and_saveexec_b64 s[24:25], vcc
	s_cbranch_execz .LBB47_55
; %bb.54:                               ;   in Loop: Header=BB47_22 Depth=1
	v_mov_b32_e32 v4, s23
	global_atomic_smin v23, v4, s[14:15]
.LBB47_55:                              ;   in Loop: Header=BB47_22 Depth=1
	s_or_b64 exec, exec, s[24:25]
	v_mov_b32_e32 v4, 1.0
	v_mov_b32_e32 v6, 0
.LBB47_56:                              ;   in Loop: Header=BB47_22 Depth=1
	s_or_b64 exec, exec, s[2:3]
	v_mul_f32_e32 v5, v6, v6
	v_fmac_f32_e32 v5, v4, v4
	v_div_scale_f32 v7, s[2:3], v5, v5, 1.0
	v_rcp_f32_e32 v34, v7
	v_div_scale_f32 v35, vcc, 1.0, v5, 1.0
	v_fma_f32 v24, -v7, v34, 1.0
	v_fmac_f32_e32 v34, v24, v34
	v_mul_f32_e32 v36, v35, v34
	v_fma_f32 v24, -v7, v36, v35
	v_fmac_f32_e32 v36, v24, v34
	ds_read_b128 v[24:27], v23 offset:144
	ds_read2_b64 v[28:31], v16 offset1:1
	ds_read_b64 v[32:33], v19 offset:16
	v_fma_f32 v7, -v7, v36, v35
	v_div_fmas_f32 v7, v7, v34, v36
	v_div_fixup_f32 v34, v7, v5, 1.0
	s_waitcnt lgkmcnt(0)
	v_pk_fma_f32 v[32:33], v[24:25], v[28:29], v[32:33] op_sel_hi:[1,0,1]
	v_pk_fma_f32 v[24:25], v[24:25], v[28:29], v[32:33] op_sel:[0,1,1] op_sel_hi:[1,1,0] neg_lo:[0,1,0]
	v_mov_b32_e32 v28, v27
	v_mov_b32_e32 v29, v26
	v_pk_fma_f32 v[24:25], v[28:29], v[30:31], v[24:25] op_sel_hi:[1,0,1]
	v_mov_b32_e32 v28, v31
	v_pk_fma_f32 v[24:25], v[26:27], v[28:29], v[24:25] op_sel_hi:[1,0,1] neg_lo:[0,1,0]
	v_mov_b32_e32 v26, v3
	v_mov_b32_e32 v27, v2
	v_pk_add_f32 v[2:3], v[26:27], v[24:25] neg_lo:[0,1] neg_hi:[0,1]
	v_pk_mul_f32 v[6:7], v[6:7], v[2:3] op_sel:[0,1] op_sel_hi:[0,0] neg_lo:[0,1]
	v_pk_fma_f32 v[2:3], v[2:3], v[4:5], v[6:7] op_sel_hi:[1,0,1]
	v_pk_mul_f32 v[2:3], v[34:35], v[2:3] op_sel_hi:[0,1]
	v_mov_b32_e32 v4, v3
	v_mov_b32_e32 v5, v2
	ds_write_b64 v16, v[4:5] offset:16
	s_waitcnt lgkmcnt(0)
	ds_read_b64 v[4:5], v21 offset:16
	ds_read_b64 v[6:7], v9
	s_waitcnt lgkmcnt(0)
	v_pk_fma_f32 v[6:7], v[2:3], v[4:5], v[6:7] op_sel:[1,0,0] op_sel_hi:[0,0,1]
	v_pk_fma_f32 v[2:3], v[2:3], v[4:5], v[6:7] op_sel:[0,1,0] neg_hi:[0,1,0]
	ds_write_b64 v9, v[2:3]
	s_waitcnt lgkmcnt(0)
	ds_read_b64 v[4:5], v23 offset:240
	ds_read_b64 v[2:3], v16 offset:24
	s_waitcnt lgkmcnt(1)
	v_cmp_neq_f32_e32 vcc, 0, v4
	v_cmp_neq_f32_e64 s[2:3], 0, v5
	s_or_b64 vcc, vcc, s[2:3]
	s_or_b64 s[2:3], vcc, s[0:1]
	v_cndmask_b32_e32 v4, 1.0, v4, vcc
	s_xor_b64 s[24:25], s[2:3], -1
	v_cndmask_b32_e32 v6, 0, v5, vcc
	s_and_saveexec_b64 s[2:3], s[24:25]
	s_cbranch_execz .LBB47_60
; %bb.57:                               ;   in Loop: Header=BB47_22 Depth=1
	v_mbcnt_lo_u32_b32 v4, exec_lo, 0
	v_mbcnt_hi_u32_b32 v4, exec_hi, v4
	v_cmp_eq_u32_e32 vcc, 0, v4
	s_and_saveexec_b64 s[24:25], vcc
	s_cbranch_execz .LBB47_59
; %bb.58:                               ;   in Loop: Header=BB47_22 Depth=1
	v_mov_b32_e32 v4, s23
	global_atomic_smin v23, v4, s[14:15]
.LBB47_59:                              ;   in Loop: Header=BB47_22 Depth=1
	s_or_b64 exec, exec, s[24:25]
	v_mov_b32_e32 v4, 1.0
	v_mov_b32_e32 v6, 0
.LBB47_60:                              ;   in Loop: Header=BB47_22 Depth=1
	s_or_b64 exec, exec, s[2:3]
	v_mul_f32_e32 v5, v6, v6
	v_fmac_f32_e32 v5, v4, v4
	v_div_scale_f32 v7, s[2:3], v5, v5, 1.0
	v_rcp_f32_e32 v36, v7
	ds_read_b64 v[32:33], v16 offset:16
	ds_read2_b64 v[24:27], v16 offset1:1
	v_fma_f32 v28, -v7, v36, 1.0
	v_fmac_f32_e32 v36, v28, v36
	v_div_scale_f32 v28, vcc, 1.0, v5, 1.0
	v_mul_f32_e32 v37, v28, v36
	v_fma_f32 v29, -v7, v37, v28
	v_fmac_f32_e32 v37, v29, v36
	v_fma_f32 v7, -v7, v37, v28
	ds_read2_b64 v[28:31], v23 offset0:27 offset1:28
	ds_read_b64 v[34:35], v19 offset:24
	ds_read_b64 v[38:39], v23 offset:232
	v_div_fmas_f32 v7, v7, v36, v37
	v_div_fixup_f32 v36, v7, v5, 1.0
	s_waitcnt lgkmcnt(1)
	v_pk_fma_f32 v[34:35], v[28:29], v[24:25], v[34:35] op_sel_hi:[1,0,1]
	v_pk_fma_f32 v[24:25], v[28:29], v[24:25], v[34:35] op_sel:[0,1,1] op_sel_hi:[1,1,0] neg_lo:[0,1,0]
	v_mov_b32_e32 v28, v31
	v_mov_b32_e32 v29, v30
	v_pk_fma_f32 v[24:25], v[28:29], v[26:27], v[24:25] op_sel_hi:[1,0,1]
	v_mov_b32_e32 v26, v27
	v_pk_fma_f32 v[24:25], v[30:31], v[26:27], v[24:25] op_sel_hi:[1,0,1] neg_lo:[0,1,0]
	s_waitcnt lgkmcnt(0)
	v_pk_fma_f32 v[24:25], v[38:39], v[32:33], v[24:25] op_sel:[1,0,0] op_sel_hi:[0,0,1]
	v_pk_fma_f32 v[24:25], v[38:39], v[32:33], v[24:25] op_sel:[0,1,0] neg_lo:[0,1,0]
	v_mov_b32_e32 v26, v3
	v_mov_b32_e32 v27, v2
	v_pk_add_f32 v[2:3], v[26:27], v[24:25] neg_lo:[0,1] neg_hi:[0,1]
	v_pk_mul_f32 v[6:7], v[6:7], v[2:3] op_sel:[0,1] op_sel_hi:[0,0] neg_lo:[0,1]
	v_pk_fma_f32 v[2:3], v[2:3], v[4:5], v[6:7] op_sel_hi:[1,0,1]
	v_pk_mul_f32 v[2:3], v[36:37], v[2:3] op_sel_hi:[0,1]
	v_mov_b32_e32 v4, v3
	v_mov_b32_e32 v5, v2
	ds_write_b64 v16, v[4:5] offset:24
	s_waitcnt lgkmcnt(0)
	ds_read_b64 v[4:5], v21 offset:24
	ds_read_b64 v[6:7], v9
	s_waitcnt lgkmcnt(0)
	v_pk_fma_f32 v[6:7], v[2:3], v[4:5], v[6:7] op_sel:[1,0,0] op_sel_hi:[0,0,1]
	v_pk_fma_f32 v[2:3], v[2:3], v[4:5], v[6:7] op_sel:[0,1,0] neg_hi:[0,1,0]
	ds_write_b64 v9, v[2:3]
	s_waitcnt lgkmcnt(0)
	ds_read_b64 v[4:5], v23 offset:320
	ds_read_b64 v[2:3], v16 offset:32
	s_waitcnt lgkmcnt(1)
	v_cmp_neq_f32_e32 vcc, 0, v4
	v_cmp_neq_f32_e64 s[2:3], 0, v5
	s_or_b64 vcc, vcc, s[2:3]
	s_or_b64 s[2:3], vcc, s[0:1]
	v_cndmask_b32_e32 v4, 1.0, v4, vcc
	s_xor_b64 s[24:25], s[2:3], -1
	v_cndmask_b32_e32 v6, 0, v5, vcc
	s_and_saveexec_b64 s[2:3], s[24:25]
	s_cbranch_execz .LBB47_64
; %bb.61:                               ;   in Loop: Header=BB47_22 Depth=1
	v_mbcnt_lo_u32_b32 v4, exec_lo, 0
	v_mbcnt_hi_u32_b32 v4, exec_hi, v4
	v_cmp_eq_u32_e32 vcc, 0, v4
	s_and_saveexec_b64 s[24:25], vcc
	s_cbranch_execz .LBB47_63
; %bb.62:                               ;   in Loop: Header=BB47_22 Depth=1
	v_mov_b32_e32 v4, s23
	global_atomic_smin v23, v4, s[14:15]
.LBB47_63:                              ;   in Loop: Header=BB47_22 Depth=1
	s_or_b64 exec, exec, s[24:25]
	v_mov_b32_e32 v4, 1.0
	v_mov_b32_e32 v6, 0
.LBB47_64:                              ;   in Loop: Header=BB47_22 Depth=1
	s_or_b64 exec, exec, s[2:3]
	ds_read2_b64 v[24:27], v16 offset1:1
	ds_read_b128 v[28:31], v23 offset:288
	ds_read_b64 v[40:41], v19 offset:32
	v_mul_f32_e32 v5, v6, v6
	v_fmac_f32_e32 v5, v4, v4
	v_div_scale_f32 v7, s[2:3], v5, v5, 1.0
	v_rcp_f32_e32 v42, v7
	ds_read2_b64 v[32:35], v16 offset0:2 offset1:3
	ds_read_b128 v[36:39], v23 offset:304
	s_waitcnt lgkmcnt(2)
	v_pk_fma_f32 v[40:41], v[28:29], v[24:25], v[40:41] op_sel_hi:[1,0,1]
	v_pk_fma_f32 v[24:25], v[28:29], v[24:25], v[40:41] op_sel:[0,1,1] op_sel_hi:[1,1,0] neg_lo:[0,1,0]
	v_mov_b32_e32 v28, v31
	v_mov_b32_e32 v29, v30
	v_fma_f32 v43, -v7, v42, 1.0
	v_pk_fma_f32 v[24:25], v[28:29], v[26:27], v[24:25] op_sel_hi:[1,0,1]
	v_mov_b32_e32 v26, v27
	v_fmac_f32_e32 v42, v43, v42
	v_div_scale_f32 v43, vcc, 1.0, v5, 1.0
	v_pk_fma_f32 v[24:25], v[30:31], v[26:27], v[24:25] op_sel_hi:[1,0,1] neg_lo:[0,1,0]
	v_mul_f32_e32 v44, v43, v42
	s_waitcnt lgkmcnt(0)
	v_pk_fma_f32 v[24:25], v[36:37], v[32:33], v[24:25] op_sel:[1,0,0] op_sel_hi:[0,0,1]
	v_fma_f32 v45, -v7, v44, v43
	v_pk_fma_f32 v[24:25], v[36:37], v[32:33], v[24:25] op_sel:[0,1,0] neg_lo:[0,1,0]
	v_mov_b32_e32 v26, v39
	v_mov_b32_e32 v27, v38
	v_fmac_f32_e32 v44, v45, v42
	v_pk_fma_f32 v[24:25], v[26:27], v[34:35], v[24:25] op_sel_hi:[1,0,1]
	v_mov_b32_e32 v26, v35
	v_fma_f32 v7, -v7, v44, v43
	v_pk_fma_f32 v[24:25], v[38:39], v[26:27], v[24:25] op_sel_hi:[1,0,1] neg_lo:[0,1,0]
	v_mov_b32_e32 v26, v3
	v_mov_b32_e32 v27, v2
	v_div_fmas_f32 v7, v7, v42, v44
	v_pk_add_f32 v[2:3], v[26:27], v[24:25] neg_lo:[0,1] neg_hi:[0,1]
	v_div_fixup_f32 v42, v7, v5, 1.0
	v_pk_mul_f32 v[6:7], v[6:7], v[2:3] op_sel:[0,1] op_sel_hi:[0,0] neg_lo:[0,1]
	v_pk_fma_f32 v[2:3], v[2:3], v[4:5], v[6:7] op_sel_hi:[1,0,1]
	v_pk_mul_f32 v[2:3], v[42:43], v[2:3] op_sel_hi:[0,1]
	v_mov_b32_e32 v4, v3
	v_mov_b32_e32 v5, v2
	ds_write_b64 v16, v[4:5] offset:32
	s_waitcnt lgkmcnt(0)
	ds_read_b64 v[4:5], v21 offset:32
	ds_read_b64 v[6:7], v9
	s_waitcnt lgkmcnt(0)
	v_pk_fma_f32 v[6:7], v[2:3], v[4:5], v[6:7] op_sel:[1,0,0] op_sel_hi:[0,0,1]
	v_pk_fma_f32 v[2:3], v[2:3], v[4:5], v[6:7] op_sel:[0,1,0] neg_hi:[0,1,0]
	ds_write_b64 v9, v[2:3]
	s_waitcnt lgkmcnt(0)
	ds_read_b64 v[4:5], v23 offset:400
	ds_read_b64 v[2:3], v16 offset:40
	s_waitcnt lgkmcnt(1)
	v_cmp_neq_f32_e32 vcc, 0, v4
	v_cmp_neq_f32_e64 s[2:3], 0, v5
	s_or_b64 vcc, vcc, s[2:3]
	s_or_b64 s[2:3], vcc, s[0:1]
	v_cndmask_b32_e32 v4, 1.0, v4, vcc
	s_xor_b64 s[24:25], s[2:3], -1
	v_cndmask_b32_e32 v6, 0, v5, vcc
	s_and_saveexec_b64 s[2:3], s[24:25]
	s_cbranch_execz .LBB47_68
; %bb.65:                               ;   in Loop: Header=BB47_22 Depth=1
	v_mbcnt_lo_u32_b32 v4, exec_lo, 0
	v_mbcnt_hi_u32_b32 v4, exec_hi, v4
	v_cmp_eq_u32_e32 vcc, 0, v4
	s_and_saveexec_b64 s[24:25], vcc
	s_cbranch_execz .LBB47_67
; %bb.66:                               ;   in Loop: Header=BB47_22 Depth=1
	v_mov_b32_e32 v4, s23
	global_atomic_smin v23, v4, s[14:15]
.LBB47_67:                              ;   in Loop: Header=BB47_22 Depth=1
	s_or_b64 exec, exec, s[24:25]
	v_mov_b32_e32 v4, 1.0
	v_mov_b32_e32 v6, 0
.LBB47_68:                              ;   in Loop: Header=BB47_22 Depth=1
	s_or_b64 exec, exec, s[2:3]
	ds_read2_b64 v[24:27], v16 offset0:2 offset1:3
	ds_read2_b64 v[28:31], v16 offset1:1
	ds_read_b64 v[40:41], v16 offset:32
	ds_read_b64 v[42:43], v19 offset:40
	v_mul_f32_e32 v5, v6, v6
	ds_read2_b64 v[32:35], v23 offset0:45 offset1:46
	ds_read2_b64 v[36:39], v23 offset0:47 offset1:48
	v_fmac_f32_e32 v5, v4, v4
	v_div_scale_f32 v7, s[2:3], v5, v5, 1.0
	v_rcp_f32_e32 v44, v7
	s_waitcnt lgkmcnt(1)
	v_pk_fma_f32 v[42:43], v[32:33], v[28:29], v[42:43] op_sel_hi:[1,0,1]
	v_pk_fma_f32 v[28:29], v[32:33], v[28:29], v[42:43] op_sel:[1,1,0] op_sel_hi:[0,1,1] neg_hi:[0,1,0]
	v_pk_fma_f32 v[28:29], v[34:35], v[30:31], v[28:29] op_sel_hi:[1,0,1]
	v_fma_f32 v30, -v7, v44, 1.0
	v_fmac_f32_e32 v44, v30, v44
	v_div_scale_f32 v30, vcc, 1.0, v5, 1.0
	v_mul_f32_e32 v32, v30, v44
	v_fma_f32 v33, -v7, v32, v30
	v_fmac_f32_e32 v32, v33, v44
	v_fma_f32 v7, -v7, v32, v30
	v_mov_b32_e32 v42, v31
	v_div_fmas_f32 v7, v7, v44, v32
	ds_read_b64 v[32:33], v23 offset:392
	v_pk_fma_f32 v[28:29], v[34:35], v[42:43], v[28:29] op_sel:[0,0,1] op_sel_hi:[1,0,0] neg_lo:[0,1,0]
	s_waitcnt lgkmcnt(1)
	v_pk_fma_f32 v[28:29], v[36:37], v[24:25], v[28:29] op_sel:[1,0,0] op_sel_hi:[0,0,1]
	v_pk_fma_f32 v[24:25], v[36:37], v[24:25], v[28:29] op_sel:[0,1,0] neg_lo:[0,1,0]
	v_mov_b32_e32 v28, v39
	v_mov_b32_e32 v29, v38
	v_pk_fma_f32 v[24:25], v[28:29], v[26:27], v[24:25] op_sel_hi:[1,0,1]
	v_mov_b32_e32 v26, v27
	v_pk_fma_f32 v[24:25], v[38:39], v[26:27], v[24:25] op_sel_hi:[1,0,1] neg_lo:[0,1,0]
	s_waitcnt lgkmcnt(0)
	v_pk_fma_f32 v[24:25], v[32:33], v[40:41], v[24:25] op_sel:[1,0,0] op_sel_hi:[0,0,1]
	v_pk_fma_f32 v[24:25], v[32:33], v[40:41], v[24:25] op_sel:[0,1,0] neg_lo:[0,1,0]
	v_mov_b32_e32 v26, v3
	v_mov_b32_e32 v27, v2
	v_pk_add_f32 v[2:3], v[26:27], v[24:25] neg_lo:[0,1] neg_hi:[0,1]
	v_div_fixup_f32 v30, v7, v5, 1.0
	v_pk_mul_f32 v[6:7], v[6:7], v[2:3] op_sel:[0,1] op_sel_hi:[0,0] neg_lo:[0,1]
	v_pk_fma_f32 v[2:3], v[2:3], v[4:5], v[6:7] op_sel_hi:[1,0,1]
	v_pk_mul_f32 v[2:3], v[30:31], v[2:3] op_sel_hi:[0,1]
	v_mov_b32_e32 v4, v3
	v_mov_b32_e32 v5, v2
	ds_write_b64 v16, v[4:5] offset:40
	s_waitcnt lgkmcnt(0)
	ds_read_b64 v[4:5], v21 offset:40
	ds_read_b64 v[6:7], v9
	s_waitcnt lgkmcnt(0)
	v_pk_fma_f32 v[6:7], v[2:3], v[4:5], v[6:7] op_sel:[1,0,0] op_sel_hi:[0,0,1]
	v_pk_fma_f32 v[2:3], v[2:3], v[4:5], v[6:7] op_sel:[0,1,0] neg_hi:[0,1,0]
	ds_write_b64 v9, v[2:3]
	s_waitcnt lgkmcnt(0)
	ds_read_b64 v[4:5], v23 offset:480
	ds_read_b64 v[2:3], v16 offset:48
	s_waitcnt lgkmcnt(1)
	v_cmp_neq_f32_e32 vcc, 0, v4
	v_cmp_neq_f32_e64 s[2:3], 0, v5
	s_or_b64 vcc, vcc, s[2:3]
	s_or_b64 s[2:3], vcc, s[0:1]
	v_cndmask_b32_e32 v4, 1.0, v4, vcc
	s_xor_b64 s[24:25], s[2:3], -1
	v_cndmask_b32_e32 v6, 0, v5, vcc
	s_and_saveexec_b64 s[2:3], s[24:25]
	s_cbranch_execz .LBB47_72
; %bb.69:                               ;   in Loop: Header=BB47_22 Depth=1
	v_mbcnt_lo_u32_b32 v4, exec_lo, 0
	v_mbcnt_hi_u32_b32 v4, exec_hi, v4
	v_cmp_eq_u32_e32 vcc, 0, v4
	s_and_saveexec_b64 s[24:25], vcc
	s_cbranch_execz .LBB47_71
; %bb.70:                               ;   in Loop: Header=BB47_22 Depth=1
	v_mov_b32_e32 v4, s23
	global_atomic_smin v23, v4, s[14:15]
.LBB47_71:                              ;   in Loop: Header=BB47_22 Depth=1
	s_or_b64 exec, exec, s[24:25]
	v_mov_b32_e32 v4, 1.0
	v_mov_b32_e32 v6, 0
.LBB47_72:                              ;   in Loop: Header=BB47_22 Depth=1
	s_or_b64 exec, exec, s[2:3]
	ds_read2_b64 v[24:27], v16 offset0:2 offset1:3
	ds_read2_b64 v[28:31], v16 offset1:1
	ds_read_b128 v[32:35], v23 offset:432
	ds_read2_b64 v[36:39], v16 offset0:4 offset1:5
	ds_read_b64 v[48:49], v19 offset:48
	ds_read_b128 v[40:43], v23 offset:448
	ds_read_b128 v[44:47], v23 offset:464
	v_mul_f32_e32 v5, v6, v6
	v_fmac_f32_e32 v5, v4, v4
	s_waitcnt lgkmcnt(2)
	v_pk_fma_f32 v[48:49], v[32:33], v[28:29], v[48:49] op_sel_hi:[1,0,1]
	v_pk_fma_f32 v[28:29], v[32:33], v[28:29], v[48:49] op_sel:[1,1,0] op_sel_hi:[0,1,1] neg_hi:[0,1,0]
	v_div_scale_f32 v7, s[2:3], v5, v5, 1.0
	v_mov_b32_e32 v50, v35
	v_mov_b32_e32 v51, v34
	v_pk_fma_f32 v[28:29], v[34:35], v[30:31], v[28:29] op_sel_hi:[1,0,1]
	v_rcp_f32_e32 v32, v7
	v_mov_b32_e32 v30, v31
	v_pk_fma_f32 v[28:29], v[50:51], v[30:31], v[28:29] op_sel_hi:[1,0,1] neg_hi:[0,1,0]
	s_waitcnt lgkmcnt(1)
	v_pk_fma_f32 v[28:29], v[40:41], v[24:25], v[28:29] op_sel_hi:[1,0,1]
	v_pk_fma_f32 v[24:25], v[40:41], v[24:25], v[28:29] op_sel:[0,1,1] op_sel_hi:[1,1,0] neg_lo:[0,1,0]
	v_mov_b32_e32 v28, v43
	v_mov_b32_e32 v29, v42
	v_fma_f32 v30, -v7, v32, 1.0
	v_pk_fma_f32 v[24:25], v[28:29], v[26:27], v[24:25] op_sel_hi:[1,0,1]
	v_mov_b32_e32 v26, v27
	v_fmac_f32_e32 v32, v30, v32
	v_div_scale_f32 v30, vcc, 1.0, v5, 1.0
	v_pk_fma_f32 v[24:25], v[42:43], v[26:27], v[24:25] op_sel_hi:[1,0,1] neg_lo:[0,1,0]
	v_mul_f32_e32 v31, v30, v32
	s_waitcnt lgkmcnt(0)
	v_pk_fma_f32 v[24:25], v[44:45], v[36:37], v[24:25] op_sel:[1,0,0] op_sel_hi:[0,0,1]
	v_fma_f32 v33, -v7, v31, v30
	v_pk_fma_f32 v[24:25], v[44:45], v[36:37], v[24:25] op_sel:[0,1,0] neg_lo:[0,1,0]
	v_mov_b32_e32 v26, v47
	v_mov_b32_e32 v27, v46
	v_fmac_f32_e32 v31, v33, v32
	v_pk_fma_f32 v[24:25], v[26:27], v[38:39], v[24:25] op_sel_hi:[1,0,1]
	v_mov_b32_e32 v26, v39
	v_fma_f32 v7, -v7, v31, v30
	v_pk_fma_f32 v[24:25], v[46:47], v[26:27], v[24:25] op_sel_hi:[1,0,1] neg_lo:[0,1,0]
	v_mov_b32_e32 v26, v3
	v_mov_b32_e32 v27, v2
	v_div_fmas_f32 v7, v7, v32, v31
	v_pk_add_f32 v[2:3], v[26:27], v[24:25] neg_lo:[0,1] neg_hi:[0,1]
	v_div_fixup_f32 v30, v7, v5, 1.0
	v_pk_mul_f32 v[6:7], v[6:7], v[2:3] op_sel:[0,1] op_sel_hi:[0,0] neg_lo:[0,1]
	v_pk_fma_f32 v[2:3], v[2:3], v[4:5], v[6:7] op_sel_hi:[1,0,1]
	v_pk_mul_f32 v[2:3], v[30:31], v[2:3] op_sel_hi:[0,1]
	v_mov_b32_e32 v4, v3
	v_mov_b32_e32 v5, v2
	ds_write_b64 v16, v[4:5] offset:48
	s_waitcnt lgkmcnt(0)
	ds_read_b64 v[4:5], v21 offset:48
	ds_read_b64 v[6:7], v9
	s_waitcnt lgkmcnt(0)
	v_pk_fma_f32 v[6:7], v[2:3], v[4:5], v[6:7] op_sel:[1,0,0] op_sel_hi:[0,0,1]
	v_pk_fma_f32 v[2:3], v[2:3], v[4:5], v[6:7] op_sel:[0,1,0] neg_hi:[0,1,0]
	ds_write_b64 v9, v[2:3]
	s_waitcnt lgkmcnt(0)
	ds_read_b64 v[4:5], v23 offset:560
	ds_read_b64 v[2:3], v16 offset:56
	s_waitcnt lgkmcnt(1)
	v_cmp_neq_f32_e32 vcc, 0, v4
	v_cmp_neq_f32_e64 s[2:3], 0, v5
	s_or_b64 vcc, vcc, s[2:3]
	s_or_b64 s[2:3], vcc, s[0:1]
	v_cndmask_b32_e32 v4, 1.0, v4, vcc
	s_xor_b64 s[24:25], s[2:3], -1
	v_cndmask_b32_e32 v6, 0, v5, vcc
	s_and_saveexec_b64 s[2:3], s[24:25]
	s_cbranch_execz .LBB47_20
; %bb.73:                               ;   in Loop: Header=BB47_22 Depth=1
	v_mbcnt_lo_u32_b32 v4, exec_lo, 0
	v_mbcnt_hi_u32_b32 v4, exec_hi, v4
	v_cmp_eq_u32_e32 vcc, 0, v4
	s_and_saveexec_b64 s[24:25], vcc
	s_cbranch_execz .LBB47_19
; %bb.74:                               ;   in Loop: Header=BB47_22 Depth=1
	v_mov_b32_e32 v4, s23
	global_atomic_smin v23, v4, s[14:15]
	s_branch .LBB47_19
.LBB47_75:
	s_waitcnt lgkmcnt(0)
	s_cmp_eq_u32 s33, 0
	s_cselect_b64 vcc, -1, 0
	v_cndmask_b32_e32 v0, v11, v14, vcc
	v_lshl_add_u32 v0, s30, 6, v0
	v_ashrrev_i32_e32 v1, 31, v0
	v_lshlrev_b64 v[0:1], 3, v[0:1]
	v_mov_b32_e32 v2, s21
	v_add_co_u32_e32 v0, vcc, s20, v0
	v_addc_co_u32_e32 v1, vcc, v2, v1, vcc
	global_load_dwordx2 v[4:5], v[0:1], off
	s_movk_i32 s0, 0x48
	v_cmp_ne_u32_e64 s[2:3], 0, v13
	v_mad_u32_u24 v2, v13, s0, v10
	v_cmp_eq_u32_e32 vcc, 0, v13
	s_waitcnt vmcnt(0)
	ds_write_b64 v2, v[4:5] offset:1152
	s_waitcnt lgkmcnt(0)
	s_and_saveexec_b64 s[4:5], vcc
	s_cbranch_execz .LBB47_83
; %bb.76:
	v_mov_b32_e32 v5, 0
	ds_read2_b64 v[14:17], v5 offset0:144 offset1:216
	s_waitcnt lgkmcnt(0)
	v_sub_f32_e32 v3, v14, v16
	v_sub_f32_e32 v6, v15, v17
	v_cmp_gt_f32_e32 vcc, 0, v3
	v_cndmask_b32_e64 v3, v3, -v3, vcc
	v_cmp_gt_f32_e32 vcc, 0, v6
	v_cndmask_b32_e64 v4, v6, -v6, vcc
	v_cmp_ngt_f32_e32 vcc, v3, v4
	s_cbranch_vccz .LBB47_80
; %bb.77:
	v_cmp_eq_f32_e32 vcc, 0, v6
	s_cbranch_vccnz .LBB47_79
; %bb.78:
	v_div_scale_f32 v5, s[0:1], v4, v4, v3
	v_rcp_f32_e32 v6, v5
	v_div_scale_f32 v7, vcc, v3, v4, v3
	s_mov_b32 s0, 0xf800000
	v_fma_f32 v10, -v5, v6, 1.0
	v_fmac_f32_e32 v6, v10, v6
	v_mul_f32_e32 v10, v7, v6
	v_fma_f32 v11, -v5, v10, v7
	v_fmac_f32_e32 v10, v11, v6
	v_fma_f32 v5, -v5, v10, v7
	v_div_fmas_f32 v5, v5, v6, v10
	v_div_fixup_f32 v5, v5, v4, v3
	v_fma_f32 v5, v5, v5, 1.0
	v_mul_f32_e32 v6, 0x4f800000, v5
	v_cmp_gt_f32_e32 vcc, s0, v5
	v_cndmask_b32_e32 v5, v5, v6, vcc
	v_sqrt_f32_e32 v6, v5
	v_add_u32_e32 v7, -1, v6
	v_fma_f32 v10, -v7, v6, v5
	v_cmp_ge_f32_e64 s[0:1], 0, v10
	v_add_u32_e32 v10, 1, v6
	v_cndmask_b32_e64 v7, v6, v7, s[0:1]
	v_fma_f32 v6, -v10, v6, v5
	v_cmp_lt_f32_e64 s[0:1], 0, v6
	v_cndmask_b32_e64 v6, v7, v10, s[0:1]
	v_mul_f32_e32 v7, 0x37800000, v6
	v_cndmask_b32_e32 v6, v6, v7, vcc
	v_mov_b32_e32 v7, 0x260
	v_cmp_class_f32_e32 vcc, v5, v7
	v_cndmask_b32_e32 v5, v6, v5, vcc
	v_mul_f32_e32 v5, v4, v5
.LBB47_79:
	s_cbranch_execz .LBB47_81
	s_branch .LBB47_82
.LBB47_80:
                                        ; implicit-def: $vgpr5
.LBB47_81:
	v_div_scale_f32 v5, s[0:1], v3, v3, v4
	v_rcp_f32_e32 v6, v5
	v_div_scale_f32 v7, vcc, v4, v3, v4
	s_mov_b32 s0, 0xf800000
	v_fma_f32 v10, -v5, v6, 1.0
	v_fmac_f32_e32 v6, v10, v6
	v_mul_f32_e32 v10, v7, v6
	v_fma_f32 v11, -v5, v10, v7
	v_fmac_f32_e32 v10, v11, v6
	v_fma_f32 v5, -v5, v10, v7
	v_div_fmas_f32 v5, v5, v6, v10
	v_div_fixup_f32 v4, v5, v3, v4
	v_fma_f32 v4, v4, v4, 1.0
	v_mul_f32_e32 v5, 0x4f800000, v4
	v_cmp_gt_f32_e32 vcc, s0, v4
	v_cndmask_b32_e32 v4, v4, v5, vcc
	v_sqrt_f32_e32 v5, v4
	v_add_u32_e32 v6, -1, v5
	v_fma_f32 v7, -v6, v5, v4
	v_cmp_ge_f32_e64 s[0:1], 0, v7
	v_add_u32_e32 v7, 1, v5
	v_cndmask_b32_e64 v6, v5, v6, s[0:1]
	v_fma_f32 v5, -v7, v5, v4
	v_cmp_lt_f32_e64 s[0:1], 0, v5
	v_cndmask_b32_e64 v5, v6, v7, s[0:1]
	v_mul_f32_e32 v6, 0x37800000, v5
	v_cndmask_b32_e32 v5, v5, v6, vcc
	v_mov_b32_e32 v6, 0x260
	v_cmp_class_f32_e32 vcc, v4, v6
	v_cndmask_b32_e32 v4, v5, v4, vcc
	v_mul_f32_e32 v5, v3, v4
.LBB47_82:
	s_mov_b32 s0, 0xf800000
	v_mul_f32_e32 v3, 0x4f800000, v5
	v_cmp_gt_f32_e32 vcc, s0, v5
	v_cndmask_b32_e32 v3, v5, v3, vcc
	v_sqrt_f32_e32 v4, v3
	v_add_u32_e32 v5, -1, v4
	v_fma_f32 v6, -v5, v4, v3
	v_cmp_ge_f32_e64 s[0:1], 0, v6
	v_add_u32_e32 v6, 1, v4
	v_cndmask_b32_e64 v5, v4, v5, s[0:1]
	v_fma_f32 v4, -v6, v4, v3
	v_cmp_lt_f32_e64 s[0:1], 0, v4
	v_cndmask_b32_e64 v4, v5, v6, s[0:1]
	v_mul_f32_e32 v5, 0x37800000, v4
	v_cndmask_b32_e32 v4, v4, v5, vcc
	v_mov_b32_e32 v5, 0x260
	v_cmp_class_f32_e32 vcc, v3, v5
	v_cndmask_b32_e32 v4, v4, v3, vcc
	v_mov_b32_e32 v5, 0
	ds_write_b64 v5, v[4:5] offset:1152
.LBB47_83:
	s_or_b64 exec, exec, s[4:5]
	v_add_u32_e32 v3, 0x480, v2
	v_mov_b32_e32 v2, 0
	s_waitcnt lgkmcnt(0)
	ds_read_b64 v[4:5], v2 offset:1152
	v_cmp_ne_u32_e64 s[0:1], 0, v8
	s_add_i32 s16, s12, s13
	s_waitcnt lgkmcnt(0)
	v_cmp_neq_f32_e32 vcc, 0, v4
	v_cmp_neq_f32_e64 s[4:5], 0, v5
	s_or_b64 vcc, vcc, s[4:5]
	s_or_b64 s[4:5], vcc, s[0:1]
	v_cndmask_b32_e32 v2, 1.0, v4, vcc
	s_xor_b64 s[8:9], s[4:5], -1
	v_cndmask_b32_e32 v4, 0, v5, vcc
	s_and_saveexec_b64 s[4:5], s[8:9]
	s_cbranch_execz .LBB47_87
; %bb.84:
	v_mbcnt_lo_u32_b32 v2, exec_lo, 0
	v_mbcnt_hi_u32_b32 v2, exec_hi, v2
	v_cmp_eq_u32_e32 vcc, 0, v2
	s_and_saveexec_b64 s[8:9], vcc
	s_cbranch_execz .LBB47_86
; %bb.85:
	v_mov_b32_e32 v2, 0
	v_mov_b32_e32 v4, s16
	global_atomic_smin v2, v4, s[14:15]
.LBB47_86:
	s_or_b64 exec, exec, s[8:9]
	v_mov_b32_e32 v2, 1.0
	v_mov_b32_e32 v4, 0
.LBB47_87:
	s_or_b64 exec, exec, s[4:5]
	s_and_saveexec_b64 s[4:5], s[2:3]
	s_cbranch_execz .LBB47_89
; %bb.88:
	v_mul_f32_e32 v5, v4, v4
	v_fmac_f32_e32 v5, v2, v2
	v_div_scale_f32 v6, s[2:3], v5, v5, 1.0
	v_rcp_f32_e32 v7, v6
	v_mul_u32_u24_e32 v18, 0x48, v13
	ds_read2_b64 v[14:17], v18 offset0:144 offset1:216
	v_fma_f32 v10, -v6, v7, 1.0
	v_fmac_f32_e32 v7, v10, v7
	v_div_scale_f32 v10, vcc, 1.0, v5, 1.0
	v_mul_f32_e32 v11, v10, v7
	v_fma_f32 v19, -v6, v11, v10
	v_fmac_f32_e32 v11, v19, v7
	v_fma_f32 v6, -v6, v11, v10
	v_div_fmas_f32 v6, v6, v7, v11
	s_waitcnt lgkmcnt(0)
	v_pk_add_f32 v[10:11], v[14:15], v[16:17] op_sel:[1,1] op_sel_hi:[0,0] neg_lo:[0,1] neg_hi:[0,1]
	v_div_fixup_f32 v6, v6, v5, 1.0
	v_pk_mul_f32 v[4:5], v[4:5], v[10:11] op_sel:[0,1] op_sel_hi:[0,0] neg_lo:[0,1]
	v_pk_fma_f32 v[4:5], v[10:11], v[2:3], v[4:5] op_sel_hi:[1,0,1]
	v_pk_mul_f32 v[4:5], v[6:7], v[4:5] op_sel_hi:[0,1]
	v_mul_u32_u24_e32 v19, 0x48, v12
	v_mov_b32_e32 v6, v5
	v_mov_b32_e32 v7, v4
	ds_write_b64 v18, v[6:7] offset:1152
	s_waitcnt lgkmcnt(0)
	ds_read_b64 v[6:7], v19 offset:1152
	ds_read_b64 v[10:11], v9
	s_waitcnt lgkmcnt(0)
	v_pk_fma_f32 v[10:11], v[4:5], v[6:7], v[10:11] op_sel:[1,0,0] op_sel_hi:[0,0,1]
	v_pk_fma_f32 v[4:5], v[4:5], v[6:7], v[10:11] op_sel:[0,1,0] neg_hi:[0,1,0]
	ds_write_b64 v9, v[4:5]
.LBB47_89:
	s_or_b64 exec, exec, s[4:5]
	v_cmp_eq_u32_e32 vcc, 1, v13
	s_waitcnt lgkmcnt(0)
	s_and_saveexec_b64 s[4:5], vcc
	s_cbranch_execz .LBB47_97
; %bb.90:
	v_mov_b32_e32 v5, 0
	ds_read2_b64 v[14:17], v5 offset0:154 offset1:226
	s_waitcnt lgkmcnt(0)
	v_sub_f32_e32 v2, v14, v16
	v_sub_f32_e32 v6, v15, v17
	v_cmp_gt_f32_e32 vcc, 0, v2
	v_cndmask_b32_e64 v2, v2, -v2, vcc
	v_cmp_gt_f32_e32 vcc, 0, v6
	v_cndmask_b32_e64 v4, v6, -v6, vcc
	v_cmp_gt_f32_e32 vcc, v2, v4
	s_cbranch_vccnz .LBB47_94
; %bb.91:
	v_cmp_eq_f32_e32 vcc, 0, v6
	s_cbranch_vccnz .LBB47_93
; %bb.92:
	v_div_scale_f32 v5, s[2:3], v4, v4, v2
	v_rcp_f32_e32 v6, v5
	v_div_scale_f32 v7, vcc, v2, v4, v2
	s_mov_b32 s2, 0xf800000
	v_fma_f32 v10, -v5, v6, 1.0
	v_fmac_f32_e32 v6, v10, v6
	v_mul_f32_e32 v10, v7, v6
	v_fma_f32 v11, -v5, v10, v7
	v_fmac_f32_e32 v10, v11, v6
	v_fma_f32 v5, -v5, v10, v7
	v_div_fmas_f32 v5, v5, v6, v10
	v_div_fixup_f32 v5, v5, v4, v2
	v_fma_f32 v5, v5, v5, 1.0
	v_mul_f32_e32 v6, 0x4f800000, v5
	v_cmp_gt_f32_e32 vcc, s2, v5
	v_cndmask_b32_e32 v5, v5, v6, vcc
	v_sqrt_f32_e32 v6, v5
	v_add_u32_e32 v7, -1, v6
	v_fma_f32 v10, -v7, v6, v5
	v_cmp_ge_f32_e64 s[2:3], 0, v10
	v_add_u32_e32 v10, 1, v6
	v_cndmask_b32_e64 v7, v6, v7, s[2:3]
	v_fma_f32 v6, -v10, v6, v5
	v_cmp_lt_f32_e64 s[2:3], 0, v6
	v_cndmask_b32_e64 v6, v7, v10, s[2:3]
	v_mul_f32_e32 v7, 0x37800000, v6
	v_cndmask_b32_e32 v6, v6, v7, vcc
	v_mov_b32_e32 v7, 0x260
	v_cmp_class_f32_e32 vcc, v5, v7
	v_cndmask_b32_e32 v5, v6, v5, vcc
	v_mul_f32_e32 v5, v4, v5
.LBB47_93:
	s_cbranch_execz .LBB47_95
	s_branch .LBB47_96
.LBB47_94:
                                        ; implicit-def: $vgpr5
.LBB47_95:
	v_div_scale_f32 v5, s[2:3], v2, v2, v4
	v_rcp_f32_e32 v6, v5
	v_div_scale_f32 v7, vcc, v4, v2, v4
	s_mov_b32 s2, 0xf800000
	v_fma_f32 v10, -v5, v6, 1.0
	v_fmac_f32_e32 v6, v10, v6
	v_mul_f32_e32 v10, v7, v6
	v_fma_f32 v11, -v5, v10, v7
	v_fmac_f32_e32 v10, v11, v6
	v_fma_f32 v5, -v5, v10, v7
	v_div_fmas_f32 v5, v5, v6, v10
	v_div_fixup_f32 v4, v5, v2, v4
	v_fma_f32 v4, v4, v4, 1.0
	v_mul_f32_e32 v5, 0x4f800000, v4
	v_cmp_gt_f32_e32 vcc, s2, v4
	v_cndmask_b32_e32 v4, v4, v5, vcc
	v_sqrt_f32_e32 v5, v4
	v_add_u32_e32 v6, -1, v5
	v_fma_f32 v7, -v6, v5, v4
	v_cmp_ge_f32_e64 s[2:3], 0, v7
	v_add_u32_e32 v7, 1, v5
	v_cndmask_b32_e64 v6, v5, v6, s[2:3]
	v_fma_f32 v5, -v7, v5, v4
	v_cmp_lt_f32_e64 s[2:3], 0, v5
	v_cndmask_b32_e64 v5, v6, v7, s[2:3]
	v_mul_f32_e32 v6, 0x37800000, v5
	v_cndmask_b32_e32 v5, v5, v6, vcc
	v_mov_b32_e32 v6, 0x260
	v_cmp_class_f32_e32 vcc, v4, v6
	v_cndmask_b32_e32 v4, v5, v4, vcc
	v_mul_f32_e32 v5, v2, v4
.LBB47_96:
	s_mov_b32 s2, 0xf800000
	v_mul_f32_e32 v2, 0x4f800000, v5
	v_cmp_gt_f32_e32 vcc, s2, v5
	v_cndmask_b32_e32 v2, v5, v2, vcc
	v_sqrt_f32_e32 v4, v2
	v_add_u32_e32 v5, -1, v4
	v_fma_f32 v6, -v5, v4, v2
	v_cmp_ge_f32_e64 s[2:3], 0, v6
	v_add_u32_e32 v6, 1, v4
	v_cndmask_b32_e64 v5, v4, v5, s[2:3]
	v_fma_f32 v4, -v6, v4, v2
	v_cmp_lt_f32_e64 s[2:3], 0, v4
	v_cndmask_b32_e64 v4, v5, v6, s[2:3]
	v_mul_f32_e32 v5, 0x37800000, v4
	v_cndmask_b32_e32 v4, v4, v5, vcc
	v_mov_b32_e32 v5, 0x260
	v_cmp_class_f32_e32 vcc, v2, v5
	v_cndmask_b32_e32 v4, v4, v2, vcc
	v_mov_b32_e32 v5, 0
	ds_write_b64 v5, v[4:5] offset:1232
.LBB47_97:
	s_or_b64 exec, exec, s[4:5]
	v_mov_b32_e32 v2, 0
	s_waitcnt lgkmcnt(0)
	ds_read_b64 v[4:5], v2 offset:1232
	s_waitcnt lgkmcnt(0)
	v_cmp_neq_f32_e32 vcc, 0, v4
	v_cmp_neq_f32_e64 s[2:3], 0, v5
	s_or_b64 vcc, vcc, s[2:3]
	s_or_b64 s[2:3], vcc, s[0:1]
	v_cndmask_b32_e32 v2, 1.0, v4, vcc
	s_xor_b64 s[4:5], s[2:3], -1
	v_cndmask_b32_e32 v4, 0, v5, vcc
	s_and_saveexec_b64 s[2:3], s[4:5]
	s_cbranch_execz .LBB47_101
; %bb.98:
	v_mbcnt_lo_u32_b32 v2, exec_lo, 0
	v_mbcnt_hi_u32_b32 v2, exec_hi, v2
	v_cmp_eq_u32_e32 vcc, 0, v2
	s_and_saveexec_b64 s[4:5], vcc
	s_cbranch_execz .LBB47_100
; %bb.99:
	v_mov_b32_e32 v2, 0
	v_mov_b32_e32 v4, s16
	global_atomic_smin v2, v4, s[14:15]
.LBB47_100:
	s_or_b64 exec, exec, s[4:5]
	v_mov_b32_e32 v2, 1.0
	v_mov_b32_e32 v4, 0
.LBB47_101:
	s_or_b64 exec, exec, s[2:3]
	v_cmp_lt_u32_e32 vcc, 1, v13
	s_and_saveexec_b64 s[2:3], vcc
	s_cbranch_execz .LBB47_103
; %bb.102:
	v_mul_f32_e32 v5, v4, v4
	v_fmac_f32_e32 v5, v2, v2
	v_div_scale_f32 v6, s[4:5], v5, v5, 1.0
	v_rcp_f32_e32 v7, v6
	v_mul_u32_u24_e32 v18, 0x48, v13
	ds_read2_b64 v[14:17], v18 offset0:145 offset1:217
	v_fma_f32 v10, -v6, v7, 1.0
	v_fmac_f32_e32 v7, v10, v7
	v_div_scale_f32 v10, vcc, 1.0, v5, 1.0
	v_mul_f32_e32 v11, v10, v7
	v_fma_f32 v19, -v6, v11, v10
	v_fmac_f32_e32 v11, v19, v7
	v_fma_f32 v6, -v6, v11, v10
	v_div_fmas_f32 v6, v6, v7, v11
	s_waitcnt lgkmcnt(0)
	v_pk_add_f32 v[10:11], v[14:15], v[16:17] op_sel:[1,1] op_sel_hi:[0,0] neg_lo:[0,1] neg_hi:[0,1]
	v_div_fixup_f32 v6, v6, v5, 1.0
	v_pk_mul_f32 v[4:5], v[4:5], v[10:11] op_sel:[0,1] op_sel_hi:[0,0] neg_lo:[0,1]
	v_pk_fma_f32 v[4:5], v[10:11], v[2:3], v[4:5] op_sel_hi:[1,0,1]
	v_pk_mul_f32 v[4:5], v[6:7], v[4:5] op_sel_hi:[0,1]
	v_mul_u32_u24_e32 v19, 0x48, v12
	v_mov_b32_e32 v6, v5
	v_mov_b32_e32 v7, v4
	ds_write_b64 v18, v[6:7] offset:1160
	s_waitcnt lgkmcnt(0)
	ds_read_b64 v[6:7], v19 offset:1160
	ds_read_b64 v[10:11], v9
	s_waitcnt lgkmcnt(0)
	v_pk_fma_f32 v[10:11], v[4:5], v[6:7], v[10:11] op_sel:[1,0,0] op_sel_hi:[0,0,1]
	v_pk_fma_f32 v[4:5], v[4:5], v[6:7], v[10:11] op_sel:[0,1,0] neg_hi:[0,1,0]
	ds_write_b64 v9, v[4:5]
.LBB47_103:
	s_or_b64 exec, exec, s[2:3]
	v_cmp_eq_u32_e32 vcc, 2, v13
	s_waitcnt lgkmcnt(0)
	s_and_saveexec_b64 s[4:5], vcc
	s_cbranch_execz .LBB47_111
; %bb.104:
	v_mov_b32_e32 v5, 0
	ds_read2_b64 v[14:17], v5 offset0:164 offset1:236
	s_waitcnt lgkmcnt(0)
	v_sub_f32_e32 v2, v14, v16
	v_sub_f32_e32 v6, v15, v17
	v_cmp_gt_f32_e32 vcc, 0, v2
	v_cndmask_b32_e64 v2, v2, -v2, vcc
	v_cmp_gt_f32_e32 vcc, 0, v6
	v_cndmask_b32_e64 v4, v6, -v6, vcc
	v_cmp_gt_f32_e32 vcc, v2, v4
	s_cbranch_vccnz .LBB47_108
; %bb.105:
	v_cmp_eq_f32_e32 vcc, 0, v6
	s_cbranch_vccnz .LBB47_107
; %bb.106:
	v_div_scale_f32 v5, s[2:3], v4, v4, v2
	v_rcp_f32_e32 v6, v5
	v_div_scale_f32 v7, vcc, v2, v4, v2
	s_mov_b32 s2, 0xf800000
	v_fma_f32 v10, -v5, v6, 1.0
	v_fmac_f32_e32 v6, v10, v6
	v_mul_f32_e32 v10, v7, v6
	v_fma_f32 v11, -v5, v10, v7
	v_fmac_f32_e32 v10, v11, v6
	v_fma_f32 v5, -v5, v10, v7
	v_div_fmas_f32 v5, v5, v6, v10
	v_div_fixup_f32 v5, v5, v4, v2
	v_fma_f32 v5, v5, v5, 1.0
	v_mul_f32_e32 v6, 0x4f800000, v5
	v_cmp_gt_f32_e32 vcc, s2, v5
	v_cndmask_b32_e32 v5, v5, v6, vcc
	v_sqrt_f32_e32 v6, v5
	v_add_u32_e32 v7, -1, v6
	v_fma_f32 v10, -v7, v6, v5
	v_cmp_ge_f32_e64 s[2:3], 0, v10
	v_add_u32_e32 v10, 1, v6
	v_cndmask_b32_e64 v7, v6, v7, s[2:3]
	v_fma_f32 v6, -v10, v6, v5
	v_cmp_lt_f32_e64 s[2:3], 0, v6
	v_cndmask_b32_e64 v6, v7, v10, s[2:3]
	v_mul_f32_e32 v7, 0x37800000, v6
	v_cndmask_b32_e32 v6, v6, v7, vcc
	v_mov_b32_e32 v7, 0x260
	v_cmp_class_f32_e32 vcc, v5, v7
	v_cndmask_b32_e32 v5, v6, v5, vcc
	v_mul_f32_e32 v5, v4, v5
.LBB47_107:
	s_cbranch_execz .LBB47_109
	s_branch .LBB47_110
.LBB47_108:
                                        ; implicit-def: $vgpr5
.LBB47_109:
	v_div_scale_f32 v5, s[2:3], v2, v2, v4
	v_rcp_f32_e32 v6, v5
	v_div_scale_f32 v7, vcc, v4, v2, v4
	s_mov_b32 s2, 0xf800000
	v_fma_f32 v10, -v5, v6, 1.0
	v_fmac_f32_e32 v6, v10, v6
	v_mul_f32_e32 v10, v7, v6
	v_fma_f32 v11, -v5, v10, v7
	v_fmac_f32_e32 v10, v11, v6
	v_fma_f32 v5, -v5, v10, v7
	v_div_fmas_f32 v5, v5, v6, v10
	v_div_fixup_f32 v4, v5, v2, v4
	v_fma_f32 v4, v4, v4, 1.0
	v_mul_f32_e32 v5, 0x4f800000, v4
	v_cmp_gt_f32_e32 vcc, s2, v4
	v_cndmask_b32_e32 v4, v4, v5, vcc
	v_sqrt_f32_e32 v5, v4
	v_add_u32_e32 v6, -1, v5
	v_fma_f32 v7, -v6, v5, v4
	v_cmp_ge_f32_e64 s[2:3], 0, v7
	v_add_u32_e32 v7, 1, v5
	v_cndmask_b32_e64 v6, v5, v6, s[2:3]
	v_fma_f32 v5, -v7, v5, v4
	v_cmp_lt_f32_e64 s[2:3], 0, v5
	v_cndmask_b32_e64 v5, v6, v7, s[2:3]
	v_mul_f32_e32 v6, 0x37800000, v5
	v_cndmask_b32_e32 v5, v5, v6, vcc
	v_mov_b32_e32 v6, 0x260
	v_cmp_class_f32_e32 vcc, v4, v6
	v_cndmask_b32_e32 v4, v5, v4, vcc
	v_mul_f32_e32 v5, v2, v4
.LBB47_110:
	s_mov_b32 s2, 0xf800000
	v_mul_f32_e32 v2, 0x4f800000, v5
	v_cmp_gt_f32_e32 vcc, s2, v5
	v_cndmask_b32_e32 v2, v5, v2, vcc
	v_sqrt_f32_e32 v4, v2
	v_add_u32_e32 v5, -1, v4
	v_fma_f32 v6, -v5, v4, v2
	v_cmp_ge_f32_e64 s[2:3], 0, v6
	v_add_u32_e32 v6, 1, v4
	v_cndmask_b32_e64 v5, v4, v5, s[2:3]
	v_fma_f32 v4, -v6, v4, v2
	v_cmp_lt_f32_e64 s[2:3], 0, v4
	v_cndmask_b32_e64 v4, v5, v6, s[2:3]
	v_mul_f32_e32 v5, 0x37800000, v4
	v_cndmask_b32_e32 v4, v4, v5, vcc
	v_mov_b32_e32 v5, 0x260
	v_cmp_class_f32_e32 vcc, v2, v5
	v_cndmask_b32_e32 v4, v4, v2, vcc
	v_mov_b32_e32 v5, 0
	ds_write_b64 v5, v[4:5] offset:1312
.LBB47_111:
	s_or_b64 exec, exec, s[4:5]
	v_mov_b32_e32 v2, 0
	s_waitcnt lgkmcnt(0)
	ds_read_b64 v[4:5], v2 offset:1312
	s_waitcnt lgkmcnt(0)
	v_cmp_neq_f32_e32 vcc, 0, v4
	v_cmp_neq_f32_e64 s[2:3], 0, v5
	s_or_b64 vcc, vcc, s[2:3]
	s_or_b64 s[2:3], vcc, s[0:1]
	v_cndmask_b32_e32 v2, 1.0, v4, vcc
	s_xor_b64 s[4:5], s[2:3], -1
	v_cndmask_b32_e32 v4, 0, v5, vcc
	s_and_saveexec_b64 s[2:3], s[4:5]
	s_cbranch_execz .LBB47_115
; %bb.112:
	v_mbcnt_lo_u32_b32 v2, exec_lo, 0
	v_mbcnt_hi_u32_b32 v2, exec_hi, v2
	v_cmp_eq_u32_e32 vcc, 0, v2
	s_and_saveexec_b64 s[4:5], vcc
	s_cbranch_execz .LBB47_114
; %bb.113:
	v_mov_b32_e32 v2, 0
	v_mov_b32_e32 v4, s16
	global_atomic_smin v2, v4, s[14:15]
.LBB47_114:
	s_or_b64 exec, exec, s[4:5]
	v_mov_b32_e32 v2, 1.0
	v_mov_b32_e32 v4, 0
.LBB47_115:
	s_or_b64 exec, exec, s[2:3]
	v_cmp_lt_u32_e32 vcc, 2, v13
	s_and_saveexec_b64 s[2:3], vcc
	s_cbranch_execz .LBB47_117
; %bb.116:
	v_mul_f32_e32 v5, v4, v4
	v_fmac_f32_e32 v5, v2, v2
	v_div_scale_f32 v6, s[4:5], v5, v5, 1.0
	v_rcp_f32_e32 v7, v6
	v_mul_u32_u24_e32 v18, 0x48, v13
	ds_read2_b64 v[14:17], v18 offset0:146 offset1:218
	v_fma_f32 v10, -v6, v7, 1.0
	v_fmac_f32_e32 v7, v10, v7
	v_div_scale_f32 v10, vcc, 1.0, v5, 1.0
	v_mul_f32_e32 v11, v10, v7
	v_fma_f32 v19, -v6, v11, v10
	v_fmac_f32_e32 v11, v19, v7
	v_fma_f32 v6, -v6, v11, v10
	v_div_fmas_f32 v6, v6, v7, v11
	s_waitcnt lgkmcnt(0)
	v_pk_add_f32 v[10:11], v[14:15], v[16:17] op_sel:[1,1] op_sel_hi:[0,0] neg_lo:[0,1] neg_hi:[0,1]
	v_div_fixup_f32 v6, v6, v5, 1.0
	v_pk_mul_f32 v[4:5], v[4:5], v[10:11] op_sel:[0,1] op_sel_hi:[0,0] neg_lo:[0,1]
	v_pk_fma_f32 v[4:5], v[10:11], v[2:3], v[4:5] op_sel_hi:[1,0,1]
	v_pk_mul_f32 v[4:5], v[6:7], v[4:5] op_sel_hi:[0,1]
	v_mul_u32_u24_e32 v19, 0x48, v12
	v_mov_b32_e32 v6, v5
	v_mov_b32_e32 v7, v4
	ds_write_b64 v18, v[6:7] offset:1168
	s_waitcnt lgkmcnt(0)
	ds_read_b64 v[6:7], v19 offset:1168
	ds_read_b64 v[10:11], v9
	s_waitcnt lgkmcnt(0)
	v_pk_fma_f32 v[10:11], v[4:5], v[6:7], v[10:11] op_sel:[1,0,0] op_sel_hi:[0,0,1]
	v_pk_fma_f32 v[4:5], v[4:5], v[6:7], v[10:11] op_sel:[0,1,0] neg_hi:[0,1,0]
	ds_write_b64 v9, v[4:5]
.LBB47_117:
	s_or_b64 exec, exec, s[2:3]
	v_cmp_eq_u32_e32 vcc, 3, v13
	s_waitcnt lgkmcnt(0)
	s_and_saveexec_b64 s[4:5], vcc
	s_cbranch_execz .LBB47_125
; %bb.118:
	v_mov_b32_e32 v5, 0
	ds_read2_b64 v[14:17], v5 offset0:174 offset1:246
	s_waitcnt lgkmcnt(0)
	v_sub_f32_e32 v2, v14, v16
	v_sub_f32_e32 v6, v15, v17
	v_cmp_gt_f32_e32 vcc, 0, v2
	v_cndmask_b32_e64 v2, v2, -v2, vcc
	v_cmp_gt_f32_e32 vcc, 0, v6
	v_cndmask_b32_e64 v4, v6, -v6, vcc
	v_cmp_gt_f32_e32 vcc, v2, v4
	s_cbranch_vccnz .LBB47_122
; %bb.119:
	v_cmp_eq_f32_e32 vcc, 0, v6
	s_cbranch_vccnz .LBB47_121
; %bb.120:
	v_div_scale_f32 v5, s[2:3], v4, v4, v2
	v_rcp_f32_e32 v6, v5
	v_div_scale_f32 v7, vcc, v2, v4, v2
	s_mov_b32 s2, 0xf800000
	v_fma_f32 v10, -v5, v6, 1.0
	v_fmac_f32_e32 v6, v10, v6
	v_mul_f32_e32 v10, v7, v6
	v_fma_f32 v11, -v5, v10, v7
	v_fmac_f32_e32 v10, v11, v6
	v_fma_f32 v5, -v5, v10, v7
	v_div_fmas_f32 v5, v5, v6, v10
	v_div_fixup_f32 v5, v5, v4, v2
	v_fma_f32 v5, v5, v5, 1.0
	v_mul_f32_e32 v6, 0x4f800000, v5
	v_cmp_gt_f32_e32 vcc, s2, v5
	v_cndmask_b32_e32 v5, v5, v6, vcc
	v_sqrt_f32_e32 v6, v5
	v_add_u32_e32 v7, -1, v6
	v_fma_f32 v10, -v7, v6, v5
	v_cmp_ge_f32_e64 s[2:3], 0, v10
	v_add_u32_e32 v10, 1, v6
	v_cndmask_b32_e64 v7, v6, v7, s[2:3]
	v_fma_f32 v6, -v10, v6, v5
	v_cmp_lt_f32_e64 s[2:3], 0, v6
	v_cndmask_b32_e64 v6, v7, v10, s[2:3]
	v_mul_f32_e32 v7, 0x37800000, v6
	v_cndmask_b32_e32 v6, v6, v7, vcc
	v_mov_b32_e32 v7, 0x260
	v_cmp_class_f32_e32 vcc, v5, v7
	v_cndmask_b32_e32 v5, v6, v5, vcc
	v_mul_f32_e32 v5, v4, v5
.LBB47_121:
	s_cbranch_execz .LBB47_123
	s_branch .LBB47_124
.LBB47_122:
                                        ; implicit-def: $vgpr5
.LBB47_123:
	v_div_scale_f32 v5, s[2:3], v2, v2, v4
	v_rcp_f32_e32 v6, v5
	v_div_scale_f32 v7, vcc, v4, v2, v4
	s_mov_b32 s2, 0xf800000
	v_fma_f32 v10, -v5, v6, 1.0
	v_fmac_f32_e32 v6, v10, v6
	v_mul_f32_e32 v10, v7, v6
	v_fma_f32 v11, -v5, v10, v7
	v_fmac_f32_e32 v10, v11, v6
	v_fma_f32 v5, -v5, v10, v7
	v_div_fmas_f32 v5, v5, v6, v10
	v_div_fixup_f32 v4, v5, v2, v4
	v_fma_f32 v4, v4, v4, 1.0
	v_mul_f32_e32 v5, 0x4f800000, v4
	v_cmp_gt_f32_e32 vcc, s2, v4
	v_cndmask_b32_e32 v4, v4, v5, vcc
	v_sqrt_f32_e32 v5, v4
	v_add_u32_e32 v6, -1, v5
	v_fma_f32 v7, -v6, v5, v4
	v_cmp_ge_f32_e64 s[2:3], 0, v7
	v_add_u32_e32 v7, 1, v5
	v_cndmask_b32_e64 v6, v5, v6, s[2:3]
	v_fma_f32 v5, -v7, v5, v4
	v_cmp_lt_f32_e64 s[2:3], 0, v5
	v_cndmask_b32_e64 v5, v6, v7, s[2:3]
	v_mul_f32_e32 v6, 0x37800000, v5
	v_cndmask_b32_e32 v5, v5, v6, vcc
	v_mov_b32_e32 v6, 0x260
	v_cmp_class_f32_e32 vcc, v4, v6
	v_cndmask_b32_e32 v4, v5, v4, vcc
	v_mul_f32_e32 v5, v2, v4
.LBB47_124:
	s_mov_b32 s2, 0xf800000
	v_mul_f32_e32 v2, 0x4f800000, v5
	v_cmp_gt_f32_e32 vcc, s2, v5
	v_cndmask_b32_e32 v2, v5, v2, vcc
	v_sqrt_f32_e32 v4, v2
	v_add_u32_e32 v5, -1, v4
	v_fma_f32 v6, -v5, v4, v2
	v_cmp_ge_f32_e64 s[2:3], 0, v6
	v_add_u32_e32 v6, 1, v4
	v_cndmask_b32_e64 v5, v4, v5, s[2:3]
	v_fma_f32 v4, -v6, v4, v2
	v_cmp_lt_f32_e64 s[2:3], 0, v4
	v_cndmask_b32_e64 v4, v5, v6, s[2:3]
	v_mul_f32_e32 v5, 0x37800000, v4
	v_cndmask_b32_e32 v4, v4, v5, vcc
	v_mov_b32_e32 v5, 0x260
	v_cmp_class_f32_e32 vcc, v2, v5
	v_cndmask_b32_e32 v4, v4, v2, vcc
	v_mov_b32_e32 v5, 0
	ds_write_b64 v5, v[4:5] offset:1392
.LBB47_125:
	s_or_b64 exec, exec, s[4:5]
	v_mov_b32_e32 v2, 0
	s_waitcnt lgkmcnt(0)
	ds_read_b64 v[4:5], v2 offset:1392
	s_waitcnt lgkmcnt(0)
	v_cmp_neq_f32_e32 vcc, 0, v4
	v_cmp_neq_f32_e64 s[2:3], 0, v5
	s_or_b64 vcc, vcc, s[2:3]
	s_or_b64 s[2:3], vcc, s[0:1]
	v_cndmask_b32_e32 v2, 1.0, v4, vcc
	s_xor_b64 s[4:5], s[2:3], -1
	v_cndmask_b32_e32 v4, 0, v5, vcc
	s_and_saveexec_b64 s[2:3], s[4:5]
	s_cbranch_execz .LBB47_129
; %bb.126:
	v_mbcnt_lo_u32_b32 v2, exec_lo, 0
	v_mbcnt_hi_u32_b32 v2, exec_hi, v2
	v_cmp_eq_u32_e32 vcc, 0, v2
	s_and_saveexec_b64 s[4:5], vcc
	s_cbranch_execz .LBB47_128
; %bb.127:
	v_mov_b32_e32 v2, 0
	v_mov_b32_e32 v4, s16
	global_atomic_smin v2, v4, s[14:15]
.LBB47_128:
	s_or_b64 exec, exec, s[4:5]
	v_mov_b32_e32 v2, 1.0
	v_mov_b32_e32 v4, 0
.LBB47_129:
	s_or_b64 exec, exec, s[2:3]
	v_cmp_lt_u32_e32 vcc, 3, v13
	s_and_saveexec_b64 s[2:3], vcc
	s_cbranch_execz .LBB47_131
; %bb.130:
	v_mul_f32_e32 v5, v4, v4
	v_fmac_f32_e32 v5, v2, v2
	v_div_scale_f32 v6, s[4:5], v5, v5, 1.0
	v_rcp_f32_e32 v7, v6
	v_mul_u32_u24_e32 v18, 0x48, v13
	ds_read2_b64 v[14:17], v18 offset0:147 offset1:219
	v_fma_f32 v10, -v6, v7, 1.0
	v_fmac_f32_e32 v7, v10, v7
	v_div_scale_f32 v10, vcc, 1.0, v5, 1.0
	v_mul_f32_e32 v11, v10, v7
	v_fma_f32 v19, -v6, v11, v10
	v_fmac_f32_e32 v11, v19, v7
	v_fma_f32 v6, -v6, v11, v10
	v_div_fmas_f32 v6, v6, v7, v11
	s_waitcnt lgkmcnt(0)
	v_pk_add_f32 v[10:11], v[14:15], v[16:17] op_sel:[1,1] op_sel_hi:[0,0] neg_lo:[0,1] neg_hi:[0,1]
	v_div_fixup_f32 v6, v6, v5, 1.0
	v_pk_mul_f32 v[4:5], v[4:5], v[10:11] op_sel:[0,1] op_sel_hi:[0,0] neg_lo:[0,1]
	v_pk_fma_f32 v[4:5], v[10:11], v[2:3], v[4:5] op_sel_hi:[1,0,1]
	v_pk_mul_f32 v[4:5], v[6:7], v[4:5] op_sel_hi:[0,1]
	v_mul_u32_u24_e32 v19, 0x48, v12
	v_mov_b32_e32 v6, v5
	v_mov_b32_e32 v7, v4
	ds_write_b64 v18, v[6:7] offset:1176
	s_waitcnt lgkmcnt(0)
	ds_read_b64 v[6:7], v19 offset:1176
	ds_read_b64 v[10:11], v9
	s_waitcnt lgkmcnt(0)
	v_pk_fma_f32 v[10:11], v[4:5], v[6:7], v[10:11] op_sel:[1,0,0] op_sel_hi:[0,0,1]
	v_pk_fma_f32 v[4:5], v[4:5], v[6:7], v[10:11] op_sel:[0,1,0] neg_hi:[0,1,0]
	ds_write_b64 v9, v[4:5]
.LBB47_131:
	s_or_b64 exec, exec, s[2:3]
	v_cmp_eq_u32_e32 vcc, 4, v13
	s_waitcnt lgkmcnt(0)
	s_and_saveexec_b64 s[4:5], vcc
	s_cbranch_execz .LBB47_139
; %bb.132:
	s_movk_i32 s2, 0x400
	v_add_u32_e64 v2, s2, 0
	ds_read2_b64 v[14:17], v2 offset0:56 offset1:128
	v_mov_b32_e32 v5, 0
	s_waitcnt lgkmcnt(0)
	v_sub_f32_e32 v2, v14, v16
	v_sub_f32_e32 v6, v15, v17
	v_cmp_gt_f32_e32 vcc, 0, v2
	v_cndmask_b32_e64 v2, v2, -v2, vcc
	v_cmp_gt_f32_e32 vcc, 0, v6
	v_cndmask_b32_e64 v4, v6, -v6, vcc
	v_cmp_gt_f32_e32 vcc, v2, v4
	s_cbranch_vccnz .LBB47_136
; %bb.133:
	v_cmp_eq_f32_e32 vcc, 0, v6
	s_cbranch_vccnz .LBB47_135
; %bb.134:
	v_div_scale_f32 v5, s[2:3], v4, v4, v2
	v_rcp_f32_e32 v6, v5
	v_div_scale_f32 v7, vcc, v2, v4, v2
	s_mov_b32 s2, 0xf800000
	v_fma_f32 v10, -v5, v6, 1.0
	v_fmac_f32_e32 v6, v10, v6
	v_mul_f32_e32 v10, v7, v6
	v_fma_f32 v11, -v5, v10, v7
	v_fmac_f32_e32 v10, v11, v6
	v_fma_f32 v5, -v5, v10, v7
	v_div_fmas_f32 v5, v5, v6, v10
	v_div_fixup_f32 v5, v5, v4, v2
	v_fma_f32 v5, v5, v5, 1.0
	v_mul_f32_e32 v6, 0x4f800000, v5
	v_cmp_gt_f32_e32 vcc, s2, v5
	v_cndmask_b32_e32 v5, v5, v6, vcc
	v_sqrt_f32_e32 v6, v5
	v_add_u32_e32 v7, -1, v6
	v_fma_f32 v10, -v7, v6, v5
	v_cmp_ge_f32_e64 s[2:3], 0, v10
	v_add_u32_e32 v10, 1, v6
	v_cndmask_b32_e64 v7, v6, v7, s[2:3]
	v_fma_f32 v6, -v10, v6, v5
	v_cmp_lt_f32_e64 s[2:3], 0, v6
	v_cndmask_b32_e64 v6, v7, v10, s[2:3]
	v_mul_f32_e32 v7, 0x37800000, v6
	v_cndmask_b32_e32 v6, v6, v7, vcc
	v_mov_b32_e32 v7, 0x260
	v_cmp_class_f32_e32 vcc, v5, v7
	v_cndmask_b32_e32 v5, v6, v5, vcc
	v_mul_f32_e32 v5, v4, v5
.LBB47_135:
	s_cbranch_execz .LBB47_137
	s_branch .LBB47_138
.LBB47_136:
                                        ; implicit-def: $vgpr5
.LBB47_137:
	v_div_scale_f32 v5, s[2:3], v2, v2, v4
	v_rcp_f32_e32 v6, v5
	v_div_scale_f32 v7, vcc, v4, v2, v4
	s_mov_b32 s2, 0xf800000
	v_fma_f32 v10, -v5, v6, 1.0
	v_fmac_f32_e32 v6, v10, v6
	v_mul_f32_e32 v10, v7, v6
	v_fma_f32 v11, -v5, v10, v7
	v_fmac_f32_e32 v10, v11, v6
	v_fma_f32 v5, -v5, v10, v7
	v_div_fmas_f32 v5, v5, v6, v10
	v_div_fixup_f32 v4, v5, v2, v4
	v_fma_f32 v4, v4, v4, 1.0
	v_mul_f32_e32 v5, 0x4f800000, v4
	v_cmp_gt_f32_e32 vcc, s2, v4
	v_cndmask_b32_e32 v4, v4, v5, vcc
	v_sqrt_f32_e32 v5, v4
	v_add_u32_e32 v6, -1, v5
	v_fma_f32 v7, -v6, v5, v4
	v_cmp_ge_f32_e64 s[2:3], 0, v7
	v_add_u32_e32 v7, 1, v5
	v_cndmask_b32_e64 v6, v5, v6, s[2:3]
	v_fma_f32 v5, -v7, v5, v4
	v_cmp_lt_f32_e64 s[2:3], 0, v5
	v_cndmask_b32_e64 v5, v6, v7, s[2:3]
	v_mul_f32_e32 v6, 0x37800000, v5
	v_cndmask_b32_e32 v5, v5, v6, vcc
	v_mov_b32_e32 v6, 0x260
	v_cmp_class_f32_e32 vcc, v4, v6
	v_cndmask_b32_e32 v4, v5, v4, vcc
	v_mul_f32_e32 v5, v2, v4
.LBB47_138:
	s_mov_b32 s2, 0xf800000
	v_mul_f32_e32 v2, 0x4f800000, v5
	v_cmp_gt_f32_e32 vcc, s2, v5
	v_cndmask_b32_e32 v2, v5, v2, vcc
	v_sqrt_f32_e32 v4, v2
	v_add_u32_e32 v5, -1, v4
	v_fma_f32 v6, -v5, v4, v2
	v_cmp_ge_f32_e64 s[2:3], 0, v6
	v_add_u32_e32 v6, 1, v4
	v_cndmask_b32_e64 v5, v4, v5, s[2:3]
	v_fma_f32 v4, -v6, v4, v2
	v_cmp_lt_f32_e64 s[2:3], 0, v4
	v_cndmask_b32_e64 v4, v5, v6, s[2:3]
	v_mul_f32_e32 v5, 0x37800000, v4
	v_cndmask_b32_e32 v4, v4, v5, vcc
	v_mov_b32_e32 v5, 0x260
	v_cmp_class_f32_e32 vcc, v2, v5
	v_cndmask_b32_e32 v4, v4, v2, vcc
	v_mov_b32_e32 v5, 0
	ds_write_b64 v5, v[4:5] offset:1472
.LBB47_139:
	s_or_b64 exec, exec, s[4:5]
	v_mov_b32_e32 v2, 0
	s_waitcnt lgkmcnt(0)
	ds_read_b64 v[4:5], v2 offset:1472
	s_waitcnt lgkmcnt(0)
	v_cmp_neq_f32_e32 vcc, 0, v4
	v_cmp_neq_f32_e64 s[2:3], 0, v5
	s_or_b64 vcc, vcc, s[2:3]
	s_or_b64 s[2:3], vcc, s[0:1]
	v_cndmask_b32_e32 v2, 1.0, v4, vcc
	s_xor_b64 s[4:5], s[2:3], -1
	v_cndmask_b32_e32 v4, 0, v5, vcc
	s_and_saveexec_b64 s[2:3], s[4:5]
	s_cbranch_execz .LBB47_143
; %bb.140:
	v_mbcnt_lo_u32_b32 v2, exec_lo, 0
	v_mbcnt_hi_u32_b32 v2, exec_hi, v2
	v_cmp_eq_u32_e32 vcc, 0, v2
	s_and_saveexec_b64 s[4:5], vcc
	s_cbranch_execz .LBB47_142
; %bb.141:
	v_mov_b32_e32 v2, 0
	v_mov_b32_e32 v4, s16
	global_atomic_smin v2, v4, s[14:15]
.LBB47_142:
	s_or_b64 exec, exec, s[4:5]
	v_mov_b32_e32 v2, 1.0
	v_mov_b32_e32 v4, 0
.LBB47_143:
	s_or_b64 exec, exec, s[2:3]
	v_cmp_lt_u32_e32 vcc, 4, v13
	s_and_saveexec_b64 s[2:3], vcc
	s_cbranch_execz .LBB47_145
; %bb.144:
	v_mul_f32_e32 v5, v4, v4
	v_fmac_f32_e32 v5, v2, v2
	v_div_scale_f32 v6, s[4:5], v5, v5, 1.0
	v_rcp_f32_e32 v7, v6
	v_mul_u32_u24_e32 v18, 0x48, v13
	ds_read2_b64 v[14:17], v18 offset0:148 offset1:220
	v_fma_f32 v10, -v6, v7, 1.0
	v_fmac_f32_e32 v7, v10, v7
	v_div_scale_f32 v10, vcc, 1.0, v5, 1.0
	v_mul_f32_e32 v11, v10, v7
	v_fma_f32 v19, -v6, v11, v10
	v_fmac_f32_e32 v11, v19, v7
	v_fma_f32 v6, -v6, v11, v10
	v_div_fmas_f32 v6, v6, v7, v11
	s_waitcnt lgkmcnt(0)
	v_pk_add_f32 v[10:11], v[14:15], v[16:17] op_sel:[1,1] op_sel_hi:[0,0] neg_lo:[0,1] neg_hi:[0,1]
	v_div_fixup_f32 v6, v6, v5, 1.0
	v_pk_mul_f32 v[4:5], v[4:5], v[10:11] op_sel:[0,1] op_sel_hi:[0,0] neg_lo:[0,1]
	v_pk_fma_f32 v[4:5], v[10:11], v[2:3], v[4:5] op_sel_hi:[1,0,1]
	v_pk_mul_f32 v[4:5], v[6:7], v[4:5] op_sel_hi:[0,1]
	v_mul_u32_u24_e32 v19, 0x48, v12
	v_mov_b32_e32 v6, v5
	v_mov_b32_e32 v7, v4
	ds_write_b64 v18, v[6:7] offset:1184
	s_waitcnt lgkmcnt(0)
	ds_read_b64 v[6:7], v19 offset:1184
	ds_read_b64 v[10:11], v9
	s_waitcnt lgkmcnt(0)
	v_pk_fma_f32 v[10:11], v[4:5], v[6:7], v[10:11] op_sel:[1,0,0] op_sel_hi:[0,0,1]
	v_pk_fma_f32 v[4:5], v[4:5], v[6:7], v[10:11] op_sel:[0,1,0] neg_hi:[0,1,0]
	ds_write_b64 v9, v[4:5]
.LBB47_145:
	s_or_b64 exec, exec, s[2:3]
	v_cmp_eq_u32_e32 vcc, 5, v13
	s_waitcnt lgkmcnt(0)
	s_and_saveexec_b64 s[4:5], vcc
	s_cbranch_execz .LBB47_153
; %bb.146:
	s_movk_i32 s2, 0x400
	v_add_u32_e64 v2, s2, 0
	ds_read2_b64 v[14:17], v2 offset0:66 offset1:138
	v_mov_b32_e32 v5, 0
	s_waitcnt lgkmcnt(0)
	v_sub_f32_e32 v2, v14, v16
	v_sub_f32_e32 v6, v15, v17
	v_cmp_gt_f32_e32 vcc, 0, v2
	v_cndmask_b32_e64 v2, v2, -v2, vcc
	v_cmp_gt_f32_e32 vcc, 0, v6
	v_cndmask_b32_e64 v4, v6, -v6, vcc
	v_cmp_gt_f32_e32 vcc, v2, v4
	s_cbranch_vccnz .LBB47_150
; %bb.147:
	v_cmp_eq_f32_e32 vcc, 0, v6
	s_cbranch_vccnz .LBB47_149
; %bb.148:
	v_div_scale_f32 v5, s[2:3], v4, v4, v2
	v_rcp_f32_e32 v6, v5
	v_div_scale_f32 v7, vcc, v2, v4, v2
	s_mov_b32 s2, 0xf800000
	v_fma_f32 v10, -v5, v6, 1.0
	v_fmac_f32_e32 v6, v10, v6
	v_mul_f32_e32 v10, v7, v6
	v_fma_f32 v11, -v5, v10, v7
	v_fmac_f32_e32 v10, v11, v6
	v_fma_f32 v5, -v5, v10, v7
	v_div_fmas_f32 v5, v5, v6, v10
	v_div_fixup_f32 v5, v5, v4, v2
	v_fma_f32 v5, v5, v5, 1.0
	v_mul_f32_e32 v6, 0x4f800000, v5
	v_cmp_gt_f32_e32 vcc, s2, v5
	v_cndmask_b32_e32 v5, v5, v6, vcc
	v_sqrt_f32_e32 v6, v5
	v_add_u32_e32 v7, -1, v6
	v_fma_f32 v10, -v7, v6, v5
	v_cmp_ge_f32_e64 s[2:3], 0, v10
	v_add_u32_e32 v10, 1, v6
	v_cndmask_b32_e64 v7, v6, v7, s[2:3]
	v_fma_f32 v6, -v10, v6, v5
	v_cmp_lt_f32_e64 s[2:3], 0, v6
	v_cndmask_b32_e64 v6, v7, v10, s[2:3]
	v_mul_f32_e32 v7, 0x37800000, v6
	v_cndmask_b32_e32 v6, v6, v7, vcc
	v_mov_b32_e32 v7, 0x260
	v_cmp_class_f32_e32 vcc, v5, v7
	v_cndmask_b32_e32 v5, v6, v5, vcc
	v_mul_f32_e32 v5, v4, v5
.LBB47_149:
	s_cbranch_execz .LBB47_151
	s_branch .LBB47_152
.LBB47_150:
                                        ; implicit-def: $vgpr5
.LBB47_151:
	v_div_scale_f32 v5, s[2:3], v2, v2, v4
	v_rcp_f32_e32 v6, v5
	v_div_scale_f32 v7, vcc, v4, v2, v4
	s_mov_b32 s2, 0xf800000
	v_fma_f32 v10, -v5, v6, 1.0
	v_fmac_f32_e32 v6, v10, v6
	v_mul_f32_e32 v10, v7, v6
	v_fma_f32 v11, -v5, v10, v7
	v_fmac_f32_e32 v10, v11, v6
	v_fma_f32 v5, -v5, v10, v7
	v_div_fmas_f32 v5, v5, v6, v10
	v_div_fixup_f32 v4, v5, v2, v4
	v_fma_f32 v4, v4, v4, 1.0
	v_mul_f32_e32 v5, 0x4f800000, v4
	v_cmp_gt_f32_e32 vcc, s2, v4
	v_cndmask_b32_e32 v4, v4, v5, vcc
	v_sqrt_f32_e32 v5, v4
	v_add_u32_e32 v6, -1, v5
	v_fma_f32 v7, -v6, v5, v4
	v_cmp_ge_f32_e64 s[2:3], 0, v7
	v_add_u32_e32 v7, 1, v5
	v_cndmask_b32_e64 v6, v5, v6, s[2:3]
	v_fma_f32 v5, -v7, v5, v4
	v_cmp_lt_f32_e64 s[2:3], 0, v5
	v_cndmask_b32_e64 v5, v6, v7, s[2:3]
	v_mul_f32_e32 v6, 0x37800000, v5
	v_cndmask_b32_e32 v5, v5, v6, vcc
	v_mov_b32_e32 v6, 0x260
	v_cmp_class_f32_e32 vcc, v4, v6
	v_cndmask_b32_e32 v4, v5, v4, vcc
	v_mul_f32_e32 v5, v2, v4
.LBB47_152:
	s_mov_b32 s2, 0xf800000
	v_mul_f32_e32 v2, 0x4f800000, v5
	v_cmp_gt_f32_e32 vcc, s2, v5
	v_cndmask_b32_e32 v2, v5, v2, vcc
	v_sqrt_f32_e32 v4, v2
	v_add_u32_e32 v5, -1, v4
	v_fma_f32 v6, -v5, v4, v2
	v_cmp_ge_f32_e64 s[2:3], 0, v6
	v_add_u32_e32 v6, 1, v4
	v_cndmask_b32_e64 v5, v4, v5, s[2:3]
	v_fma_f32 v4, -v6, v4, v2
	v_cmp_lt_f32_e64 s[2:3], 0, v4
	v_cndmask_b32_e64 v4, v5, v6, s[2:3]
	v_mul_f32_e32 v5, 0x37800000, v4
	v_cndmask_b32_e32 v4, v4, v5, vcc
	v_mov_b32_e32 v5, 0x260
	v_cmp_class_f32_e32 vcc, v2, v5
	v_cndmask_b32_e32 v4, v4, v2, vcc
	v_mov_b32_e32 v5, 0
	ds_write_b64 v5, v[4:5] offset:1552
.LBB47_153:
	s_or_b64 exec, exec, s[4:5]
	v_mov_b32_e32 v2, 0
	s_waitcnt lgkmcnt(0)
	ds_read_b64 v[4:5], v2 offset:1552
	s_waitcnt lgkmcnt(0)
	v_cmp_neq_f32_e32 vcc, 0, v4
	v_cmp_neq_f32_e64 s[2:3], 0, v5
	s_or_b64 vcc, vcc, s[2:3]
	s_or_b64 s[2:3], vcc, s[0:1]
	v_cndmask_b32_e32 v2, 1.0, v4, vcc
	s_xor_b64 s[4:5], s[2:3], -1
	v_cndmask_b32_e32 v4, 0, v5, vcc
	s_and_saveexec_b64 s[2:3], s[4:5]
	s_cbranch_execz .LBB47_157
; %bb.154:
	v_mbcnt_lo_u32_b32 v2, exec_lo, 0
	v_mbcnt_hi_u32_b32 v2, exec_hi, v2
	v_cmp_eq_u32_e32 vcc, 0, v2
	s_and_saveexec_b64 s[4:5], vcc
	s_cbranch_execz .LBB47_156
; %bb.155:
	v_mov_b32_e32 v2, 0
	v_mov_b32_e32 v4, s16
	global_atomic_smin v2, v4, s[14:15]
.LBB47_156:
	s_or_b64 exec, exec, s[4:5]
	v_mov_b32_e32 v2, 1.0
	v_mov_b32_e32 v4, 0
.LBB47_157:
	s_or_b64 exec, exec, s[2:3]
	v_cmp_lt_u32_e32 vcc, 5, v13
	s_and_saveexec_b64 s[2:3], vcc
	s_cbranch_execz .LBB47_159
; %bb.158:
	v_mul_f32_e32 v5, v4, v4
	v_fmac_f32_e32 v5, v2, v2
	v_div_scale_f32 v6, s[4:5], v5, v5, 1.0
	v_rcp_f32_e32 v7, v6
	v_mul_u32_u24_e32 v18, 0x48, v13
	ds_read2_b64 v[14:17], v18 offset0:149 offset1:221
	v_fma_f32 v10, -v6, v7, 1.0
	v_fmac_f32_e32 v7, v10, v7
	v_div_scale_f32 v10, vcc, 1.0, v5, 1.0
	v_mul_f32_e32 v11, v10, v7
	v_fma_f32 v19, -v6, v11, v10
	v_fmac_f32_e32 v11, v19, v7
	v_fma_f32 v6, -v6, v11, v10
	v_div_fmas_f32 v6, v6, v7, v11
	s_waitcnt lgkmcnt(0)
	v_pk_add_f32 v[10:11], v[14:15], v[16:17] op_sel:[1,1] op_sel_hi:[0,0] neg_lo:[0,1] neg_hi:[0,1]
	v_div_fixup_f32 v6, v6, v5, 1.0
	v_pk_mul_f32 v[4:5], v[4:5], v[10:11] op_sel:[0,1] op_sel_hi:[0,0] neg_lo:[0,1]
	v_pk_fma_f32 v[4:5], v[10:11], v[2:3], v[4:5] op_sel_hi:[1,0,1]
	v_pk_mul_f32 v[4:5], v[6:7], v[4:5] op_sel_hi:[0,1]
	v_mul_u32_u24_e32 v19, 0x48, v12
	v_mov_b32_e32 v6, v5
	v_mov_b32_e32 v7, v4
	ds_write_b64 v18, v[6:7] offset:1192
	s_waitcnt lgkmcnt(0)
	ds_read_b64 v[6:7], v19 offset:1192
	ds_read_b64 v[10:11], v9
	s_waitcnt lgkmcnt(0)
	v_pk_fma_f32 v[10:11], v[4:5], v[6:7], v[10:11] op_sel:[1,0,0] op_sel_hi:[0,0,1]
	v_pk_fma_f32 v[4:5], v[4:5], v[6:7], v[10:11] op_sel:[0,1,0] neg_hi:[0,1,0]
	ds_write_b64 v9, v[4:5]
.LBB47_159:
	s_or_b64 exec, exec, s[2:3]
	v_cmp_eq_u32_e32 vcc, 6, v13
	s_waitcnt lgkmcnt(0)
	s_and_saveexec_b64 s[4:5], vcc
	s_cbranch_execz .LBB47_167
; %bb.160:
	s_movk_i32 s2, 0x400
	v_add_u32_e64 v2, s2, 0
	ds_read2_b64 v[14:17], v2 offset0:76 offset1:148
	v_mov_b32_e32 v5, 0
	s_waitcnt lgkmcnt(0)
	v_sub_f32_e32 v2, v14, v16
	v_sub_f32_e32 v6, v15, v17
	v_cmp_gt_f32_e32 vcc, 0, v2
	v_cndmask_b32_e64 v2, v2, -v2, vcc
	v_cmp_gt_f32_e32 vcc, 0, v6
	v_cndmask_b32_e64 v4, v6, -v6, vcc
	v_cmp_gt_f32_e32 vcc, v2, v4
	s_cbranch_vccnz .LBB47_164
; %bb.161:
	v_cmp_eq_f32_e32 vcc, 0, v6
	s_cbranch_vccnz .LBB47_163
; %bb.162:
	v_div_scale_f32 v5, s[2:3], v4, v4, v2
	v_rcp_f32_e32 v6, v5
	v_div_scale_f32 v7, vcc, v2, v4, v2
	s_mov_b32 s2, 0xf800000
	v_fma_f32 v10, -v5, v6, 1.0
	v_fmac_f32_e32 v6, v10, v6
	v_mul_f32_e32 v10, v7, v6
	v_fma_f32 v11, -v5, v10, v7
	v_fmac_f32_e32 v10, v11, v6
	v_fma_f32 v5, -v5, v10, v7
	v_div_fmas_f32 v5, v5, v6, v10
	v_div_fixup_f32 v5, v5, v4, v2
	v_fma_f32 v5, v5, v5, 1.0
	v_mul_f32_e32 v6, 0x4f800000, v5
	v_cmp_gt_f32_e32 vcc, s2, v5
	v_cndmask_b32_e32 v5, v5, v6, vcc
	v_sqrt_f32_e32 v6, v5
	v_add_u32_e32 v7, -1, v6
	v_fma_f32 v10, -v7, v6, v5
	v_cmp_ge_f32_e64 s[2:3], 0, v10
	v_add_u32_e32 v10, 1, v6
	v_cndmask_b32_e64 v7, v6, v7, s[2:3]
	v_fma_f32 v6, -v10, v6, v5
	v_cmp_lt_f32_e64 s[2:3], 0, v6
	v_cndmask_b32_e64 v6, v7, v10, s[2:3]
	v_mul_f32_e32 v7, 0x37800000, v6
	v_cndmask_b32_e32 v6, v6, v7, vcc
	v_mov_b32_e32 v7, 0x260
	v_cmp_class_f32_e32 vcc, v5, v7
	v_cndmask_b32_e32 v5, v6, v5, vcc
	v_mul_f32_e32 v5, v4, v5
.LBB47_163:
	s_cbranch_execz .LBB47_165
	s_branch .LBB47_166
.LBB47_164:
                                        ; implicit-def: $vgpr5
.LBB47_165:
	v_div_scale_f32 v5, s[2:3], v2, v2, v4
	v_rcp_f32_e32 v6, v5
	v_div_scale_f32 v7, vcc, v4, v2, v4
	s_mov_b32 s2, 0xf800000
	v_fma_f32 v10, -v5, v6, 1.0
	v_fmac_f32_e32 v6, v10, v6
	v_mul_f32_e32 v10, v7, v6
	v_fma_f32 v11, -v5, v10, v7
	v_fmac_f32_e32 v10, v11, v6
	v_fma_f32 v5, -v5, v10, v7
	v_div_fmas_f32 v5, v5, v6, v10
	v_div_fixup_f32 v4, v5, v2, v4
	v_fma_f32 v4, v4, v4, 1.0
	v_mul_f32_e32 v5, 0x4f800000, v4
	v_cmp_gt_f32_e32 vcc, s2, v4
	v_cndmask_b32_e32 v4, v4, v5, vcc
	v_sqrt_f32_e32 v5, v4
	v_add_u32_e32 v6, -1, v5
	v_fma_f32 v7, -v6, v5, v4
	v_cmp_ge_f32_e64 s[2:3], 0, v7
	v_add_u32_e32 v7, 1, v5
	v_cndmask_b32_e64 v6, v5, v6, s[2:3]
	v_fma_f32 v5, -v7, v5, v4
	v_cmp_lt_f32_e64 s[2:3], 0, v5
	v_cndmask_b32_e64 v5, v6, v7, s[2:3]
	v_mul_f32_e32 v6, 0x37800000, v5
	v_cndmask_b32_e32 v5, v5, v6, vcc
	v_mov_b32_e32 v6, 0x260
	v_cmp_class_f32_e32 vcc, v4, v6
	v_cndmask_b32_e32 v4, v5, v4, vcc
	v_mul_f32_e32 v5, v2, v4
.LBB47_166:
	s_mov_b32 s2, 0xf800000
	v_mul_f32_e32 v2, 0x4f800000, v5
	v_cmp_gt_f32_e32 vcc, s2, v5
	v_cndmask_b32_e32 v2, v5, v2, vcc
	v_sqrt_f32_e32 v4, v2
	v_add_u32_e32 v5, -1, v4
	v_fma_f32 v6, -v5, v4, v2
	v_cmp_ge_f32_e64 s[2:3], 0, v6
	v_add_u32_e32 v6, 1, v4
	v_cndmask_b32_e64 v5, v4, v5, s[2:3]
	v_fma_f32 v4, -v6, v4, v2
	v_cmp_lt_f32_e64 s[2:3], 0, v4
	v_cndmask_b32_e64 v4, v5, v6, s[2:3]
	v_mul_f32_e32 v5, 0x37800000, v4
	v_cndmask_b32_e32 v4, v4, v5, vcc
	v_mov_b32_e32 v5, 0x260
	v_cmp_class_f32_e32 vcc, v2, v5
	v_cndmask_b32_e32 v4, v4, v2, vcc
	v_mov_b32_e32 v5, 0
	ds_write_b64 v5, v[4:5] offset:1632
.LBB47_167:
	s_or_b64 exec, exec, s[4:5]
	v_mov_b32_e32 v2, 0
	s_waitcnt lgkmcnt(0)
	ds_read_b64 v[4:5], v2 offset:1632
	s_waitcnt lgkmcnt(0)
	v_cmp_neq_f32_e32 vcc, 0, v4
	v_cmp_neq_f32_e64 s[2:3], 0, v5
	s_or_b64 vcc, vcc, s[2:3]
	s_or_b64 s[2:3], vcc, s[0:1]
	v_cndmask_b32_e32 v2, 1.0, v4, vcc
	s_xor_b64 s[4:5], s[2:3], -1
	v_cndmask_b32_e32 v4, 0, v5, vcc
	s_and_saveexec_b64 s[2:3], s[4:5]
	s_cbranch_execz .LBB47_171
; %bb.168:
	v_mbcnt_lo_u32_b32 v2, exec_lo, 0
	v_mbcnt_hi_u32_b32 v2, exec_hi, v2
	v_cmp_eq_u32_e32 vcc, 0, v2
	s_and_saveexec_b64 s[4:5], vcc
	s_cbranch_execz .LBB47_170
; %bb.169:
	v_mov_b32_e32 v2, 0
	v_mov_b32_e32 v4, s16
	global_atomic_smin v2, v4, s[14:15]
.LBB47_170:
	s_or_b64 exec, exec, s[4:5]
	v_mov_b32_e32 v2, 1.0
	v_mov_b32_e32 v4, 0
.LBB47_171:
	s_or_b64 exec, exec, s[2:3]
	v_cmp_lt_u32_e32 vcc, 6, v13
	s_and_saveexec_b64 s[2:3], vcc
	s_cbranch_execz .LBB47_173
; %bb.172:
	v_mul_f32_e32 v5, v4, v4
	v_fmac_f32_e32 v5, v2, v2
	v_div_scale_f32 v6, s[4:5], v5, v5, 1.0
	v_rcp_f32_e32 v7, v6
	v_mul_u32_u24_e32 v18, 0x48, v13
	ds_read2_b64 v[14:17], v18 offset0:150 offset1:222
	v_fma_f32 v10, -v6, v7, 1.0
	v_fmac_f32_e32 v7, v10, v7
	v_div_scale_f32 v10, vcc, 1.0, v5, 1.0
	v_mul_f32_e32 v11, v10, v7
	v_fma_f32 v19, -v6, v11, v10
	v_fmac_f32_e32 v11, v19, v7
	v_fma_f32 v6, -v6, v11, v10
	v_div_fmas_f32 v6, v6, v7, v11
	s_waitcnt lgkmcnt(0)
	v_pk_add_f32 v[10:11], v[14:15], v[16:17] op_sel:[1,1] op_sel_hi:[0,0] neg_lo:[0,1] neg_hi:[0,1]
	v_div_fixup_f32 v6, v6, v5, 1.0
	v_pk_mul_f32 v[4:5], v[4:5], v[10:11] op_sel:[0,1] op_sel_hi:[0,0] neg_lo:[0,1]
	v_pk_fma_f32 v[4:5], v[10:11], v[2:3], v[4:5] op_sel_hi:[1,0,1]
	v_pk_mul_f32 v[4:5], v[6:7], v[4:5] op_sel_hi:[0,1]
	v_mul_u32_u24_e32 v19, 0x48, v12
	v_mov_b32_e32 v6, v5
	v_mov_b32_e32 v7, v4
	ds_write_b64 v18, v[6:7] offset:1200
	s_waitcnt lgkmcnt(0)
	ds_read_b64 v[6:7], v19 offset:1200
	ds_read_b64 v[10:11], v9
	s_waitcnt lgkmcnt(0)
	v_pk_fma_f32 v[10:11], v[4:5], v[6:7], v[10:11] op_sel:[1,0,0] op_sel_hi:[0,0,1]
	v_pk_fma_f32 v[4:5], v[4:5], v[6:7], v[10:11] op_sel:[0,1,0] neg_hi:[0,1,0]
	ds_write_b64 v9, v[4:5]
.LBB47_173:
	s_or_b64 exec, exec, s[2:3]
	v_cmp_eq_u32_e32 vcc, 7, v13
	s_waitcnt lgkmcnt(0)
	s_and_saveexec_b64 s[4:5], vcc
	s_cbranch_execz .LBB47_181
; %bb.174:
	s_movk_i32 s2, 0x400
	v_add_u32_e64 v2, s2, 0
	ds_read2_b64 v[14:17], v2 offset0:86 offset1:158
	v_mov_b32_e32 v5, 0
	s_waitcnt lgkmcnt(0)
	v_sub_f32_e32 v2, v14, v16
	v_sub_f32_e32 v6, v15, v17
	v_cmp_gt_f32_e32 vcc, 0, v2
	v_cndmask_b32_e64 v2, v2, -v2, vcc
	v_cmp_gt_f32_e32 vcc, 0, v6
	v_cndmask_b32_e64 v4, v6, -v6, vcc
	v_cmp_gt_f32_e32 vcc, v2, v4
	s_cbranch_vccnz .LBB47_178
; %bb.175:
	v_cmp_eq_f32_e32 vcc, 0, v6
	s_cbranch_vccnz .LBB47_177
; %bb.176:
	v_div_scale_f32 v5, s[2:3], v4, v4, v2
	v_rcp_f32_e32 v6, v5
	v_div_scale_f32 v7, vcc, v2, v4, v2
	s_mov_b32 s2, 0xf800000
	v_fma_f32 v10, -v5, v6, 1.0
	v_fmac_f32_e32 v6, v10, v6
	v_mul_f32_e32 v10, v7, v6
	v_fma_f32 v11, -v5, v10, v7
	v_fmac_f32_e32 v10, v11, v6
	v_fma_f32 v5, -v5, v10, v7
	v_div_fmas_f32 v5, v5, v6, v10
	v_div_fixup_f32 v5, v5, v4, v2
	v_fma_f32 v5, v5, v5, 1.0
	v_mul_f32_e32 v6, 0x4f800000, v5
	v_cmp_gt_f32_e32 vcc, s2, v5
	v_cndmask_b32_e32 v5, v5, v6, vcc
	v_sqrt_f32_e32 v6, v5
	v_add_u32_e32 v7, -1, v6
	v_fma_f32 v10, -v7, v6, v5
	v_cmp_ge_f32_e64 s[2:3], 0, v10
	v_add_u32_e32 v10, 1, v6
	v_cndmask_b32_e64 v7, v6, v7, s[2:3]
	v_fma_f32 v6, -v10, v6, v5
	v_cmp_lt_f32_e64 s[2:3], 0, v6
	v_cndmask_b32_e64 v6, v7, v10, s[2:3]
	v_mul_f32_e32 v7, 0x37800000, v6
	v_cndmask_b32_e32 v6, v6, v7, vcc
	v_mov_b32_e32 v7, 0x260
	v_cmp_class_f32_e32 vcc, v5, v7
	v_cndmask_b32_e32 v5, v6, v5, vcc
	v_mul_f32_e32 v5, v4, v5
.LBB47_177:
	s_cbranch_execz .LBB47_179
	s_branch .LBB47_180
.LBB47_178:
                                        ; implicit-def: $vgpr5
.LBB47_179:
	v_div_scale_f32 v5, s[2:3], v2, v2, v4
	v_rcp_f32_e32 v6, v5
	v_div_scale_f32 v7, vcc, v4, v2, v4
	s_mov_b32 s2, 0xf800000
	v_fma_f32 v10, -v5, v6, 1.0
	v_fmac_f32_e32 v6, v10, v6
	v_mul_f32_e32 v10, v7, v6
	v_fma_f32 v11, -v5, v10, v7
	v_fmac_f32_e32 v10, v11, v6
	v_fma_f32 v5, -v5, v10, v7
	v_div_fmas_f32 v5, v5, v6, v10
	v_div_fixup_f32 v4, v5, v2, v4
	v_fma_f32 v4, v4, v4, 1.0
	v_mul_f32_e32 v5, 0x4f800000, v4
	v_cmp_gt_f32_e32 vcc, s2, v4
	v_cndmask_b32_e32 v4, v4, v5, vcc
	v_sqrt_f32_e32 v5, v4
	v_add_u32_e32 v6, -1, v5
	v_fma_f32 v7, -v6, v5, v4
	v_cmp_ge_f32_e64 s[2:3], 0, v7
	v_add_u32_e32 v7, 1, v5
	v_cndmask_b32_e64 v6, v5, v6, s[2:3]
	v_fma_f32 v5, -v7, v5, v4
	v_cmp_lt_f32_e64 s[2:3], 0, v5
	v_cndmask_b32_e64 v5, v6, v7, s[2:3]
	v_mul_f32_e32 v6, 0x37800000, v5
	v_cndmask_b32_e32 v5, v5, v6, vcc
	v_mov_b32_e32 v6, 0x260
	v_cmp_class_f32_e32 vcc, v4, v6
	v_cndmask_b32_e32 v4, v5, v4, vcc
	v_mul_f32_e32 v5, v2, v4
.LBB47_180:
	s_mov_b32 s2, 0xf800000
	v_mul_f32_e32 v2, 0x4f800000, v5
	v_cmp_gt_f32_e32 vcc, s2, v5
	v_cndmask_b32_e32 v2, v5, v2, vcc
	v_sqrt_f32_e32 v4, v2
	v_add_u32_e32 v5, -1, v4
	v_fma_f32 v6, -v5, v4, v2
	v_cmp_ge_f32_e64 s[2:3], 0, v6
	v_add_u32_e32 v6, 1, v4
	v_cndmask_b32_e64 v5, v4, v5, s[2:3]
	v_fma_f32 v4, -v6, v4, v2
	v_cmp_lt_f32_e64 s[2:3], 0, v4
	v_cndmask_b32_e64 v4, v5, v6, s[2:3]
	v_mul_f32_e32 v5, 0x37800000, v4
	v_cndmask_b32_e32 v4, v4, v5, vcc
	v_mov_b32_e32 v5, 0x260
	v_cmp_class_f32_e32 vcc, v2, v5
	v_cndmask_b32_e32 v4, v4, v2, vcc
	v_mov_b32_e32 v5, 0
	ds_write_b64 v5, v[4:5] offset:1712
.LBB47_181:
	s_or_b64 exec, exec, s[4:5]
	v_mov_b32_e32 v2, 0
	s_waitcnt lgkmcnt(0)
	ds_read_b64 v[4:5], v2 offset:1712
	s_waitcnt lgkmcnt(0)
	v_cmp_neq_f32_e32 vcc, 0, v4
	v_cmp_neq_f32_e64 s[2:3], 0, v5
	s_or_b64 vcc, vcc, s[2:3]
	s_or_b64 s[0:1], vcc, s[0:1]
	v_cndmask_b32_e32 v2, 1.0, v4, vcc
	s_xor_b64 s[2:3], s[0:1], -1
	v_cndmask_b32_e32 v4, 0, v5, vcc
	s_and_saveexec_b64 s[0:1], s[2:3]
	s_cbranch_execz .LBB47_185
; %bb.182:
	v_mbcnt_lo_u32_b32 v2, exec_lo, 0
	v_mbcnt_hi_u32_b32 v2, exec_hi, v2
	v_cmp_eq_u32_e32 vcc, 0, v2
	s_and_saveexec_b64 s[2:3], vcc
	s_cbranch_execz .LBB47_184
; %bb.183:
	v_mov_b32_e32 v2, 0
	v_mov_b32_e32 v4, s16
	global_atomic_smin v2, v4, s[14:15]
.LBB47_184:
	s_or_b64 exec, exec, s[2:3]
	v_mov_b32_e32 v2, 1.0
	v_mov_b32_e32 v4, 0
.LBB47_185:
	s_or_b64 exec, exec, s[0:1]
	v_cmp_lt_u32_e32 vcc, 7, v13
	s_and_saveexec_b64 s[0:1], vcc
	s_cbranch_execz .LBB47_187
; %bb.186:
	v_mul_f32_e32 v5, v4, v4
	v_fmac_f32_e32 v5, v2, v2
	v_div_scale_f32 v6, s[2:3], v5, v5, 1.0
	v_rcp_f32_e32 v7, v6
	v_mul_u32_u24_e32 v18, 0x48, v13
	ds_read2_b64 v[14:17], v18 offset0:151 offset1:223
	v_fma_f32 v10, -v6, v7, 1.0
	v_fmac_f32_e32 v7, v10, v7
	v_div_scale_f32 v10, vcc, 1.0, v5, 1.0
	v_mul_f32_e32 v11, v10, v7
	v_fma_f32 v19, -v6, v11, v10
	v_fmac_f32_e32 v11, v19, v7
	v_fma_f32 v6, -v6, v11, v10
	v_div_fmas_f32 v6, v6, v7, v11
	s_waitcnt lgkmcnt(0)
	v_pk_add_f32 v[10:11], v[14:15], v[16:17] op_sel:[1,1] op_sel_hi:[0,0] neg_lo:[0,1] neg_hi:[0,1]
	v_div_fixup_f32 v6, v6, v5, 1.0
	v_pk_mul_f32 v[4:5], v[4:5], v[10:11] op_sel:[0,1] op_sel_hi:[0,0] neg_lo:[0,1]
	v_pk_fma_f32 v[4:5], v[10:11], v[2:3], v[4:5] op_sel_hi:[1,0,1]
	v_pk_mul_f32 v[4:5], v[6:7], v[4:5] op_sel_hi:[0,1]
	v_mul_u32_u24_e32 v19, 0x48, v12
	v_mov_b32_e32 v6, v5
	v_mov_b32_e32 v7, v4
	ds_write_b64 v18, v[6:7] offset:1208
	s_waitcnt lgkmcnt(0)
	ds_read_b64 v[6:7], v19 offset:1208
	ds_read_b64 v[10:11], v9
	s_waitcnt lgkmcnt(0)
	v_pk_fma_f32 v[10:11], v[4:5], v[6:7], v[10:11] op_sel:[1,0,0] op_sel_hi:[0,0,1]
	v_pk_fma_f32 v[4:5], v[4:5], v[6:7], v[10:11] op_sel:[0,1,0] neg_hi:[0,1,0]
	ds_write_b64 v9, v[4:5]
.LBB47_187:
	s_or_b64 exec, exec, s[0:1]
	s_waitcnt lgkmcnt(0)
	ds_read_b64 v[2:3], v3
	v_cmp_eq_u32_e64 s[0:1], 0, v8
	s_waitcnt lgkmcnt(0)
	global_store_dwordx2 v[0:1], v[2:3], off
	s_branch .LBB47_193
.LBB47_188:
	v_or_b32_e32 v0, v12, v13
	v_cmp_eq_u32_e32 vcc, 0, v0
	s_and_saveexec_b64 s[2:3], vcc
	s_cbranch_execz .LBB47_192
; %bb.189:
	v_mbcnt_lo_u32_b32 v0, exec_lo, 0
	v_mbcnt_hi_u32_b32 v0, exec_hi, v0
	v_cmp_eq_u32_e32 vcc, 0, v0
	s_and_saveexec_b64 s[4:5], vcc
	s_cbranch_execz .LBB47_191
; %bb.190:
	s_add_i32 s8, s12, s13
	v_mov_b32_e32 v0, 0
	v_mov_b32_e32 v1, s8
	global_atomic_smin v0, v1, s[14:15]
.LBB47_191:
	s_or_b64 exec, exec, s[4:5]
	s_or_b64 s[0:1], s[0:1], exec
.LBB47_192:
	s_or_b64 exec, exec, s[2:3]
.LBB47_193:
	s_and_saveexec_b64 s[2:3], s[0:1]
	s_cbranch_execnz .LBB47_195
; %bb.194:
	s_endpgm
.LBB47_195:
	s_add_u32 s0, s10, s6
	s_addc_u32 s1, s11, s7
	v_mov_b32_e32 v0, 0
	v_mov_b32_e32 v1, 1
	s_waitcnt vmcnt(0)
	global_store_dword v0, v1, s[0:1]
	s_endpgm
	.section	.rodata,"a",@progbits
	.p2align	6, 0x0
	.amdhsa_kernel _ZN9rocsparseL26bsric0_2_8_unrolled_kernelILi64ELi32ELi8E21rocsparse_complex_numIfEEEv20rocsparse_direction_iiPKiS5_PT2_S5_PiS5_S8_21rocsparse_index_base_
		.amdhsa_group_segment_fixed_size 2688
		.amdhsa_private_segment_fixed_size 0
		.amdhsa_kernarg_size 76
		.amdhsa_user_sgpr_count 6
		.amdhsa_user_sgpr_private_segment_buffer 1
		.amdhsa_user_sgpr_dispatch_ptr 0
		.amdhsa_user_sgpr_queue_ptr 0
		.amdhsa_user_sgpr_kernarg_segment_ptr 1
		.amdhsa_user_sgpr_dispatch_id 0
		.amdhsa_user_sgpr_flat_scratch_init 0
		.amdhsa_user_sgpr_kernarg_preload_length 0
		.amdhsa_user_sgpr_kernarg_preload_offset 0
		.amdhsa_user_sgpr_private_segment_size 0
		.amdhsa_uses_dynamic_stack 0
		.amdhsa_system_sgpr_private_segment_wavefront_offset 0
		.amdhsa_system_sgpr_workgroup_id_x 1
		.amdhsa_system_sgpr_workgroup_id_y 0
		.amdhsa_system_sgpr_workgroup_id_z 0
		.amdhsa_system_sgpr_workgroup_info 0
		.amdhsa_system_vgpr_workitem_id 1
		.amdhsa_next_free_vgpr 72
		.amdhsa_next_free_sgpr 40
		.amdhsa_accum_offset 72
		.amdhsa_reserve_vcc 1
		.amdhsa_reserve_flat_scratch 0
		.amdhsa_float_round_mode_32 0
		.amdhsa_float_round_mode_16_64 0
		.amdhsa_float_denorm_mode_32 3
		.amdhsa_float_denorm_mode_16_64 3
		.amdhsa_dx10_clamp 1
		.amdhsa_ieee_mode 1
		.amdhsa_fp16_overflow 0
		.amdhsa_tg_split 0
		.amdhsa_exception_fp_ieee_invalid_op 0
		.amdhsa_exception_fp_denorm_src 0
		.amdhsa_exception_fp_ieee_div_zero 0
		.amdhsa_exception_fp_ieee_overflow 0
		.amdhsa_exception_fp_ieee_underflow 0
		.amdhsa_exception_fp_ieee_inexact 0
		.amdhsa_exception_int_div_zero 0
	.end_amdhsa_kernel
	.section	.text._ZN9rocsparseL26bsric0_2_8_unrolled_kernelILi64ELi32ELi8E21rocsparse_complex_numIfEEEv20rocsparse_direction_iiPKiS5_PT2_S5_PiS5_S8_21rocsparse_index_base_,"axG",@progbits,_ZN9rocsparseL26bsric0_2_8_unrolled_kernelILi64ELi32ELi8E21rocsparse_complex_numIfEEEv20rocsparse_direction_iiPKiS5_PT2_S5_PiS5_S8_21rocsparse_index_base_,comdat
.Lfunc_end47:
	.size	_ZN9rocsparseL26bsric0_2_8_unrolled_kernelILi64ELi32ELi8E21rocsparse_complex_numIfEEEv20rocsparse_direction_iiPKiS5_PT2_S5_PiS5_S8_21rocsparse_index_base_, .Lfunc_end47-_ZN9rocsparseL26bsric0_2_8_unrolled_kernelILi64ELi32ELi8E21rocsparse_complex_numIfEEEv20rocsparse_direction_iiPKiS5_PT2_S5_PiS5_S8_21rocsparse_index_base_
                                        ; -- End function
	.section	.AMDGPU.csdata,"",@progbits
; Kernel info:
; codeLenInByte = 14784
; NumSgprs: 44
; NumVgprs: 72
; NumAgprs: 0
; TotalNumVgprs: 72
; ScratchSize: 0
; MemoryBound: 0
; FloatMode: 240
; IeeeMode: 1
; LDSByteSize: 2688 bytes/workgroup (compile time only)
; SGPRBlocks: 5
; VGPRBlocks: 8
; NumSGPRsForWavesPerEU: 44
; NumVGPRsForWavesPerEU: 72
; AccumOffset: 72
; Occupancy: 6
; WaveLimiterHint : 1
; COMPUTE_PGM_RSRC2:SCRATCH_EN: 0
; COMPUTE_PGM_RSRC2:USER_SGPR: 6
; COMPUTE_PGM_RSRC2:TRAP_HANDLER: 0
; COMPUTE_PGM_RSRC2:TGID_X_EN: 1
; COMPUTE_PGM_RSRC2:TGID_Y_EN: 0
; COMPUTE_PGM_RSRC2:TGID_Z_EN: 0
; COMPUTE_PGM_RSRC2:TIDIG_COMP_CNT: 1
; COMPUTE_PGM_RSRC3_GFX90A:ACCUM_OFFSET: 17
; COMPUTE_PGM_RSRC3_GFX90A:TG_SPLIT: 0
	.section	.text._ZN9rocsparseL18bsric0_9_16_kernelILi64ELi32ELi16E21rocsparse_complex_numIfEEEv20rocsparse_direction_iiPKiS5_PT2_S5_PiS5_S8_21rocsparse_index_base_,"axG",@progbits,_ZN9rocsparseL18bsric0_9_16_kernelILi64ELi32ELi16E21rocsparse_complex_numIfEEEv20rocsparse_direction_iiPKiS5_PT2_S5_PiS5_S8_21rocsparse_index_base_,comdat
	.globl	_ZN9rocsparseL18bsric0_9_16_kernelILi64ELi32ELi16E21rocsparse_complex_numIfEEEv20rocsparse_direction_iiPKiS5_PT2_S5_PiS5_S8_21rocsparse_index_base_ ; -- Begin function _ZN9rocsparseL18bsric0_9_16_kernelILi64ELi32ELi16E21rocsparse_complex_numIfEEEv20rocsparse_direction_iiPKiS5_PT2_S5_PiS5_S8_21rocsparse_index_base_
	.p2align	8
	.type	_ZN9rocsparseL18bsric0_9_16_kernelILi64ELi32ELi16E21rocsparse_complex_numIfEEEv20rocsparse_direction_iiPKiS5_PT2_S5_PiS5_S8_21rocsparse_index_base_,@function
_ZN9rocsparseL18bsric0_9_16_kernelILi64ELi32ELi16E21rocsparse_complex_numIfEEEv20rocsparse_direction_iiPKiS5_PT2_S5_PiS5_S8_21rocsparse_index_base_: ; @_ZN9rocsparseL18bsric0_9_16_kernelILi64ELi32ELi16E21rocsparse_complex_numIfEEEv20rocsparse_direction_iiPKiS5_PT2_S5_PiS5_S8_21rocsparse_index_base_
; %bb.0:
	s_load_dwordx8 s[16:23], s[4:5], 0x28
	s_mov_b32 s7, 0
	s_lshl_b64 s[0:1], s[6:7], 2
	v_and_b32_e32 v1, 0x3ff, v0
	v_bfe_u32 v0, v0, 10, 10
	s_waitcnt lgkmcnt(0)
	s_add_u32 s0, s20, s0
	s_addc_u32 s1, s21, s1
	s_load_dword s20, s[0:1], 0x0
	s_waitcnt lgkmcnt(0)
	s_ashr_i32 s21, s20, 31
	s_lshl_b64 s[14:15], s[20:21], 2
	s_add_u32 s0, s16, s14
	s_addc_u32 s1, s17, s15
	s_load_dword s33, s[0:1], 0x0
	s_load_dword s21, s[4:5], 0x48
	s_waitcnt lgkmcnt(0)
	s_cmp_lg_u32 s33, -1
	s_cbranch_scc0 .LBB48_197
; %bb.1:
	s_load_dwordx4 s[24:27], s[4:5], 0x10
	v_lshlrev_b32_e32 v3, 2, v0
	v_add_u32_e32 v4, v3, v1
	s_waitcnt lgkmcnt(0)
	s_add_u32 s0, s24, s14
	s_addc_u32 s1, s25, s15
	s_load_dword s28, s[0:1], 0x0
	s_waitcnt lgkmcnt(0)
	s_sub_i32 s56, s28, s21
	v_add_u32_e32 v2, s56, v4
	v_cmp_ge_i32_e32 vcc, s33, v2
	s_and_saveexec_b64 s[2:3], vcc
	s_cbranch_execz .LBB48_16
; %bb.2:
	v_add_u32_e32 v4, s28, v4
	v_subrev_u32_e32 v4, s21, v4
	v_add_u32_e32 v4, 64, v4
	s_add_i32 s0, s33, 1
	v_max_i32_e32 v4, s0, v4
	v_not_b32_e32 v5, v1
	v_add3_u32 v4, v4, s21, v5
	v_add_u32_e32 v3, s28, v3
	v_sub_u32_e32 v3, v4, v3
	s_movk_i32 s0, 0x640
	v_cmp_gt_u32_e32 vcc, s0, v3
	s_movk_i32 s0, 0x63f
	v_cmp_lt_u32_e64 s[0:1], s0, v3
	s_and_saveexec_b64 s[6:7], s[0:1]
	s_cbranch_execz .LBB48_13
; %bb.3:
	v_and_b32_e32 v4, 0xffffffc0, v3
	v_add_u32_e32 v4, v2, v4
	v_cmp_ge_i32_e64 s[0:1], v4, v2
	s_mov_b64 s[10:11], -1
	s_and_saveexec_b64 s[8:9], s[0:1]
	s_cbranch_execz .LBB48_12
; %bb.4:
	v_lshrrev_b32_e32 v14, 6, v3
	v_add_u32_e32 v4, -1, v14
	v_add_u32_e32 v3, 64, v2
	v_lshrrev_b32_e32 v5, 1, v4
	v_add_u32_e32 v15, 1, v5
	v_cmp_lt_u32_e64 s[0:1], 13, v4
	v_pk_mov_b32 v[4:5], v[2:3], v[2:3] op_sel:[0,1]
	s_and_saveexec_b64 s[10:11], s[0:1]
	s_cbranch_execz .LBB48_8
; %bb.5:
	v_and_b32_e32 v16, -8, v15
	s_mov_b64 s[12:13], 0
	v_mov_b32_e32 v17, s27
	v_pk_mov_b32 v[4:5], v[2:3], v[2:3] op_sel:[0,1]
.LBB48_6:                               ; =>This Inner Loop Header: Depth=1
	v_ashrrev_i32_e32 v21, 31, v4
	v_mov_b32_e32 v20, v4
	v_lshlrev_b64 v[20:21], 2, v[20:21]
	v_ashrrev_i32_e32 v19, 31, v5
	v_mov_b32_e32 v18, v5
	v_add_co_u32_e64 v20, s[0:1], s26, v20
	v_add_u32_e32 v6, 0x80, v4
	v_lshlrev_b64 v[18:19], 2, v[18:19]
	v_addc_co_u32_e64 v21, s[0:1], v17, v21, s[0:1]
	v_ashrrev_i32_e32 v7, 31, v6
	v_add_co_u32_e64 v18, s[0:1], s26, v18
	v_add_u32_e32 v8, 0x80, v5
	v_addc_co_u32_e64 v19, s[0:1], v17, v19, s[0:1]
	v_lshlrev_b64 v[42:43], 2, v[6:7]
	v_ashrrev_i32_e32 v9, 31, v8
	global_load_dword v3, v[20:21], off
	global_load_dword v7, v[18:19], off
	v_add_co_u32_e64 v18, s[0:1], s26, v42
	v_add_u32_e32 v10, 0x100, v4
	v_lshlrev_b64 v[44:45], 2, v[8:9]
	v_addc_co_u32_e64 v19, s[0:1], v17, v43, s[0:1]
	v_ashrrev_i32_e32 v11, 31, v10
	v_add_co_u32_e64 v20, s[0:1], s26, v44
	v_add_u32_e32 v12, 0x100, v5
	v_lshlrev_b64 v[46:47], 2, v[10:11]
	v_addc_co_u32_e64 v21, s[0:1], v17, v45, s[0:1]
	v_ashrrev_i32_e32 v13, 31, v12
	;; [unrolled: 5-line block ×12, first 2 shown]
	v_add_co_u32_e64 v62, s[0:1], s26, v66
	v_lshlrev_b64 v[68:69], 2, v[40:41]
	v_addc_co_u32_e64 v63, s[0:1], v17, v67, s[0:1]
	v_add_co_u32_e64 v64, s[0:1], s26, v68
	v_addc_co_u32_e64 v65, s[0:1], v17, v69, s[0:1]
	global_load_dword v9, v[20:21], off
	global_load_dword v11, v[18:19], off
	;; [unrolled: 1-line block ×14, first 2 shown]
	v_subrev_u32_e32 v19, s56, v4
	v_add_u32_e32 v16, -8, v16
	v_subrev_u32_e32 v18, s56, v5
	v_lshlrev_b32_e32 v19, 2, v19
	v_subrev_u32_e32 v6, s56, v6
	v_cmp_eq_u32_e64 s[0:1], 0, v16
	s_waitcnt vmcnt(14)
	v_subrev_u32_e32 v7, s21, v7
	v_subrev_u32_e32 v3, s21, v3
	v_add_u32_e32 v5, 0x400, v5
	v_add_u32_e32 v4, 0x400, v4
	v_lshlrev_b32_e32 v18, 2, v18
	v_subrev_u32_e32 v8, s56, v8
	v_subrev_u32_e32 v12, s56, v12
	;; [unrolled: 1-line block ×13, first 2 shown]
	v_lshlrev_b32_e32 v6, 2, v6
	s_or_b64 s[12:13], s[0:1], s[12:13]
	ds_write_b32 v19, v3 offset:8960
	ds_write_b32 v18, v7 offset:8960
	v_lshlrev_b32_e32 v8, 2, v8
	v_lshlrev_b32_e32 v10, 2, v10
	;; [unrolled: 1-line block ×13, first 2 shown]
	s_waitcnt vmcnt(13)
	v_subrev_u32_e32 v3, s21, v9
	s_waitcnt vmcnt(12)
	v_subrev_u32_e32 v7, s21, v11
	;; [unrolled: 2-line block ×14, first 2 shown]
	ds_write_b32 v6, v7 offset:8960
	ds_write_b32 v8, v3 offset:8960
	;; [unrolled: 1-line block ×14, first 2 shown]
	s_andn2_b64 exec, exec, s[12:13]
	s_cbranch_execnz .LBB48_6
; %bb.7:
	s_or_b64 exec, exec, s[12:13]
.LBB48_8:
	s_or_b64 exec, exec, s[10:11]
	v_and_b32_e32 v3, 7, v15
	v_cmp_ne_u32_e64 s[0:1], 0, v3
	s_and_saveexec_b64 s[10:11], s[0:1]
	s_cbranch_execz .LBB48_11
; %bb.9:
	s_mov_b64 s[12:13], 0
	v_mov_b32_e32 v6, s27
.LBB48_10:                              ; =>This Inner Loop Header: Depth=1
	v_ashrrev_i32_e32 v11, 31, v4
	v_mov_b32_e32 v10, v4
	v_lshlrev_b64 v[10:11], 2, v[10:11]
	v_ashrrev_i32_e32 v9, 31, v5
	v_mov_b32_e32 v8, v5
	v_add_co_u32_e64 v10, s[0:1], s26, v10
	v_lshlrev_b64 v[8:9], 2, v[8:9]
	v_addc_co_u32_e64 v11, s[0:1], v6, v11, s[0:1]
	v_add_co_u32_e64 v8, s[0:1], s26, v8
	v_addc_co_u32_e64 v9, s[0:1], v6, v9, s[0:1]
	global_load_dword v7, v[8:9], off
	global_load_dword v12, v[10:11], off
	v_add_u32_e32 v3, -1, v3
	v_subrev_u32_e32 v9, s56, v4
	v_cmp_eq_u32_e64 s[0:1], 0, v3
	v_subrev_u32_e32 v8, s56, v5
	v_add_u32_e32 v5, 0x80, v5
	v_add_u32_e32 v4, 0x80, v4
	v_lshlrev_b32_e32 v9, 2, v9
	s_or_b64 s[12:13], s[0:1], s[12:13]
	v_lshlrev_b32_e32 v8, 2, v8
	s_waitcnt vmcnt(1)
	v_subrev_u32_e32 v7, s21, v7
	s_waitcnt vmcnt(0)
	v_subrev_u32_e32 v10, s21, v12
	ds_write_b32 v9, v10 offset:8960
	ds_write_b32 v8, v7 offset:8960
	s_andn2_b64 exec, exec, s[12:13]
	s_cbranch_execnz .LBB48_10
.LBB48_11:
	s_or_b64 exec, exec, s[10:11]
	v_add_u32_e32 v3, 1, v14
	v_and_b32_e32 v4, 0x7fffffe, v3
	v_cmp_ne_u32_e64 s[0:1], v3, v4
	v_lshl_add_u32 v2, v4, 6, v2
	s_orn2_b64 s[10:11], s[0:1], exec
.LBB48_12:
	s_or_b64 exec, exec, s[8:9]
	s_andn2_b64 s[0:1], vcc, exec
	s_and_b64 s[8:9], s[10:11], exec
	s_or_b64 vcc, s[0:1], s[8:9]
.LBB48_13:
	s_or_b64 exec, exec, s[6:7]
	s_and_b64 exec, exec, vcc
	s_cbranch_execz .LBB48_16
; %bb.14:
	v_add_u32_e32 v3, s21, v2
	v_subrev_u32_e32 v3, s28, v3
	v_mov_b32_e32 v4, 0x2300
	v_lshl_add_u32 v4, v3, 2, v4
	s_mov_b64 s[0:1], 0
	v_mov_b32_e32 v5, s27
.LBB48_15:                              ; =>This Inner Loop Header: Depth=1
	v_ashrrev_i32_e32 v3, 31, v2
	v_lshlrev_b64 v[6:7], 2, v[2:3]
	v_add_co_u32_e32 v6, vcc, s26, v6
	v_addc_co_u32_e32 v7, vcc, v5, v7, vcc
	global_load_dword v3, v[6:7], off
	v_add_u32_e32 v2, 64, v2
	v_cmp_lt_i32_e32 vcc, s33, v2
	s_or_b64 s[0:1], vcc, s[0:1]
	s_waitcnt vmcnt(0)
	v_subrev_u32_e32 v3, s21, v3
	ds_write_b32 v4, v3
	v_add_u32_e32 v4, 0x100, v4
	s_andn2_b64 exec, exec, s[0:1]
	s_cbranch_execnz .LBB48_15
.LBB48_16:
	s_or_b64 exec, exec, s[2:3]
	s_load_dwordx2 s[28:29], s[4:5], 0x20
	v_cmp_gt_u32_e32 vcc, 16, v1
	v_lshlrev_b32_e32 v15, 3, v1
	s_and_saveexec_b64 s[0:1], vcc
	s_cbranch_execz .LBB48_19
; %bb.17:
	v_mul_u32_u24_e32 v2, 0x88, v0
	v_lshlrev_b32_e32 v3, 3, v1
	s_movk_i32 s2, 0x1980
	v_add3_u32 v5, v2, v3, s2
	v_mov_b32_e32 v2, 0
	v_add_u32_e32 v4, -4, v1
	s_mov_b64 s[2:3], 0
	v_mov_b32_e32 v3, v2
.LBB48_18:                              ; =>This Inner Loop Header: Depth=1
	v_add_u32_e32 v4, 4, v4
	v_cmp_lt_u32_e32 vcc, 11, v4
	ds_write_b64 v5, v[2:3]
	s_or_b64 s[2:3], vcc, s[2:3]
	v_add_u32_e32 v5, 32, v5
	s_andn2_b64 exec, exec, s[2:3]
	s_cbranch_execnz .LBB48_18
.LBB48_19:
	s_or_b64 exec, exec, s[0:1]
	s_load_dword s54, s[4:5], 0x8
	s_load_dword s55, s[4:5], 0x0
	s_cmp_ge_i32 s56, s33
	s_waitcnt lgkmcnt(0)
	v_cmp_gt_i32_e64 s[0:1], s54, v1
	v_xad_u32 v16, v1, -1, s54
	s_cbranch_scc1 .LBB48_140
; %bb.20:
	v_lshlrev_b32_e32 v18, 3, v1
	s_movk_i32 s58, 0x88
	v_or_b32_e32 v2, v1, v0
	v_mad_u32_u24 v19, v0, s58, v18
	v_cmp_ne_u32_e64 s[4:5], 0, v2
	v_lshrrev_b32_e32 v2, 2, v16
	v_add_u32_e32 v20, 0x1980, v19
	v_add_u32_e32 v4, 1, v2
	v_lshl_add_u32 v2, v2, 5, v20
	s_cmp_lg_u32 s55, 0
	v_add_u32_e32 v3, 0x1984, v19
	s_movk_i32 s6, 0x53
	v_or_b32_e32 v5, 4, v2
	s_cselect_b64 s[34:35], -1, 0
	s_cmp_gt_i32 s54, 0
	v_cmp_lt_u32_e32 vcc, s6, v16
	v_cmp_lt_u32_e64 s[6:7], v5, v3
	s_brev_b32 s8, -8
	v_cmp_lt_u32_e64 s[10:11], v2, v20
	v_cmp_lt_u32_e64 s[8:9], s8, v16
	s_cselect_b64 s[36:37], -1, 0
	s_or_b64 s[6:7], s[10:11], s[6:7]
	s_or_b64 s[6:7], s[6:7], s[8:9]
	s_xor_b64 s[12:13], s[6:7], -1
	s_and_b64 s[38:39], vcc, s[12:13]
	s_mul_i32 s12, s54, s56
	v_add_u32_e32 v3, s12, v0
	v_and_b32_e32 v21, 0x7ffffffe, v4
	v_mul_lo_u32 v25, s54, v3
	v_mov_b32_e32 v3, 0x1100
	v_lshl_add_u32 v22, v21, 2, v1
	v_and_b32_e32 v2, 3, v4
	v_mad_u32_u24 v26, v0, s58, v3
	v_mad_u32_u24 v28, v1, s58, v3
	v_mov_b32_e32 v3, 0x1980
	s_mov_b32 s30, 0
	v_cmp_gt_i32_e64 s[2:3], s54, v0
	s_mul_i32 s57, s54, s54
	v_mul_lo_u32 v17, v0, s54
	v_cmp_ne_u32_e64 s[6:7], v4, v21
	v_cmp_ne_u32_e64 s[8:9], 0, v2
	v_cmp_lt_u32_e64 s[10:11], 11, v16
	v_add_u32_e32 v23, 0x880, v19
	v_mul_lo_u32 v24, v1, s54
	s_lshl_b32 s59, s54, 2
	v_mul_u32_u24_e32 v27, 0x88, v1
	v_mad_u32_u24 v29, v0, s58, v3
	v_add_u32_e32 v30, 0x1100, v19
	v_lshlrev_b32_e32 v31, 3, v2
	v_mov_b32_e32 v2, 0
	v_mul_u32_u24_e32 v32, 0x88, v0
	v_mul_lo_u32 v33, v22, s58
	v_lshlrev_b32_e32 v34, 3, v22
	v_cndmask_b32_e64 v35, 0, 1, s[34:35]
	s_mov_b32 s40, s56
	s_branch .LBB48_22
.LBB48_21:                              ;   in Loop: Header=BB48_22 Depth=1
	s_or_b64 exec, exec, s[42:43]
	s_add_i32 s40, s40, 1
	s_cmp_ge_i32 s40, s33
	s_waitcnt vmcnt(0)
	buffer_wbinvl1_vol
	v_add_u32_e32 v25, s57, v25
	s_cselect_b64 s[12:13], -1, 0
	s_and_b64 vcc, exec, s[12:13]
	s_cbranch_vccnz .LBB48_140
.LBB48_22:                              ; =>This Loop Header: Depth=1
                                        ;     Child Loop BB48_26 Depth 2
                                        ;     Child Loop BB48_39 Depth 2
	;; [unrolled: 1-line block ×5, first 2 shown]
                                        ;       Child Loop BB48_71 Depth 3
                                        ;     Child Loop BB48_84 Depth 2
                                        ;       Child Loop BB48_90 Depth 3
                                        ;       Child Loop BB48_94 Depth 3
	;; [unrolled: 1-line block ×3, first 2 shown]
                                        ;     Child Loop BB48_106 Depth 2
                                        ;     Child Loop BB48_117 Depth 2
	s_ashr_i32 s41, s40, 31
	s_lshl_b64 s[12:13], s[40:41], 2
	s_add_u32 s12, s26, s12
	s_addc_u32 s13, s27, s13
	s_load_dword s60, s[12:13], 0x0
	s_waitcnt lgkmcnt(0)
	s_sub_i32 s42, s60, s21
	s_ashr_i32 s43, s42, 31
	s_lshl_b64 s[12:13], s[42:43], 2
	s_add_u32 s44, s16, s12
	s_addc_u32 s45, s17, s13
	s_load_dword s31, s[44:45], 0x0
	s_waitcnt lgkmcnt(0)
	s_cmp_eq_u32 s31, -1
	s_cbranch_scc1 .LBB48_111
; %bb.23:                               ;   in Loop: Header=BB48_22 Depth=1
	s_add_u32 s44, s24, s12
	s_addc_u32 s45, s25, s13
	s_load_dword s43, s[44:45], 0x0
	s_mul_i32 s41, s40, s54
	s_and_saveexec_b64 s[44:45], s[0:1]
	s_cbranch_execz .LBB48_36
; %bb.24:                               ;   in Loop: Header=BB48_22 Depth=1
	s_mov_b64 s[46:47], 0
	v_mov_b32_e32 v8, v23
	v_mov_b32_e32 v9, v1
	s_branch .LBB48_26
.LBB48_25:                              ;   in Loop: Header=BB48_26 Depth=2
	s_or_b64 exec, exec, s[50:51]
	v_add_u32_e32 v9, 4, v9
	v_mov_b32_e32 v3, v2
	v_cmp_le_i32_e32 vcc, s54, v9
	s_waitcnt vmcnt(0)
	ds_write_b64 v8, v[6:7] offset:2176
	ds_write_b64 v8, v[2:3]
	s_or_b64 s[46:47], vcc, s[46:47]
	v_add_u32_e32 v8, 32, v8
	s_andn2_b64 exec, exec, s[46:47]
	s_cbranch_execz .LBB48_36
.LBB48_26:                              ;   Parent Loop BB48_22 Depth=1
                                        ; =>  This Inner Loop Header: Depth=2
	s_and_b64 vcc, exec, s[34:35]
	s_cbranch_vccz .LBB48_31
; %bb.27:                               ;   in Loop: Header=BB48_26 Depth=2
	s_mov_b64 s[50:51], 0
	s_mov_b64 s[48:49], 0
                                        ; implicit-def: $vgpr4
	s_and_saveexec_b64 s[52:53], s[2:3]
	s_xor_b64 s[52:53], exec, s[52:53]
; %bb.28:                               ;   in Loop: Header=BB48_26 Depth=2
	v_add_u32_e32 v3, s41, v9
	s_mov_b64 s[48:49], exec
	v_mad_u64_u32 v[4:5], s[62:63], v3, s54, v[0:1]
; %bb.29:                               ;   in Loop: Header=BB48_26 Depth=2
	s_or_b64 exec, exec, s[52:53]
	s_mov_b32 s52, 0
	s_and_b64 vcc, exec, s[50:51]
	s_cbranch_vccnz .LBB48_32
.LBB48_30:                              ;   in Loop: Header=BB48_26 Depth=2
	v_mov_b32_e32 v6, s52
	v_mov_b32_e32 v7, s52
	s_and_saveexec_b64 s[50:51], s[48:49]
	s_cbranch_execz .LBB48_25
	s_branch .LBB48_35
.LBB48_31:                              ;   in Loop: Header=BB48_26 Depth=2
	s_mov_b64 s[48:49], 0
                                        ; implicit-def: $vgpr4
                                        ; implicit-def: $sgpr52
	s_cbranch_execz .LBB48_30
.LBB48_32:                              ;   in Loop: Header=BB48_26 Depth=2
                                        ; implicit-def: $vgpr4
	s_and_saveexec_b64 s[50:51], s[2:3]
; %bb.33:                               ;   in Loop: Header=BB48_26 Depth=2
	v_add_u32_e32 v4, v25, v9
	s_or_b64 s[48:49], s[48:49], exec
; %bb.34:                               ;   in Loop: Header=BB48_26 Depth=2
	s_or_b64 exec, exec, s[50:51]
	s_mov_b32 s52, 0
	v_mov_b32_e32 v6, s52
	v_mov_b32_e32 v7, s52
	s_and_saveexec_b64 s[50:51], s[48:49]
	s_cbranch_execz .LBB48_25
.LBB48_35:                              ;   in Loop: Header=BB48_26 Depth=2
	v_ashrrev_i32_e32 v5, 31, v4
	v_lshlrev_b64 v[4:5], 3, v[4:5]
	v_mov_b32_e32 v3, s29
	v_add_co_u32_e32 v4, vcc, s28, v4
	v_addc_co_u32_e32 v5, vcc, v3, v5, vcc
	global_load_dwordx2 v[6:7], v[4:5], off
	s_branch .LBB48_25
.LBB48_36:                              ;   in Loop: Header=BB48_22 Depth=1
	s_or_b64 exec, exec, s[44:45]
; %bb.37:                               ;   in Loop: Header=BB48_22 Depth=1
	ds_read_b32 v3, v2 offset:8960
	s_waitcnt lgkmcnt(0)
	s_sub_i32 s44, s43, s21
	s_cmp_le_i32 s44, s31
	s_cselect_b64 s[46:47], -1, 0
	s_mov_b32 s50, 0
	v_cmp_ge_i32_e32 vcc, s42, v3
	s_and_b64 s[46:47], s[46:47], vcc
	s_andn2_b64 vcc, exec, s[46:47]
	s_cbranch_vccnz .LBB48_49
; %bb.38:                               ;   in Loop: Header=BB48_22 Depth=1
	s_mov_b32 s43, 0
	s_mov_b32 s48, 0
.LBB48_39:                              ;   Parent Loop BB48_22 Depth=1
                                        ; =>  This Inner Loop Header: Depth=2
	s_ashr_i32 s45, s44, 31
	s_lshl_b64 s[46:47], s[44:45], 2
	s_add_u32 s46, s26, s46
	s_addc_u32 s47, s27, s47
	s_load_dword s45, s[46:47], 0x0
	s_lshl_b32 s46, s48, 2
	v_mov_b32_e32 v3, s46
	ds_read_b32 v3, v3 offset:8960
	s_mov_b64 s[46:47], -1
	s_waitcnt lgkmcnt(0)
	s_sub_i32 s52, s45, s21
                                        ; implicit-def: $sgpr50
                                        ; implicit-def: $sgpr51
                                        ; implicit-def: $sgpr49
	v_cmp_ge_i32_e32 vcc, s52, v3
	v_readfirstlane_b32 s45, v3
	s_cbranch_vccz .LBB48_45
; %bb.40:                               ;   in Loop: Header=BB48_39 Depth=2
	s_cmp_le_i32 s52, s45
                                        ; implicit-def: $sgpr50
                                        ; implicit-def: $sgpr51
                                        ; implicit-def: $sgpr49
	s_cbranch_scc0 .LBB48_42
; %bb.41:                               ;   in Loop: Header=BB48_39 Depth=2
	s_add_i32 s46, s48, s56
	s_mul_i32 s46, s46, s57
	s_lshl_b32 s47, s43, 2
	v_mov_b32_e32 v3, s47
	v_mov_b32_e32 v4, s46
	s_mul_i32 s46, s44, s57
	v_mov_b32_e32 v5, s46
	v_add_u32_e32 v3, 0x2000, v3
	ds_write2_b32 v3, v5, v4 offset0:128 offset1:160
	s_add_i32 s49, s48, 1
	s_add_i32 s51, s44, 1
	;; [unrolled: 1-line block ×3, first 2 shown]
	s_mov_b64 s[46:47], 0
.LBB48_42:                              ;   in Loop: Header=BB48_39 Depth=2
	s_andn2_b64 vcc, exec, s[46:47]
	s_cbranch_vccnz .LBB48_44
; %bb.43:                               ;   in Loop: Header=BB48_39 Depth=2
	s_add_i32 s49, s48, 1
	s_mov_b32 s50, s43
	s_mov_b32 s51, s44
.LBB48_44:                              ;   in Loop: Header=BB48_39 Depth=2
	s_mov_b64 s[46:47], 0
.LBB48_45:                              ;   in Loop: Header=BB48_39 Depth=2
	s_andn2_b64 vcc, exec, s[46:47]
	s_cbranch_vccnz .LBB48_47
; %bb.46:                               ;   in Loop: Header=BB48_39 Depth=2
	s_add_i32 s51, s44, 1
	s_mov_b32 s49, s48
	s_mov_b32 s50, s43
.LBB48_47:                              ;   in Loop: Header=BB48_39 Depth=2
	s_cmp_le_i32 s51, s31
	s_cselect_b64 s[46:47], -1, 0
	s_cmp_le_i32 s45, s42
	s_cselect_b64 s[44:45], -1, 0
	s_and_b64 s[44:45], s[46:47], s[44:45]
	s_and_b64 vcc, exec, s[44:45]
	s_cbranch_vccz .LBB48_49
; %bb.48:                               ;   in Loop: Header=BB48_39 Depth=2
	s_mov_b32 s43, s50
	s_mov_b32 s44, s51
	;; [unrolled: 1-line block ×3, first 2 shown]
	s_branch .LBB48_39
.LBB48_49:                              ;   in Loop: Header=BB48_22 Depth=1
	s_add_u32 s12, s18, s12
	s_addc_u32 s13, s19, s13
	s_waitcnt lgkmcnt(0)
.LBB48_50:                              ;   Parent Loop BB48_22 Depth=1
                                        ; =>  This Inner Loop Header: Depth=2
	global_load_dword v3, v2, s[12:13] glc
	s_waitcnt vmcnt(0)
	v_cmp_eq_u32_e32 vcc, 0, v3
	s_cbranch_vccnz .LBB48_50
; %bb.51:                               ;   in Loop: Header=BB48_22 Depth=1
	buffer_wbinvl1_vol
	s_and_saveexec_b64 s[12:13], s[0:1]
	s_cbranch_execz .LBB48_64
; %bb.52:                               ;   in Loop: Header=BB48_22 Depth=1
	s_mul_i32 s31, s31, s54
	v_add_u32_e32 v3, s31, v0
	v_mul_lo_u32 v3, v3, s54
	s_mov_b64 s[42:43], 0
	v_mov_b32_e32 v8, v19
	v_mov_b32_e32 v9, v1
	s_branch .LBB48_54
.LBB48_53:                              ;   in Loop: Header=BB48_54 Depth=2
	s_or_b64 exec, exec, s[46:47]
	v_add_u32_e32 v9, 4, v9
	v_cmp_le_i32_e32 vcc, s54, v9
	s_waitcnt vmcnt(0)
	ds_write_b64 v8, v[6:7]
	s_or_b64 s[42:43], vcc, s[42:43]
	v_add_u32_e32 v8, 32, v8
	s_andn2_b64 exec, exec, s[42:43]
	s_cbranch_execz .LBB48_64
.LBB48_54:                              ;   Parent Loop BB48_22 Depth=1
                                        ; =>  This Inner Loop Header: Depth=2
	s_and_b64 vcc, exec, s[34:35]
	s_cbranch_vccz .LBB48_59
; %bb.55:                               ;   in Loop: Header=BB48_54 Depth=2
	s_mov_b64 s[46:47], 0
	s_mov_b64 s[44:45], 0
                                        ; implicit-def: $vgpr4
	s_and_saveexec_b64 s[48:49], s[2:3]
	s_xor_b64 s[48:49], exec, s[48:49]
; %bb.56:                               ;   in Loop: Header=BB48_54 Depth=2
	v_add_u32_e32 v4, s31, v9
	s_mov_b64 s[44:45], exec
	v_mad_u64_u32 v[4:5], s[52:53], v4, s54, v[0:1]
; %bb.57:                               ;   in Loop: Header=BB48_54 Depth=2
	s_or_b64 exec, exec, s[48:49]
	s_mov_b32 s48, 0
	s_and_b64 vcc, exec, s[46:47]
	s_cbranch_vccnz .LBB48_60
.LBB48_58:                              ;   in Loop: Header=BB48_54 Depth=2
	v_mov_b32_e32 v6, s48
	v_mov_b32_e32 v7, s48
	s_and_saveexec_b64 s[46:47], s[44:45]
	s_cbranch_execz .LBB48_53
	s_branch .LBB48_63
.LBB48_59:                              ;   in Loop: Header=BB48_54 Depth=2
	s_mov_b64 s[44:45], 0
                                        ; implicit-def: $vgpr4
                                        ; implicit-def: $sgpr48
	s_cbranch_execz .LBB48_58
.LBB48_60:                              ;   in Loop: Header=BB48_54 Depth=2
                                        ; implicit-def: $vgpr4
	s_and_saveexec_b64 s[46:47], s[2:3]
; %bb.61:                               ;   in Loop: Header=BB48_54 Depth=2
	v_add_u32_e32 v4, v3, v9
	s_or_b64 s[44:45], s[44:45], exec
; %bb.62:                               ;   in Loop: Header=BB48_54 Depth=2
	s_or_b64 exec, exec, s[46:47]
	s_mov_b32 s48, 0
	v_mov_b32_e32 v6, s48
	v_mov_b32_e32 v7, s48
	s_and_saveexec_b64 s[46:47], s[44:45]
	s_cbranch_execz .LBB48_53
.LBB48_63:                              ;   in Loop: Header=BB48_54 Depth=2
	v_ashrrev_i32_e32 v5, 31, v4
	v_lshlrev_b64 v[4:5], 3, v[4:5]
	v_mov_b32_e32 v6, s29
	v_add_co_u32_e32 v4, vcc, s28, v4
	v_addc_co_u32_e32 v5, vcc, v6, v5, vcc
	global_load_dwordx2 v[6:7], v[4:5], off
	s_branch .LBB48_53
.LBB48_64:                              ;   in Loop: Header=BB48_22 Depth=1
	s_or_b64 exec, exec, s[12:13]
; %bb.65:                               ;   in Loop: Header=BB48_22 Depth=1
	s_cmp_lt_i32 s50, 2
	s_cbranch_scc1 .LBB48_81
; %bb.66:                               ;   in Loop: Header=BB48_22 Depth=1
	s_add_i32 s46, s50, -2
	s_mov_b32 s47, 0
	s_branch .LBB48_68
.LBB48_67:                              ;   in Loop: Header=BB48_68 Depth=2
	s_or_b64 exec, exec, s[12:13]
	s_add_i32 s12, s47, 1
	s_cmp_eq_u32 s47, s46
	s_mov_b32 s47, s12
	s_cbranch_scc1 .LBB48_81
.LBB48_68:                              ;   Parent Loop BB48_22 Depth=1
                                        ; =>  This Loop Header: Depth=2
                                        ;       Child Loop BB48_71 Depth 3
	s_and_saveexec_b64 s[12:13], s[0:1]
	s_cbranch_execz .LBB48_67
; %bb.69:                               ;   in Loop: Header=BB48_68 Depth=2
	s_lshl_b32 s31, s47, 2
	v_mov_b32_e32 v3, s31
	v_add_u32_e32 v3, 0x2000, v3
	ds_read2_b32 v[4:5], v3 offset0:128 offset1:160
	s_mov_b64 s[42:43], 0
	v_mov_b32_e32 v39, v1
	s_waitcnt lgkmcnt(0)
	v_add_u32_e32 v3, v5, v17
	v_add_u32_e32 v36, v0, v5
	v_add_u32_e32 v37, v1, v4
	v_add_u32_e32 v38, v24, v4
	s_branch .LBB48_71
.LBB48_70:                              ;   in Loop: Header=BB48_71 Depth=3
	v_lshlrev_b32_e32 v4, 3, v39
	v_mad_u32_u24 v6, v0, s58, v4
	ds_read_b64 v[4:5], v6 offset:2176
	v_add_u32_e32 v39, 4, v39
	v_cmp_le_i32_e32 vcc, s54, v39
	v_add_u32_e32 v37, 4, v37
	s_or_b64 s[42:43], vcc, s[42:43]
	s_waitcnt lgkmcnt(0)
	v_pk_add_f32 v[4:5], v[10:11], v[4:5]
	v_add_u32_e32 v38, s59, v38
	ds_write_b64 v6, v[4:5] offset:2176
	s_andn2_b64 exec, exec, s[42:43]
	s_cbranch_execz .LBB48_67
.LBB48_71:                              ;   Parent Loop BB48_22 Depth=1
                                        ;     Parent Loop BB48_68 Depth=2
                                        ; =>    This Inner Loop Header: Depth=3
	s_mov_b32 s31, s30
	s_mov_b32 s48, 0
	v_pk_mov_b32 v[8:9], s[30:31], s[30:31] op_sel:[0,1]
	v_mov_b32_e32 v4, v37
	v_mov_b32_e32 v6, v36
	s_and_b64 vcc, exec, s[34:35]
	s_cbranch_vccz .LBB48_75
.LBB48_72:                              ;   in Loop: Header=BB48_71 Depth=3
	v_ashrrev_i32_e32 v5, 31, v4
	v_lshlrev_b64 v[10:11], 3, v[4:5]
	v_mov_b32_e32 v5, s29
	v_add_co_u32_e32 v10, vcc, s28, v10
	v_addc_co_u32_e32 v11, vcc, v5, v11, vcc
	global_load_dwordx2 v[10:11], v[10:11], off
	v_mov_b32_e32 v12, 0
	v_mov_b32_e32 v14, 0
	s_and_saveexec_b64 s[44:45], s[2:3]
	s_cbranch_execz .LBB48_74
; %bb.73:                               ;   in Loop: Header=BB48_71 Depth=3
	v_ashrrev_i32_e32 v7, 31, v6
	v_lshlrev_b64 v[12:13], 3, v[6:7]
	v_mov_b32_e32 v5, s29
	v_add_co_u32_e32 v12, vcc, s28, v12
	v_addc_co_u32_e32 v13, vcc, v5, v13, vcc
	global_load_dwordx2 v[12:13], v[12:13], off
	s_waitcnt vmcnt(0)
	v_mov_b32_e32 v14, v13
.LBB48_74:                              ;   in Loop: Header=BB48_71 Depth=3
	s_or_b64 exec, exec, s[44:45]
	s_waitcnt vmcnt(0)
	v_pk_fma_f32 v[12:13], v[10:11], v[12:13], v[8:9] op_sel_hi:[1,0,1]
	v_pk_fma_f32 v[10:11], v[10:11], v[14:15], v[12:13] op_sel:[1,0,0] op_sel_hi:[0,0,1] neg_hi:[0,1,0]
	s_branch .LBB48_79
.LBB48_75:                              ;   in Loop: Header=BB48_71 Depth=3
                                        ; implicit-def: $vgpr10_vgpr11
	s_cbranch_execz .LBB48_79
; %bb.76:                               ;   in Loop: Header=BB48_71 Depth=3
	v_add_u32_e32 v10, s48, v38
	v_ashrrev_i32_e32 v11, 31, v10
	v_lshlrev_b64 v[10:11], 3, v[10:11]
	v_mov_b32_e32 v5, s29
	v_add_co_u32_e32 v10, vcc, s28, v10
	v_addc_co_u32_e32 v11, vcc, v5, v11, vcc
	global_load_dwordx2 v[10:11], v[10:11], off
	v_mov_b32_e32 v12, 0
	v_mov_b32_e32 v14, 0
	s_and_saveexec_b64 s[44:45], s[2:3]
	s_cbranch_execz .LBB48_78
; %bb.77:                               ;   in Loop: Header=BB48_71 Depth=3
	v_add_u32_e32 v12, s48, v3
	v_ashrrev_i32_e32 v13, 31, v12
	v_lshlrev_b64 v[12:13], 3, v[12:13]
	v_mov_b32_e32 v5, s29
	v_add_co_u32_e32 v12, vcc, s28, v12
	v_addc_co_u32_e32 v13, vcc, v5, v13, vcc
	global_load_dwordx2 v[12:13], v[12:13], off
	s_waitcnt vmcnt(0)
	v_mov_b32_e32 v14, v13
.LBB48_78:                              ;   in Loop: Header=BB48_71 Depth=3
	s_or_b64 exec, exec, s[44:45]
	s_waitcnt vmcnt(0)
	v_pk_fma_f32 v[8:9], v[10:11], v[12:13], v[8:9] op_sel_hi:[1,0,1]
	v_pk_fma_f32 v[10:11], v[10:11], v[14:15], v[8:9] op_sel:[1,0,0] op_sel_hi:[0,0,1] neg_hi:[0,1,0]
.LBB48_79:                              ;   in Loop: Header=BB48_71 Depth=3
	s_add_i32 s48, s48, 1
	v_add_u32_e32 v6, s54, v6
	s_cmp_eq_u32 s54, s48
	v_add_u32_e32 v4, s54, v4
	s_cbranch_scc1 .LBB48_70
; %bb.80:                               ;   in Loop: Header=BB48_71 Depth=3
	v_pk_mov_b32 v[8:9], v[10:11], v[10:11] op_sel:[0,1]
	s_and_b64 vcc, exec, s[34:35]
	s_cbranch_vccnz .LBB48_72
	s_branch .LBB48_75
.LBB48_81:                              ;   in Loop: Header=BB48_22 Depth=1
	s_andn2_b64 vcc, exec, s[36:37]
	s_waitcnt lgkmcnt(0)
	s_cbranch_vccnz .LBB48_101
; %bb.82:                               ;   in Loop: Header=BB48_22 Depth=1
	s_mov_b32 s31, 0
	s_mov_b32 s48, 0
	s_movk_i32 s49, 0x1100
	v_mov_b32_e32 v3, v28
	s_branch .LBB48_84
.LBB48_83:                              ;   in Loop: Header=BB48_84 Depth=2
	s_or_b64 exec, exec, s[12:13]
	s_add_i32 s48, s48, 1
	s_addk_i32 s31, 0x88
	s_add_i32 s49, s49, 8
	s_cmp_eq_u32 s48, s54
	v_add_u32_e32 v3, 8, v3
	s_waitcnt lgkmcnt(0)
	s_cbranch_scc1 .LBB48_101
.LBB48_84:                              ;   Parent Loop BB48_22 Depth=1
                                        ; =>  This Loop Header: Depth=2
                                        ;       Child Loop BB48_90 Depth 3
                                        ;       Child Loop BB48_94 Depth 3
	;; [unrolled: 1-line block ×3, first 2 shown]
	s_lshl_b32 s12, s48, 3
	s_mul_i32 s13, s48, 0x88
	s_add_i32 s13, s12, s13
	v_mov_b32_e32 v4, s13
	ds_read_b64 v[8:9], v4
	v_mov_b32_e32 v4, s12
	v_mad_u32_u24 v7, v0, s58, v4
	ds_read_b64 v[4:5], v7 offset:4352
	s_waitcnt lgkmcnt(1)
	v_cmp_neq_f32_e32 vcc, 0, v8
	v_cmp_neq_f32_e64 s[12:13], 0, v9
	s_or_b64 vcc, vcc, s[12:13]
	s_or_b64 s[12:13], vcc, s[4:5]
	v_cndmask_b32_e32 v6, 1.0, v8, vcc
	s_xor_b64 s[42:43], s[12:13], -1
	v_cndmask_b32_e32 v8, 0, v9, vcc
	s_and_saveexec_b64 s[12:13], s[42:43]
	s_cbranch_execz .LBB48_88
; %bb.85:                               ;   in Loop: Header=BB48_84 Depth=2
	v_mbcnt_lo_u32_b32 v6, exec_lo, 0
	v_mbcnt_hi_u32_b32 v6, exec_hi, v6
	v_cmp_eq_u32_e32 vcc, 0, v6
	s_and_saveexec_b64 s[42:43], vcc
	s_cbranch_execz .LBB48_87
; %bb.86:                               ;   in Loop: Header=BB48_84 Depth=2
	v_mov_b32_e32 v6, s60
	global_atomic_smin v2, v6, s[22:23]
.LBB48_87:                              ;   in Loop: Header=BB48_84 Depth=2
	s_or_b64 exec, exec, s[42:43]
	v_mov_b32_e32 v6, 1.0
	v_mov_b32_e32 v8, 0
.LBB48_88:                              ;   in Loop: Header=BB48_84 Depth=2
	s_or_b64 exec, exec, s[12:13]
	v_lshl_add_u32 v9, s48, 3, v32
	ds_read_b64 v[12:13], v9 offset:2176
	s_cmp_eq_u32 s48, 0
	s_waitcnt lgkmcnt(0)
	v_mov_b32_e32 v10, v13
	v_mov_b32_e32 v11, v12
	s_cbranch_scc1 .LBB48_91
; %bb.89:                               ;   in Loop: Header=BB48_84 Depth=2
	s_mov_b32 s12, 0
	v_mov_b32_e32 v9, v26
	s_mov_b32 s13, s31
.LBB48_90:                              ;   Parent Loop BB48_22 Depth=1
                                        ;     Parent Loop BB48_84 Depth=2
                                        ; =>    This Inner Loop Header: Depth=3
	v_mov_b32_e32 v14, s13
	ds_read_b64 v[12:13], v9
	ds_read_b64 v[36:37], v14
	s_add_i32 s12, s12, 1
	s_add_i32 s13, s13, 8
	v_add_u32_e32 v9, 8, v9
	s_cmp_ge_u32 s12, s48
	s_waitcnt lgkmcnt(0)
	v_pk_fma_f32 v[10:11], v[36:37], v[12:13], v[10:11] op_sel:[1,0,0] op_sel_hi:[0,0,1]
	v_pk_fma_f32 v[10:11], v[36:37], v[12:13], v[10:11] op_sel:[0,1,0] neg_lo:[0,1,0]
	s_cbranch_scc0 .LBB48_90
.LBB48_91:                              ;   in Loop: Header=BB48_84 Depth=2
	v_mul_f32_e32 v9, v8, v8
	v_fmac_f32_e32 v9, v6, v6
	v_div_scale_f32 v12, s[12:13], v9, v9, 1.0
	v_rcp_f32_e32 v13, v12
	v_div_scale_f32 v14, vcc, 1.0, v9, 1.0
	v_add_u32_e32 v7, 0x1100, v7
	v_fma_f32 v36, -v12, v13, 1.0
	v_fmac_f32_e32 v13, v36, v13
	v_mul_f32_e32 v36, v14, v13
	v_fma_f32 v37, -v12, v36, v14
	v_fmac_f32_e32 v36, v37, v13
	v_fma_f32 v12, -v12, v36, v14
	v_div_fmas_f32 v12, v12, v13, v36
	v_mov_b32_e32 v36, v5
	v_mov_b32_e32 v37, v4
	v_pk_add_f32 v[4:5], v[36:37], v[10:11] neg_lo:[0,1] neg_hi:[0,1]
	v_div_fixup_f32 v12, v12, v9, 1.0
	v_pk_mul_f32 v[8:9], v[8:9], v[4:5] op_sel:[0,1] op_sel_hi:[0,0] neg_lo:[0,1]
	v_pk_fma_f32 v[4:5], v[4:5], v[6:7], v[8:9] op_sel_hi:[1,0,1]
	v_pk_mul_f32 v[4:5], v[12:13], v[4:5] op_sel_hi:[0,1]
	v_mov_b32_e32 v8, v5
	v_mov_b32_e32 v9, v4
	ds_write_b64 v7, v[8:9]
	s_waitcnt lgkmcnt(0)
	s_and_saveexec_b64 s[12:13], s[0:1]
	s_cbranch_execz .LBB48_83
; %bb.92:                               ;   in Loop: Header=BB48_84 Depth=2
	s_mov_b64 s[44:45], -1
	v_mov_b32_e32 v8, v1
	v_mov_b32_e32 v9, v27
	v_mov_b32_e32 v10, v18
	s_and_saveexec_b64 s[42:43], s[38:39]
	s_cbranch_execz .LBB48_98
; %bb.93:                               ;   in Loop: Header=BB48_84 Depth=2
	v_mov_b32_e32 v6, v5
	v_mov_b32_e32 v7, v5
	;; [unrolled: 1-line block ×4, first 2 shown]
	s_mov_b64 s[44:45], 0
	v_mov_b32_e32 v10, v21
	v_mov_b32_e32 v11, v20
	v_mov_b32_e32 v12, v3
.LBB48_94:                              ;   Parent Loop BB48_22 Depth=1
                                        ;     Parent Loop BB48_84 Depth=2
                                        ; =>    This Inner Loop Header: Depth=3
	ds_read2_b64 v[36:39], v12 offset1:68
	ds_read2_b64 v[40:43], v11 offset1:4
	v_add_u32_e32 v10, -2, v10
	v_cmp_eq_u32_e32 vcc, 0, v10
	v_add_u32_e32 v12, 0x440, v12
	s_waitcnt lgkmcnt(1)
	v_mov_b32_e32 v44, v36
	v_mov_b32_e32 v45, v38
	;; [unrolled: 1-line block ×3, first 2 shown]
	s_waitcnt lgkmcnt(0)
	v_mov_b32_e32 v36, v40
	v_mov_b32_e32 v37, v42
	v_mov_b32_e32 v42, v41
	v_pk_fma_f32 v[36:37], v[6:7], v[44:45], v[36:37]
	v_pk_fma_f32 v[40:41], v[8:9], v[44:45], v[42:43]
	;; [unrolled: 1-line block ×3, first 2 shown]
	v_pk_fma_f32 v[38:39], v[6:7], v[38:39], v[40:41] neg_lo:[0,1,0] neg_hi:[0,1,0]
	v_mov_b32_e32 v40, v36
	v_mov_b32_e32 v41, v38
	;; [unrolled: 1-line block ×3, first 2 shown]
	ds_write2_b64 v11, v[40:41], v[38:39] offset1:4
	s_or_b64 s[44:45], vcc, s[44:45]
	v_add_u32_e32 v11, 64, v11
	s_andn2_b64 exec, exec, s[44:45]
	s_cbranch_execnz .LBB48_94
; %bb.95:                               ;   in Loop: Header=BB48_84 Depth=2
	s_or_b64 exec, exec, s[44:45]
	s_mov_b64 s[44:45], 0
	s_and_saveexec_b64 s[46:47], s[6:7]
	s_xor_b64 s[46:47], exec, s[46:47]
; %bb.96:                               ;   in Loop: Header=BB48_84 Depth=2
	s_mov_b64 s[44:45], exec
; %bb.97:                               ;   in Loop: Header=BB48_84 Depth=2
	s_or_b64 exec, exec, s[46:47]
	s_orn2_b64 s[44:45], s[44:45], exec
	v_mov_b32_e32 v8, v22
	v_mov_b32_e32 v9, v33
	;; [unrolled: 1-line block ×3, first 2 shown]
.LBB48_98:                              ;   in Loop: Header=BB48_84 Depth=2
	s_or_b64 exec, exec, s[42:43]
	s_and_b64 exec, exec, s[44:45]
	s_cbranch_execz .LBB48_83
; %bb.99:                               ;   in Loop: Header=BB48_84 Depth=2
	v_mov_b32_e32 v6, v5
	v_mov_b32_e32 v7, v4
	v_add_u32_e32 v10, v29, v10
	s_mov_b64 s[42:43], 0
	s_mov_b32 s44, s49
.LBB48_100:                             ;   Parent Loop BB48_22 Depth=1
                                        ;     Parent Loop BB48_84 Depth=2
                                        ; =>    This Inner Loop Header: Depth=3
	v_add_u32_e32 v11, s44, v9
	ds_read_b64 v[12:13], v10
	ds_read_b64 v[36:37], v11
	v_add_u32_e32 v8, 4, v8
	s_addk_i32 s44, 0x220
	v_cmp_le_i32_e32 vcc, s54, v8
	s_or_b64 s[42:43], vcc, s[42:43]
	s_waitcnt lgkmcnt(0)
	v_pk_fma_f32 v[12:13], v[6:7], v[36:37], v[12:13] op_sel_hi:[1,0,1]
	v_pk_fma_f32 v[12:13], v[4:5], v[36:37], v[12:13] op_sel:[0,1,0] neg_hi:[0,1,0]
	ds_write_b64 v10, v[12:13]
	v_add_u32_e32 v10, 32, v10
	s_andn2_b64 exec, exec, s[42:43]
	s_cbranch_execnz .LBB48_100
	s_branch .LBB48_83
.LBB48_101:                             ;   in Loop: Header=BB48_22 Depth=1
	s_and_saveexec_b64 s[42:43], s[0:1]
	s_cbranch_execz .LBB48_21
; %bb.102:                              ;   in Loop: Header=BB48_22 Depth=1
	v_mov_b32_e32 v3, v1
	s_and_saveexec_b64 s[12:13], s[8:9]
	s_cbranch_execz .LBB48_113
; %bb.103:                              ;   in Loop: Header=BB48_22 Depth=1
	s_mov_b64 s[44:45], 0
	v_mov_b32_e32 v6, v31
	v_mov_b32_e32 v7, v30
	;; [unrolled: 1-line block ×3, first 2 shown]
	s_branch .LBB48_106
.LBB48_104:                             ;   in Loop: Header=BB48_106 Depth=2
	ds_read_b64 v[8:9], v7
	v_ashrrev_i32_e32 v5, 31, v4
	v_lshlrev_b64 v[4:5], 3, v[4:5]
	v_mov_b32_e32 v10, s29
	v_add_co_u32_e32 v4, vcc, s28, v4
	v_addc_co_u32_e32 v5, vcc, v10, v5, vcc
	s_waitcnt lgkmcnt(0)
	global_store_dwordx2 v[4:5], v[8:9], off
.LBB48_105:                             ;   in Loop: Header=BB48_106 Depth=2
	s_or_b64 exec, exec, s[46:47]
	v_add_u32_e32 v6, -8, v6
	v_cmp_eq_u32_e32 vcc, 0, v6
	v_add_u32_e32 v3, 4, v3
	s_or_b64 s[44:45], vcc, s[44:45]
	v_add_u32_e32 v7, 32, v7
	s_andn2_b64 exec, exec, s[44:45]
	s_cbranch_execz .LBB48_112
.LBB48_106:                             ;   Parent Loop BB48_22 Depth=1
                                        ; =>  This Inner Loop Header: Depth=2
	s_and_saveexec_b64 s[46:47], s[2:3]
	s_cbranch_execz .LBB48_105
; %bb.107:                              ;   in Loop: Header=BB48_106 Depth=2
	s_andn2_b64 vcc, exec, s[34:35]
	s_cbranch_vccnz .LBB48_109
; %bb.108:                              ;   in Loop: Header=BB48_106 Depth=2
	v_add_u32_e32 v4, s41, v3
	v_mad_u64_u32 v[4:5], s[48:49], v4, s54, v[0:1]
	s_cbranch_execnz .LBB48_104
	s_branch .LBB48_110
.LBB48_109:                             ;   in Loop: Header=BB48_106 Depth=2
                                        ; implicit-def: $vgpr4
.LBB48_110:                             ;   in Loop: Header=BB48_106 Depth=2
	v_add_u32_e32 v4, v25, v3
	s_branch .LBB48_104
.LBB48_111:                             ;   in Loop: Header=BB48_22 Depth=1
                                        ; implicit-def: $sgpr40
                                        ; implicit-def: $vgpr25
	s_cbranch_execz .LBB48_22
	s_branch .LBB48_140
.LBB48_112:                             ;   in Loop: Header=BB48_22 Depth=1
	s_or_b64 exec, exec, s[44:45]
.LBB48_113:                             ;   in Loop: Header=BB48_22 Depth=1
	s_or_b64 exec, exec, s[12:13]
	s_and_b64 exec, exec, s[10:11]
	s_cbranch_execz .LBB48_21
; %bb.114:                              ;   in Loop: Header=BB48_22 Depth=1
	v_lshl_add_u32 v6, v3, 3, v26
	s_mov_b64 s[44:45], 0
	s_branch .LBB48_117
.LBB48_115:                             ;   in Loop: Header=BB48_117 Depth=2
	ds_read_b64 v[8:9], v6 offset:96
	v_ashrrev_i32_e32 v5, 31, v4
	v_lshlrev_b64 v[4:5], 3, v[4:5]
	v_mov_b32_e32 v7, s29
	v_add_co_u32_e32 v4, vcc, s28, v4
	v_addc_co_u32_e32 v5, vcc, v7, v5, vcc
	s_waitcnt lgkmcnt(0)
	global_store_dwordx2 v[4:5], v[8:9], off
.LBB48_116:                             ;   in Loop: Header=BB48_117 Depth=2
	s_or_b64 exec, exec, s[46:47]
	v_add_u32_e32 v3, 16, v3
	v_cmp_le_i32_e32 vcc, s54, v3
	s_or_b64 s[44:45], vcc, s[44:45]
	v_add_u32_e32 v6, 0x80, v6
	s_andn2_b64 exec, exec, s[44:45]
	s_cbranch_execz .LBB48_21
.LBB48_117:                             ;   Parent Loop BB48_22 Depth=1
                                        ; =>  This Inner Loop Header: Depth=2
	s_and_saveexec_b64 s[12:13], s[2:3]
	s_cbranch_execnz .LBB48_121
; %bb.118:                              ;   in Loop: Header=BB48_117 Depth=2
	s_or_b64 exec, exec, s[12:13]
	v_cmp_ne_u32_e64 s[12:13], 1, v35
	s_and_saveexec_b64 s[46:47], s[2:3]
	s_cbranch_execnz .LBB48_125
.LBB48_119:                             ;   in Loop: Header=BB48_117 Depth=2
	s_or_b64 exec, exec, s[46:47]
	s_and_saveexec_b64 s[46:47], s[2:3]
	s_cbranch_execnz .LBB48_129
.LBB48_120:                             ;   in Loop: Header=BB48_117 Depth=2
	s_or_b64 exec, exec, s[46:47]
	s_and_saveexec_b64 s[46:47], s[2:3]
	s_cbranch_execz .LBB48_116
	s_branch .LBB48_133
.LBB48_121:                             ;   in Loop: Header=BB48_117 Depth=2
	s_and_b64 vcc, exec, s[34:35]
	s_cbranch_vccz .LBB48_135
; %bb.122:                              ;   in Loop: Header=BB48_117 Depth=2
	v_add_u32_e32 v4, s41, v3
	v_mad_u64_u32 v[4:5], s[46:47], v4, s54, v[0:1]
	s_cbranch_execnz .LBB48_124
.LBB48_123:                             ;   in Loop: Header=BB48_117 Depth=2
	v_add_u32_e32 v4, v25, v3
.LBB48_124:                             ;   in Loop: Header=BB48_117 Depth=2
	ds_read_b64 v[8:9], v6
	v_ashrrev_i32_e32 v5, 31, v4
	v_lshlrev_b64 v[4:5], 3, v[4:5]
	v_mov_b32_e32 v7, s29
	v_add_co_u32_e32 v4, vcc, s28, v4
	v_addc_co_u32_e32 v5, vcc, v7, v5, vcc
	s_waitcnt lgkmcnt(0)
	global_store_dwordx2 v[4:5], v[8:9], off
	s_or_b64 exec, exec, s[12:13]
	v_cmp_ne_u32_e64 s[12:13], 1, v35
	s_and_saveexec_b64 s[46:47], s[2:3]
	s_cbranch_execz .LBB48_119
.LBB48_125:                             ;   in Loop: Header=BB48_117 Depth=2
	s_and_b64 vcc, exec, s[12:13]
	s_cbranch_vccnz .LBB48_136
; %bb.126:                              ;   in Loop: Header=BB48_117 Depth=2
	v_add3_u32 v4, v3, s41, 4
	v_mad_u64_u32 v[4:5], s[48:49], v4, s54, v[0:1]
	s_cbranch_execnz .LBB48_128
.LBB48_127:                             ;   in Loop: Header=BB48_117 Depth=2
	v_add3_u32 v4, v25, v3, 4
.LBB48_128:                             ;   in Loop: Header=BB48_117 Depth=2
	ds_read_b64 v[8:9], v6 offset:32
	v_ashrrev_i32_e32 v5, 31, v4
	v_lshlrev_b64 v[4:5], 3, v[4:5]
	v_mov_b32_e32 v7, s29
	v_add_co_u32_e32 v4, vcc, s28, v4
	v_addc_co_u32_e32 v5, vcc, v7, v5, vcc
	s_waitcnt lgkmcnt(0)
	global_store_dwordx2 v[4:5], v[8:9], off
	s_or_b64 exec, exec, s[46:47]
	s_and_saveexec_b64 s[46:47], s[2:3]
	s_cbranch_execz .LBB48_120
.LBB48_129:                             ;   in Loop: Header=BB48_117 Depth=2
	s_and_b64 vcc, exec, s[12:13]
	s_cbranch_vccnz .LBB48_137
; %bb.130:                              ;   in Loop: Header=BB48_117 Depth=2
	v_add3_u32 v4, v3, s41, 8
	v_mad_u64_u32 v[4:5], s[48:49], v4, s54, v[0:1]
	s_cbranch_execnz .LBB48_132
.LBB48_131:                             ;   in Loop: Header=BB48_117 Depth=2
	v_add3_u32 v4, v25, v3, 8
.LBB48_132:                             ;   in Loop: Header=BB48_117 Depth=2
	ds_read_b64 v[8:9], v6 offset:64
	v_ashrrev_i32_e32 v5, 31, v4
	v_lshlrev_b64 v[4:5], 3, v[4:5]
	v_mov_b32_e32 v7, s29
	v_add_co_u32_e32 v4, vcc, s28, v4
	v_addc_co_u32_e32 v5, vcc, v7, v5, vcc
	s_waitcnt lgkmcnt(0)
	global_store_dwordx2 v[4:5], v[8:9], off
	s_or_b64 exec, exec, s[46:47]
	s_and_saveexec_b64 s[46:47], s[2:3]
	s_cbranch_execz .LBB48_116
.LBB48_133:                             ;   in Loop: Header=BB48_117 Depth=2
	s_and_b64 vcc, exec, s[12:13]
	s_cbranch_vccnz .LBB48_138
; %bb.134:                              ;   in Loop: Header=BB48_117 Depth=2
	v_add3_u32 v4, v3, s41, 12
	v_mad_u64_u32 v[4:5], s[12:13], v4, s54, v[0:1]
	s_cbranch_execnz .LBB48_115
	s_branch .LBB48_139
.LBB48_135:                             ;   in Loop: Header=BB48_117 Depth=2
                                        ; implicit-def: $vgpr4
	s_branch .LBB48_123
.LBB48_136:                             ;   in Loop: Header=BB48_117 Depth=2
                                        ; implicit-def: $vgpr4
	s_branch .LBB48_127
.LBB48_137:                             ;   in Loop: Header=BB48_117 Depth=2
                                        ; implicit-def: $vgpr4
	s_branch .LBB48_131
.LBB48_138:                             ;   in Loop: Header=BB48_117 Depth=2
                                        ; implicit-def: $vgpr4
.LBB48_139:                             ;   in Loop: Header=BB48_117 Depth=2
	v_add3_u32 v4, v25, v3, 12
	s_branch .LBB48_115
.LBB48_140:
	v_cmp_gt_i32_e64 s[0:1], s54, v1
	s_and_saveexec_b64 s[4:5], s[0:1]
	s_cbranch_execz .LBB48_153
; %bb.141:
	s_mul_i32 s24, s33, s54
	v_add_u32_e32 v2, s24, v0
	s_cmp_lg_u32 s55, 0
	v_mul_lo_u32 v6, v2, s54
	v_mul_u32_u24_e32 v2, 0x88, v0
	v_lshlrev_b32_e32 v3, 3, v1
	s_movk_i32 s8, 0x1100
	s_cselect_b64 s[6:7], -1, 0
	v_cmp_gt_i32_e64 s[2:3], s54, v0
	v_add3_u32 v7, v2, v3, s8
	s_mov_b64 s[8:9], 0
	v_mov_b32_e32 v8, v1
	s_branch .LBB48_143
.LBB48_142:                             ;   in Loop: Header=BB48_143 Depth=1
	s_or_b64 exec, exec, s[12:13]
	v_add_u32_e32 v8, 4, v8
	v_cmp_le_i32_e32 vcc, s54, v8
	s_waitcnt vmcnt(0)
	ds_write_b64 v7, v[4:5]
	s_or_b64 s[8:9], vcc, s[8:9]
	v_add_u32_e32 v7, 32, v7
	s_andn2_b64 exec, exec, s[8:9]
	s_cbranch_execz .LBB48_153
.LBB48_143:                             ; =>This Inner Loop Header: Depth=1
	s_and_b64 vcc, exec, s[6:7]
	s_cbranch_vccz .LBB48_148
; %bb.144:                              ;   in Loop: Header=BB48_143 Depth=1
	s_mov_b64 s[12:13], 0
	s_mov_b64 s[10:11], 0
                                        ; implicit-def: $vgpr2
	s_and_saveexec_b64 s[16:17], s[2:3]
	s_xor_b64 s[16:17], exec, s[16:17]
; %bb.145:                              ;   in Loop: Header=BB48_143 Depth=1
	v_add_u32_e32 v2, s24, v8
	s_mov_b64 s[10:11], exec
	v_mad_u64_u32 v[2:3], s[26:27], v2, s54, v[0:1]
; %bb.146:                              ;   in Loop: Header=BB48_143 Depth=1
	s_or_b64 exec, exec, s[16:17]
	s_mov_b32 s16, 0
	s_and_b64 vcc, exec, s[12:13]
	s_cbranch_vccnz .LBB48_149
.LBB48_147:                             ;   in Loop: Header=BB48_143 Depth=1
	v_mov_b32_e32 v4, s16
	v_mov_b32_e32 v5, s16
	s_and_saveexec_b64 s[12:13], s[10:11]
	s_cbranch_execz .LBB48_142
	s_branch .LBB48_152
.LBB48_148:                             ;   in Loop: Header=BB48_143 Depth=1
	s_mov_b64 s[10:11], 0
                                        ; implicit-def: $vgpr2
                                        ; implicit-def: $sgpr16
	s_cbranch_execz .LBB48_147
.LBB48_149:                             ;   in Loop: Header=BB48_143 Depth=1
                                        ; implicit-def: $vgpr2
	s_and_saveexec_b64 s[12:13], s[2:3]
; %bb.150:                              ;   in Loop: Header=BB48_143 Depth=1
	v_add_u32_e32 v2, v6, v8
	s_or_b64 s[10:11], s[10:11], exec
; %bb.151:                              ;   in Loop: Header=BB48_143 Depth=1
	s_or_b64 exec, exec, s[12:13]
	s_mov_b32 s16, 0
	v_mov_b32_e32 v4, s16
	v_mov_b32_e32 v5, s16
	s_and_saveexec_b64 s[12:13], s[10:11]
	s_cbranch_execz .LBB48_142
.LBB48_152:                             ;   in Loop: Header=BB48_143 Depth=1
	v_ashrrev_i32_e32 v3, 31, v2
	v_lshlrev_b64 v[2:3], 3, v[2:3]
	v_mov_b32_e32 v4, s29
	v_add_co_u32_e32 v2, vcc, s28, v2
	v_addc_co_u32_e32 v3, vcc, v4, v3, vcc
	global_load_dwordx2 v[4:5], v[2:3], off
	s_branch .LBB48_142
.LBB48_153:
	s_or_b64 exec, exec, s[4:5]
; %bb.154:
	s_cmp_lt_i32 s54, 1
	s_waitcnt lgkmcnt(0)
	s_cbranch_scc1 .LBB48_185
; %bb.155:
	v_or_b32_e32 v2, v1, v0
	s_movk_i32 s34, 0x88
	v_mov_b32_e32 v3, 0x1980
	v_cmp_ne_u32_e64 s[2:3], 0, v2
	v_lshlrev_b32_e32 v2, 3, v0
	v_mul_u32_u24_e32 v10, 0x88, v0
	s_movk_i32 s35, 0x1100
	v_mad_u32_u24 v12, v0, s34, v3
	v_add3_u32 v11, v10, v2, s35
	v_add_u32_e32 v13, v12, v2
	v_lshrrev_b32_e32 v2, 2, v16
	v_add_u32_e32 v14, v12, v15
	v_add_u32_e32 v4, 1, v2
	v_add_u32_e32 v5, -1, v2
	v_lshl_add_u32 v2, v2, 5, v14
	v_or_b32_e32 v3, 4, v14
	s_movk_i32 s4, 0x53
	v_or_b32_e32 v7, 4, v2
	v_cmp_lt_u32_e32 vcc, s4, v16
	v_cmp_lt_u32_e64 s[4:5], v7, v3
	s_brev_b32 s6, -8
	v_cmp_lt_u32_e64 s[8:9], v2, v14
	v_lshrrev_b32_e32 v6, 1, v5
	v_cmp_lt_u32_e64 s[6:7], s6, v16
	s_or_b64 s[4:5], s[8:9], s[4:5]
	v_add_u32_e32 v6, 1, v6
	s_or_b64 s[4:5], s[4:5], s[6:7]
	v_and_b32_e32 v2, 0x7ffffffe, v4
	s_xor_b64 s[10:11], s[4:5], -1
	v_lshl_add_u32 v16, v2, 2, v1
	v_and_b32_e32 v17, 3, v6
	v_cmp_ne_u32_e64 s[8:9], v4, v2
	v_mov_b32_e32 v2, 0x1100
	s_mov_b32 s30, 0
	s_add_i32 s31, s20, s21
	v_cmp_lt_u32_e64 s[4:5], 5, v5
	v_and_b32_e32 v18, -4, v6
	v_cmp_ne_u32_e64 s[6:7], 0, v17
	s_and_b64 s[12:13], vcc, s[10:11]
	v_mul_u32_u24_e32 v19, 0x88, v1
	v_mad_u32_u24 v20, v1, s34, v2
	s_mov_b32 s36, 0xf800000
	v_mov_b32_e32 v21, 0x260
	v_mov_b32_e32 v3, 0
	s_movk_i32 s37, 0x220
	v_mul_lo_u32 v22, v16, s34
	v_lshlrev_b32_e32 v23, 3, v16
	s_branch .LBB48_157
.LBB48_156:                             ;   in Loop: Header=BB48_157 Depth=1
	s_or_b64 exec, exec, s[10:11]
	s_add_i32 s30, s30, 1
	s_add_i32 s35, s35, 8
	s_cmp_eq_u32 s30, s54
	v_add_u32_e32 v20, 8, v20
	s_waitcnt lgkmcnt(0)
	s_cbranch_scc1 .LBB48_185
.LBB48_157:                             ; =>This Loop Header: Depth=1
                                        ;     Child Loop BB48_174 Depth 2
                                        ;     Child Loop BB48_178 Depth 2
	;; [unrolled: 1-line block ×3, first 2 shown]
	v_cmp_eq_u32_e32 vcc, s30, v0
	s_and_saveexec_b64 s[16:17], vcc
	s_cbranch_execz .LBB48_165
; %bb.158:                              ;   in Loop: Header=BB48_157 Depth=1
	ds_read_b64 v[4:5], v11
	ds_read_b64 v[6:7], v13
	s_waitcnt lgkmcnt(0)
	v_sub_f32_e32 v2, v4, v6
	v_sub_f32_e32 v6, v5, v7
	v_cmp_gt_f32_e32 vcc, 0, v2
	v_cndmask_b32_e64 v2, v2, -v2, vcc
	v_cmp_gt_f32_e32 vcc, 0, v6
	v_cndmask_b32_e64 v4, v6, -v6, vcc
	v_cmp_ngt_f32_e32 vcc, v2, v4
                                        ; implicit-def: $vgpr5
	s_and_saveexec_b64 s[10:11], vcc
	s_xor_b64 s[24:25], exec, s[10:11]
	s_cbranch_execz .LBB48_162
; %bb.159:                              ;   in Loop: Header=BB48_157 Depth=1
	v_cmp_neq_f32_e32 vcc, 0, v6
	v_mov_b32_e32 v5, 0
	s_and_saveexec_b64 s[26:27], vcc
	s_cbranch_execz .LBB48_161
; %bb.160:                              ;   in Loop: Header=BB48_157 Depth=1
	v_div_scale_f32 v5, s[10:11], v4, v4, v2
	v_rcp_f32_e32 v6, v5
	v_div_scale_f32 v7, vcc, v2, v4, v2
	v_fma_f32 v8, -v5, v6, 1.0
	v_fmac_f32_e32 v6, v8, v6
	v_mul_f32_e32 v8, v7, v6
	v_fma_f32 v9, -v5, v8, v7
	v_fmac_f32_e32 v8, v9, v6
	v_fma_f32 v5, -v5, v8, v7
	v_div_fmas_f32 v5, v5, v6, v8
	v_div_fixup_f32 v2, v5, v4, v2
	v_fma_f32 v2, v2, v2, 1.0
	v_mul_f32_e32 v5, 0x4f800000, v2
	v_cmp_gt_f32_e32 vcc, s36, v2
	v_cndmask_b32_e32 v2, v2, v5, vcc
	v_sqrt_f32_e32 v5, v2
	v_add_u32_e32 v6, -1, v5
	v_fma_f32 v7, -v6, v5, v2
	v_cmp_ge_f32_e64 s[10:11], 0, v7
	v_add_u32_e32 v7, 1, v5
	v_cndmask_b32_e64 v6, v5, v6, s[10:11]
	v_fma_f32 v5, -v7, v5, v2
	v_cmp_lt_f32_e64 s[10:11], 0, v5
	v_cndmask_b32_e64 v5, v6, v7, s[10:11]
	v_mul_f32_e32 v6, 0x37800000, v5
	v_cndmask_b32_e32 v5, v5, v6, vcc
	v_cmp_class_f32_e32 vcc, v2, v21
	v_cndmask_b32_e32 v2, v5, v2, vcc
	v_mul_f32_e32 v5, v4, v2
.LBB48_161:                             ;   in Loop: Header=BB48_157 Depth=1
	s_or_b64 exec, exec, s[26:27]
                                        ; implicit-def: $vgpr2
                                        ; implicit-def: $vgpr4
.LBB48_162:                             ;   in Loop: Header=BB48_157 Depth=1
	s_andn2_saveexec_b64 s[24:25], s[24:25]
	s_cbranch_execz .LBB48_164
; %bb.163:                              ;   in Loop: Header=BB48_157 Depth=1
	v_div_scale_f32 v5, s[10:11], v2, v2, v4
	v_rcp_f32_e32 v6, v5
	v_div_scale_f32 v7, vcc, v4, v2, v4
	v_fma_f32 v8, -v5, v6, 1.0
	v_fmac_f32_e32 v6, v8, v6
	v_mul_f32_e32 v8, v7, v6
	v_fma_f32 v9, -v5, v8, v7
	v_fmac_f32_e32 v8, v9, v6
	v_fma_f32 v5, -v5, v8, v7
	v_div_fmas_f32 v5, v5, v6, v8
	v_div_fixup_f32 v4, v5, v2, v4
	v_fma_f32 v4, v4, v4, 1.0
	v_mul_f32_e32 v5, 0x4f800000, v4
	v_cmp_gt_f32_e32 vcc, s36, v4
	v_cndmask_b32_e32 v4, v4, v5, vcc
	v_sqrt_f32_e32 v5, v4
	v_add_u32_e32 v6, -1, v5
	v_fma_f32 v7, -v6, v5, v4
	v_cmp_ge_f32_e64 s[10:11], 0, v7
	v_add_u32_e32 v7, 1, v5
	v_cndmask_b32_e64 v6, v5, v6, s[10:11]
	v_fma_f32 v5, -v7, v5, v4
	v_cmp_lt_f32_e64 s[10:11], 0, v5
	v_cndmask_b32_e64 v5, v6, v7, s[10:11]
	v_mul_f32_e32 v6, 0x37800000, v5
	v_cndmask_b32_e32 v5, v5, v6, vcc
	v_cmp_class_f32_e32 vcc, v4, v21
	v_cndmask_b32_e32 v4, v5, v4, vcc
	v_mul_f32_e32 v5, v2, v4
.LBB48_164:                             ;   in Loop: Header=BB48_157 Depth=1
	s_or_b64 exec, exec, s[24:25]
	v_mul_f32_e32 v2, 0x4f800000, v5
	v_cmp_gt_f32_e32 vcc, s36, v5
	v_cndmask_b32_e32 v2, v5, v2, vcc
	v_sqrt_f32_e32 v4, v2
	v_add_u32_e32 v5, -1, v4
	v_fma_f32 v7, -v5, v4, v2
	v_add_u32_e32 v6, 1, v4
	v_cmp_ge_f32_e64 s[10:11], 0, v7
	v_cndmask_b32_e64 v5, v4, v5, s[10:11]
	v_fma_f32 v4, -v6, v4, v2
	v_cmp_lt_f32_e64 s[10:11], 0, v4
	v_cndmask_b32_e64 v4, v5, v6, s[10:11]
	v_mul_f32_e32 v5, 0x37800000, v4
	v_cndmask_b32_e32 v4, v4, v5, vcc
	v_cmp_class_f32_e32 vcc, v2, v21
	v_cndmask_b32_e32 v2, v4, v2, vcc
	ds_write_b64 v11, v[2:3]
.LBB48_165:                             ;   in Loop: Header=BB48_157 Depth=1
	s_or_b64 exec, exec, s[16:17]
	s_lshl_b32 s10, s30, 3
	s_mul_i32 s11, s30, 0x88
	s_add_i32 s11, s11, s10
	v_mov_b32_e32 v2, s11
	s_waitcnt lgkmcnt(0)
	ds_read_b64 v[8:9], v2 offset:4352
	v_mov_b32_e32 v2, s10
	v_mad_u32_u24 v7, v0, s34, v2
	ds_read_b64 v[4:5], v7 offset:4352
	s_waitcnt lgkmcnt(1)
	v_cmp_neq_f32_e32 vcc, 0, v8
	v_cmp_neq_f32_e64 s[10:11], 0, v9
	s_or_b64 vcc, vcc, s[10:11]
	s_or_b64 s[10:11], vcc, s[2:3]
	v_cndmask_b32_e32 v2, 0, v9, vcc
	s_xor_b64 s[16:17], s[10:11], -1
	v_cndmask_b32_e32 v6, 1.0, v8, vcc
	s_and_saveexec_b64 s[10:11], s[16:17]
	s_cbranch_execz .LBB48_169
; %bb.166:                              ;   in Loop: Header=BB48_157 Depth=1
	v_mbcnt_lo_u32_b32 v2, exec_lo, 0
	v_mbcnt_hi_u32_b32 v2, exec_hi, v2
	v_cmp_eq_u32_e32 vcc, 0, v2
	s_and_saveexec_b64 s[16:17], vcc
	s_cbranch_execz .LBB48_168
; %bb.167:                              ;   in Loop: Header=BB48_157 Depth=1
	v_mov_b32_e32 v2, s31
	global_atomic_smin v3, v2, s[22:23]
.LBB48_168:                             ;   in Loop: Header=BB48_157 Depth=1
	s_or_b64 exec, exec, s[16:17]
	v_mov_b32_e32 v2, 0
	v_mov_b32_e32 v6, 1.0
.LBB48_169:                             ;   in Loop: Header=BB48_157 Depth=1
	s_or_b64 exec, exec, s[10:11]
	v_cmp_lt_u32_e32 vcc, s30, v0
	s_and_saveexec_b64 s[10:11], vcc
	s_cbranch_execz .LBB48_156
; %bb.170:                              ;   in Loop: Header=BB48_157 Depth=1
	v_mul_f32_e32 v24, v2, v2
	v_fmac_f32_e32 v24, v6, v6
	v_div_scale_f32 v8, s[16:17], v24, v24, 1.0
	v_rcp_f32_e32 v25, v8
	v_add_u32_e32 v28, 0x1100, v7
	v_lshl_add_u32 v7, s30, 3, v10
	v_fma_f32 v9, -v8, v25, 1.0
	v_fmac_f32_e32 v25, v9, v25
	v_div_scale_f32 v9, vcc, 1.0, v24, 1.0
	v_mul_f32_e32 v26, v9, v25
	v_fma_f32 v27, -v8, v26, v9
	v_fmac_f32_e32 v26, v27, v25
	v_fma_f32 v27, -v8, v26, v9
	ds_read_b64 v[8:9], v7 offset:6528
	v_div_fmas_f32 v7, v27, v25, v26
	s_waitcnt lgkmcnt(1)
	v_mov_b32_e32 v26, v5
	v_mov_b32_e32 v27, v4
	v_div_fixup_f32 v24, v7, v24, 1.0
	s_waitcnt lgkmcnt(0)
	v_pk_add_f32 v[4:5], v[26:27], v[8:9] op_sel:[0,1] op_sel_hi:[1,0] neg_lo:[0,1] neg_hi:[0,1]
	v_pk_mul_f32 v[8:9], v[2:3], v[4:5] op_sel:[0,1] op_sel_hi:[0,0] neg_lo:[0,1]
	v_pk_fma_f32 v[4:5], v[4:5], v[6:7], v[8:9] op_sel_hi:[1,0,1]
	v_pk_mul_f32 v[4:5], v[24:25], v[4:5] op_sel_hi:[0,1]
	v_mov_b32_e32 v6, v5
	v_mov_b32_e32 v7, v4
	ds_write_b64 v28, v[6:7]
	s_waitcnt lgkmcnt(0)
	s_and_b64 exec, exec, s[0:1]
	s_cbranch_execz .LBB48_156
; %bb.171:                              ;   in Loop: Header=BB48_157 Depth=1
	s_mov_b64 s[24:25], -1
	v_mov_b32_e32 v2, v1
	v_mov_b32_e32 v8, v19
	;; [unrolled: 1-line block ×3, first 2 shown]
	s_and_saveexec_b64 s[16:17], s[12:13]
	s_cbranch_execz .LBB48_182
; %bb.172:                              ;   in Loop: Header=BB48_157 Depth=1
	v_mov_b32_e32 v6, v5
	v_mov_b32_e32 v7, v5
	;; [unrolled: 1-line block ×5, first 2 shown]
	s_and_saveexec_b64 s[24:25], s[4:5]
	s_cbranch_execz .LBB48_176
; %bb.173:                              ;   in Loop: Header=BB48_157 Depth=1
	s_mov_b32 s38, 0
	s_mov_b64 s[26:27], 0
	v_mov_b32_e32 v2, v18
	v_mov_b32_e32 v24, v14
	;; [unrolled: 1-line block ×3, first 2 shown]
.LBB48_174:                             ;   Parent Loop BB48_157 Depth=1
                                        ; =>  This Inner Loop Header: Depth=2
	ds_read2_b64 v[26:29], v25 offset1:68
	ds_read2_b64 v[30:33], v24 offset1:4
	v_add_u32_e32 v38, 0x800, v25
	v_add_u32_e32 v2, -4, v2
	s_add_i32 s38, s38, 8
	s_waitcnt lgkmcnt(1)
	v_mov_b32_e32 v34, v26
	v_mov_b32_e32 v35, v28
	;; [unrolled: 1-line block ×3, first 2 shown]
	s_waitcnt lgkmcnt(0)
	v_mov_b32_e32 v26, v30
	v_mov_b32_e32 v27, v32
	;; [unrolled: 1-line block ×3, first 2 shown]
	v_pk_fma_f32 v[26:27], v[6:7], v[34:35], v[26:27]
	v_pk_fma_f32 v[30:31], v[8:9], v[28:29], v[26:27]
	;; [unrolled: 1-line block ×3, first 2 shown]
	v_pk_fma_f32 v[34:35], v[6:7], v[28:29], v[26:27] neg_lo:[0,1,0] neg_hi:[0,1,0]
	v_mov_b32_e32 v36, v30
	ds_read2_b64 v[26:29], v25 offset0:136 offset1:204
	v_mov_b32_e32 v37, v34
	v_mov_b32_e32 v34, v31
	ds_read2_b64 v[30:33], v24 offset0:8 offset1:12
	ds_write2_b64 v24, v[36:37], v[34:35] offset1:4
	s_waitcnt lgkmcnt(2)
	v_mov_b32_e32 v34, v26
	v_mov_b32_e32 v35, v28
	;; [unrolled: 1-line block ×3, first 2 shown]
	s_waitcnt lgkmcnt(1)
	v_mov_b32_e32 v26, v30
	v_mov_b32_e32 v27, v32
	v_mov_b32_e32 v32, v31
	v_pk_fma_f32 v[26:27], v[6:7], v[34:35], v[26:27]
	v_pk_fma_f32 v[30:31], v[8:9], v[28:29], v[26:27]
	;; [unrolled: 1-line block ×3, first 2 shown]
	v_pk_fma_f32 v[34:35], v[6:7], v[28:29], v[26:27] neg_lo:[0,1,0] neg_hi:[0,1,0]
	v_mov_b32_e32 v36, v30
	ds_read2_b64 v[26:29], v38 offset0:16 offset1:84
	v_mov_b32_e32 v37, v34
	v_mov_b32_e32 v34, v31
	ds_read2_b64 v[30:33], v24 offset0:16 offset1:20
	ds_write2_b64 v24, v[36:37], v[34:35] offset0:8 offset1:12
	s_waitcnt lgkmcnt(2)
	v_mov_b32_e32 v34, v26
	v_mov_b32_e32 v35, v28
	;; [unrolled: 1-line block ×3, first 2 shown]
	s_waitcnt lgkmcnt(1)
	v_mov_b32_e32 v26, v30
	v_mov_b32_e32 v27, v32
	;; [unrolled: 1-line block ×3, first 2 shown]
	v_pk_fma_f32 v[26:27], v[6:7], v[34:35], v[26:27]
	v_pk_fma_f32 v[30:31], v[8:9], v[28:29], v[26:27]
	;; [unrolled: 1-line block ×3, first 2 shown]
	v_pk_fma_f32 v[34:35], v[6:7], v[28:29], v[26:27] neg_lo:[0,1,0] neg_hi:[0,1,0]
	v_mov_b32_e32 v36, v30
	ds_read2_b64 v[26:29], v38 offset0:152 offset1:220
	v_mov_b32_e32 v37, v34
	v_mov_b32_e32 v34, v31
	ds_read2_b64 v[30:33], v24 offset0:24 offset1:28
	ds_write2_b64 v24, v[36:37], v[34:35] offset0:16 offset1:20
	s_waitcnt lgkmcnt(2)
	v_mov_b32_e32 v34, v26
	v_mov_b32_e32 v35, v28
	;; [unrolled: 1-line block ×3, first 2 shown]
	s_waitcnt lgkmcnt(1)
	v_mov_b32_e32 v26, v30
	v_mov_b32_e32 v27, v32
	;; [unrolled: 1-line block ×3, first 2 shown]
	v_pk_fma_f32 v[26:27], v[6:7], v[34:35], v[26:27]
	v_pk_fma_f32 v[30:31], v[8:9], v[34:35], v[32:33]
	v_pk_fma_f32 v[26:27], v[8:9], v[28:29], v[26:27]
	v_pk_fma_f32 v[28:29], v[6:7], v[28:29], v[30:31] neg_lo:[0,1,0] neg_hi:[0,1,0]
	v_mov_b32_e32 v30, v26
	v_mov_b32_e32 v31, v28
	;; [unrolled: 1-line block ×3, first 2 shown]
	v_cmp_eq_u32_e32 vcc, 0, v2
	ds_write2_b64 v24, v[30:31], v[28:29] offset0:24 offset1:28
	v_add_u32_e32 v25, 0x1100, v25
	v_add_u32_e32 v24, 0x100, v24
	s_or_b64 s[26:27], vcc, s[26:27]
	v_mov_b32_e32 v26, s38
	s_andn2_b64 exec, exec, s[26:27]
	s_cbranch_execnz .LBB48_174
; %bb.175:                              ;   in Loop: Header=BB48_157 Depth=1
	s_or_b64 exec, exec, s[26:27]
.LBB48_176:                             ;   in Loop: Header=BB48_157 Depth=1
	s_or_b64 exec, exec, s[24:25]
	s_and_saveexec_b64 s[24:25], s[6:7]
	s_cbranch_execz .LBB48_179
; %bb.177:                              ;   in Loop: Header=BB48_157 Depth=1
	v_lshl_add_u32 v2, v26, 5, v14
	v_mul_lo_u32 v24, v26, s37
	s_mov_b64 s[26:27], 0
	v_mov_b32_e32 v25, v17
.LBB48_178:                             ;   Parent Loop BB48_157 Depth=1
                                        ; =>  This Inner Loop Header: Depth=2
	v_add_u32_e32 v30, v20, v24
	ds_read2_b64 v[26:29], v2 offset1:4
	ds_read2_b64 v[30:33], v30 offset1:68
	v_add_u32_e32 v25, -1, v25
	v_cmp_eq_u32_e32 vcc, 0, v25
	s_or_b64 s[26:27], vcc, s[26:27]
	s_waitcnt lgkmcnt(1)
	v_mov_b32_e32 v34, v26
	s_waitcnt lgkmcnt(0)
	v_mov_b32_e32 v36, v30
	v_mov_b32_e32 v37, v32
	;; [unrolled: 1-line block ×5, first 2 shown]
	v_pk_fma_f32 v[26:27], v[6:7], v[36:37], v[34:35]
	v_pk_fma_f32 v[28:29], v[8:9], v[36:37], v[28:29]
	;; [unrolled: 1-line block ×3, first 2 shown]
	v_pk_fma_f32 v[28:29], v[6:7], v[32:33], v[28:29] neg_lo:[0,1,0] neg_hi:[0,1,0]
	v_mov_b32_e32 v30, v26
	v_mov_b32_e32 v31, v28
	;; [unrolled: 1-line block ×3, first 2 shown]
	ds_write2_b64 v2, v[30:31], v[28:29] offset1:4
	v_add_u32_e32 v2, 64, v2
	v_add_u32_e32 v24, 0x440, v24
	s_andn2_b64 exec, exec, s[26:27]
	s_cbranch_execnz .LBB48_178
.LBB48_179:                             ;   in Loop: Header=BB48_157 Depth=1
	s_or_b64 exec, exec, s[24:25]
	s_mov_b64 s[24:25], 0
	s_and_saveexec_b64 s[26:27], s[8:9]
; %bb.180:                              ;   in Loop: Header=BB48_157 Depth=1
	s_mov_b64 s[24:25], exec
; %bb.181:                              ;   in Loop: Header=BB48_157 Depth=1
	s_or_b64 exec, exec, s[26:27]
	s_orn2_b64 s[24:25], s[24:25], exec
	v_mov_b32_e32 v2, v16
	v_mov_b32_e32 v8, v22
	;; [unrolled: 1-line block ×3, first 2 shown]
.LBB48_182:                             ;   in Loop: Header=BB48_157 Depth=1
	s_or_b64 exec, exec, s[16:17]
	s_and_b64 exec, exec, s[24:25]
	s_cbranch_execz .LBB48_156
; %bb.183:                              ;   in Loop: Header=BB48_157 Depth=1
	v_mov_b32_e32 v6, v5
	v_mov_b32_e32 v7, v4
	v_add_u32_e32 v9, v12, v9
	s_mov_b64 s[16:17], 0
	s_mov_b32 s24, s35
.LBB48_184:                             ;   Parent Loop BB48_157 Depth=1
                                        ; =>  This Inner Loop Header: Depth=2
	v_add_u32_e32 v26, s24, v8
	ds_read_b64 v[24:25], v9
	ds_read_b64 v[26:27], v26
	v_add_u32_e32 v2, 4, v2
	s_addk_i32 s24, 0x220
	v_cmp_le_i32_e32 vcc, s54, v2
	s_or_b64 s[16:17], vcc, s[16:17]
	s_waitcnt lgkmcnt(0)
	v_pk_fma_f32 v[24:25], v[6:7], v[26:27], v[24:25] op_sel_hi:[1,0,1]
	v_pk_fma_f32 v[24:25], v[4:5], v[26:27], v[24:25] op_sel:[0,1,0] neg_hi:[0,1,0]
	ds_write_b64 v9, v[24:25]
	v_add_u32_e32 v9, 32, v9
	s_andn2_b64 exec, exec, s[16:17]
	s_cbranch_execnz .LBB48_184
	s_branch .LBB48_156
.LBB48_185:
	s_and_saveexec_b64 s[2:3], s[0:1]
	s_cbranch_execz .LBB48_194
; %bb.186:
	s_mul_i32 s33, s33, s54
	v_add_u32_e32 v2, s33, v0
	s_cmp_lg_u32 s55, 0
	v_mul_lo_u32 v4, v2, s54
	v_mul_u32_u24_e32 v2, 0x88, v0
	s_movk_i32 s6, 0x1100
	v_cmp_gt_i32_e64 s[0:1], s54, v0
	s_cselect_b64 s[4:5], -1, 0
	v_add3_u32 v5, v2, v15, s6
	s_mov_b64 s[6:7], 0
	v_mov_b32_e32 v6, v1
	s_branch .LBB48_189
.LBB48_187:                             ;   in Loop: Header=BB48_189 Depth=1
	ds_read_b64 v[8:9], v5
	v_ashrrev_i32_e32 v3, 31, v2
	v_lshlrev_b64 v[2:3], 3, v[2:3]
	v_mov_b32_e32 v7, s29
	v_add_co_u32_e32 v2, vcc, s28, v2
	v_addc_co_u32_e32 v3, vcc, v7, v3, vcc
	s_waitcnt lgkmcnt(0)
	global_store_dwordx2 v[2:3], v[8:9], off
.LBB48_188:                             ;   in Loop: Header=BB48_189 Depth=1
	s_or_b64 exec, exec, s[8:9]
	v_add_u32_e32 v6, 4, v6
	v_cmp_le_i32_e32 vcc, s54, v6
	s_or_b64 s[6:7], vcc, s[6:7]
	v_add_u32_e32 v5, 32, v5
	s_andn2_b64 exec, exec, s[6:7]
	s_cbranch_execz .LBB48_194
.LBB48_189:                             ; =>This Inner Loop Header: Depth=1
	s_and_saveexec_b64 s[8:9], s[0:1]
	s_cbranch_execz .LBB48_188
; %bb.190:                              ;   in Loop: Header=BB48_189 Depth=1
	s_and_b64 vcc, exec, s[4:5]
	s_cbranch_vccz .LBB48_192
; %bb.191:                              ;   in Loop: Header=BB48_189 Depth=1
	v_add_u32_e32 v2, s33, v6
	v_mad_u64_u32 v[2:3], s[10:11], v2, s54, v[0:1]
	s_cbranch_execnz .LBB48_187
	s_branch .LBB48_193
.LBB48_192:                             ;   in Loop: Header=BB48_189 Depth=1
                                        ; implicit-def: $vgpr2
.LBB48_193:                             ;   in Loop: Header=BB48_189 Depth=1
	v_add_u32_e32 v2, v4, v6
	s_branch .LBB48_187
.LBB48_194:
	s_or_b64 exec, exec, s[2:3]
	v_or_b32_e32 v2, v1, v0
	v_cmp_eq_u32_e64 s[0:1], 0, v2
.LBB48_195:
	s_and_saveexec_b64 s[2:3], s[0:1]
	s_cbranch_execnz .LBB48_203
.LBB48_196:
	s_endpgm
.LBB48_197:
	s_mov_b64 s[0:1], 0
	s_cbranch_execz .LBB48_195
; %bb.198:
	v_or_b32_e32 v0, v1, v0
	v_cmp_eq_u32_e32 vcc, 0, v0
	s_and_saveexec_b64 s[2:3], vcc
	s_cbranch_execz .LBB48_202
; %bb.199:
	v_mbcnt_lo_u32_b32 v0, exec_lo, 0
	v_mbcnt_hi_u32_b32 v0, exec_hi, v0
	v_cmp_eq_u32_e32 vcc, 0, v0
	s_and_saveexec_b64 s[4:5], vcc
	s_cbranch_execz .LBB48_201
; %bb.200:
	s_add_i32 s6, s20, s21
	v_mov_b32_e32 v0, 0
	v_mov_b32_e32 v1, s6
	global_atomic_smin v0, v1, s[22:23]
.LBB48_201:
	s_or_b64 exec, exec, s[4:5]
	s_or_b64 s[0:1], s[0:1], exec
.LBB48_202:
	s_or_b64 exec, exec, s[2:3]
	s_and_saveexec_b64 s[2:3], s[0:1]
	s_cbranch_execz .LBB48_196
.LBB48_203:
	s_add_u32 s0, s18, s14
	s_addc_u32 s1, s19, s15
	v_mov_b32_e32 v0, 0
	v_mov_b32_e32 v1, 1
	s_waitcnt vmcnt(0)
	global_store_dword v0, v1, s[0:1]
	s_endpgm
	.section	.rodata,"a",@progbits
	.p2align	6, 0x0
	.amdhsa_kernel _ZN9rocsparseL18bsric0_9_16_kernelILi64ELi32ELi16E21rocsparse_complex_numIfEEEv20rocsparse_direction_iiPKiS5_PT2_S5_PiS5_S8_21rocsparse_index_base_
		.amdhsa_group_segment_fixed_size 9088
		.amdhsa_private_segment_fixed_size 0
		.amdhsa_kernarg_size 76
		.amdhsa_user_sgpr_count 6
		.amdhsa_user_sgpr_private_segment_buffer 1
		.amdhsa_user_sgpr_dispatch_ptr 0
		.amdhsa_user_sgpr_queue_ptr 0
		.amdhsa_user_sgpr_kernarg_segment_ptr 1
		.amdhsa_user_sgpr_dispatch_id 0
		.amdhsa_user_sgpr_flat_scratch_init 0
		.amdhsa_user_sgpr_kernarg_preload_length 0
		.amdhsa_user_sgpr_kernarg_preload_offset 0
		.amdhsa_user_sgpr_private_segment_size 0
		.amdhsa_uses_dynamic_stack 0
		.amdhsa_system_sgpr_private_segment_wavefront_offset 0
		.amdhsa_system_sgpr_workgroup_id_x 1
		.amdhsa_system_sgpr_workgroup_id_y 0
		.amdhsa_system_sgpr_workgroup_id_z 0
		.amdhsa_system_sgpr_workgroup_info 0
		.amdhsa_system_vgpr_workitem_id 1
		.amdhsa_next_free_vgpr 70
		.amdhsa_next_free_sgpr 64
		.amdhsa_accum_offset 72
		.amdhsa_reserve_vcc 1
		.amdhsa_reserve_flat_scratch 0
		.amdhsa_float_round_mode_32 0
		.amdhsa_float_round_mode_16_64 0
		.amdhsa_float_denorm_mode_32 3
		.amdhsa_float_denorm_mode_16_64 3
		.amdhsa_dx10_clamp 1
		.amdhsa_ieee_mode 1
		.amdhsa_fp16_overflow 0
		.amdhsa_tg_split 0
		.amdhsa_exception_fp_ieee_invalid_op 0
		.amdhsa_exception_fp_denorm_src 0
		.amdhsa_exception_fp_ieee_div_zero 0
		.amdhsa_exception_fp_ieee_overflow 0
		.amdhsa_exception_fp_ieee_underflow 0
		.amdhsa_exception_fp_ieee_inexact 0
		.amdhsa_exception_int_div_zero 0
	.end_amdhsa_kernel
	.section	.text._ZN9rocsparseL18bsric0_9_16_kernelILi64ELi32ELi16E21rocsparse_complex_numIfEEEv20rocsparse_direction_iiPKiS5_PT2_S5_PiS5_S8_21rocsparse_index_base_,"axG",@progbits,_ZN9rocsparseL18bsric0_9_16_kernelILi64ELi32ELi16E21rocsparse_complex_numIfEEEv20rocsparse_direction_iiPKiS5_PT2_S5_PiS5_S8_21rocsparse_index_base_,comdat
.Lfunc_end48:
	.size	_ZN9rocsparseL18bsric0_9_16_kernelILi64ELi32ELi16E21rocsparse_complex_numIfEEEv20rocsparse_direction_iiPKiS5_PT2_S5_PiS5_S8_21rocsparse_index_base_, .Lfunc_end48-_ZN9rocsparseL18bsric0_9_16_kernelILi64ELi32ELi16E21rocsparse_complex_numIfEEEv20rocsparse_direction_iiPKiS5_PT2_S5_PiS5_S8_21rocsparse_index_base_
                                        ; -- End function
	.section	.AMDGPU.csdata,"",@progbits
; Kernel info:
; codeLenInByte = 7884
; NumSgprs: 68
; NumVgprs: 70
; NumAgprs: 0
; TotalNumVgprs: 70
; ScratchSize: 0
; MemoryBound: 0
; FloatMode: 240
; IeeeMode: 1
; LDSByteSize: 9088 bytes/workgroup (compile time only)
; SGPRBlocks: 8
; VGPRBlocks: 8
; NumSGPRsForWavesPerEU: 68
; NumVGPRsForWavesPerEU: 70
; AccumOffset: 72
; Occupancy: 2
; WaveLimiterHint : 1
; COMPUTE_PGM_RSRC2:SCRATCH_EN: 0
; COMPUTE_PGM_RSRC2:USER_SGPR: 6
; COMPUTE_PGM_RSRC2:TRAP_HANDLER: 0
; COMPUTE_PGM_RSRC2:TGID_X_EN: 1
; COMPUTE_PGM_RSRC2:TGID_Y_EN: 0
; COMPUTE_PGM_RSRC2:TGID_Z_EN: 0
; COMPUTE_PGM_RSRC2:TIDIG_COMP_CNT: 1
; COMPUTE_PGM_RSRC3_GFX90A:ACCUM_OFFSET: 17
; COMPUTE_PGM_RSRC3_GFX90A:TG_SPLIT: 0
	.section	.text._ZN9rocsparseL19bsric0_17_32_kernelILi64ELi32ELi32E21rocsparse_complex_numIfEEEv20rocsparse_direction_iiPKiS5_PT2_S5_PiS5_S8_21rocsparse_index_base_,"axG",@progbits,_ZN9rocsparseL19bsric0_17_32_kernelILi64ELi32ELi32E21rocsparse_complex_numIfEEEv20rocsparse_direction_iiPKiS5_PT2_S5_PiS5_S8_21rocsparse_index_base_,comdat
	.globl	_ZN9rocsparseL19bsric0_17_32_kernelILi64ELi32ELi32E21rocsparse_complex_numIfEEEv20rocsparse_direction_iiPKiS5_PT2_S5_PiS5_S8_21rocsparse_index_base_ ; -- Begin function _ZN9rocsparseL19bsric0_17_32_kernelILi64ELi32ELi32E21rocsparse_complex_numIfEEEv20rocsparse_direction_iiPKiS5_PT2_S5_PiS5_S8_21rocsparse_index_base_
	.p2align	8
	.type	_ZN9rocsparseL19bsric0_17_32_kernelILi64ELi32ELi32E21rocsparse_complex_numIfEEEv20rocsparse_direction_iiPKiS5_PT2_S5_PiS5_S8_21rocsparse_index_base_,@function
_ZN9rocsparseL19bsric0_17_32_kernelILi64ELi32ELi32E21rocsparse_complex_numIfEEEv20rocsparse_direction_iiPKiS5_PT2_S5_PiS5_S8_21rocsparse_index_base_: ; @_ZN9rocsparseL19bsric0_17_32_kernelILi64ELi32ELi32E21rocsparse_complex_numIfEEEv20rocsparse_direction_iiPKiS5_PT2_S5_PiS5_S8_21rocsparse_index_base_
; %bb.0:
	s_load_dwordx8 s[16:23], s[4:5], 0x28
	s_mov_b32 s7, 0
	s_lshl_b64 s[0:1], s[6:7], 2
	v_and_b32_e32 v1, 0x3ff, v0
	v_bfe_u32 v0, v0, 10, 10
	s_waitcnt lgkmcnt(0)
	s_add_u32 s0, s20, s0
	s_addc_u32 s1, s21, s1
	s_load_dword s20, s[0:1], 0x0
	s_waitcnt lgkmcnt(0)
	s_ashr_i32 s21, s20, 31
	s_lshl_b64 s[14:15], s[20:21], 2
	s_add_u32 s0, s16, s14
	s_addc_u32 s1, s17, s15
	s_load_dword s33, s[0:1], 0x0
	s_load_dword s21, s[4:5], 0x48
	s_waitcnt lgkmcnt(0)
	s_cmp_lg_u32 s33, -1
	s_cbranch_scc0 .LBB49_185
; %bb.1:
	s_load_dwordx4 s[24:27], s[4:5], 0x10
	v_lshlrev_b32_e32 v3, 1, v0
	v_add_u32_e32 v4, v3, v1
	s_waitcnt lgkmcnt(0)
	s_add_u32 s0, s24, s14
	s_addc_u32 s1, s25, s15
	s_load_dword s28, s[0:1], 0x0
	s_waitcnt lgkmcnt(0)
	s_sub_i32 s58, s28, s21
	v_add_u32_e32 v2, s58, v4
	v_cmp_ge_i32_e32 vcc, s33, v2
	s_and_saveexec_b64 s[2:3], vcc
	s_cbranch_execz .LBB49_16
; %bb.2:
	v_add_u32_e32 v4, s28, v4
	v_subrev_u32_e32 v4, s21, v4
	v_add_u32_e32 v4, 64, v4
	s_add_i32 s0, s33, 1
	v_max_i32_e32 v4, s0, v4
	v_not_b32_e32 v5, v1
	v_add3_u32 v4, v4, s21, v5
	v_add_u32_e32 v3, s28, v3
	v_sub_u32_e32 v3, v4, v3
	s_movk_i32 s0, 0x640
	v_cmp_gt_u32_e32 vcc, s0, v3
	s_movk_i32 s0, 0x63f
	v_cmp_lt_u32_e64 s[0:1], s0, v3
	s_and_saveexec_b64 s[6:7], s[0:1]
	s_cbranch_execz .LBB49_13
; %bb.3:
	v_and_b32_e32 v4, 0xffffffc0, v3
	v_add_u32_e32 v4, v2, v4
	v_cmp_ge_i32_e64 s[0:1], v4, v2
	s_mov_b64 s[10:11], -1
	s_and_saveexec_b64 s[8:9], s[0:1]
	s_cbranch_execz .LBB49_12
; %bb.4:
	v_lshrrev_b32_e32 v14, 6, v3
	v_add_u32_e32 v4, -1, v14
	v_add_u32_e32 v3, 64, v2
	v_lshrrev_b32_e32 v5, 1, v4
	v_add_u32_e32 v15, 1, v5
	v_cmp_lt_u32_e64 s[0:1], 13, v4
	v_pk_mov_b32 v[4:5], v[2:3], v[2:3] op_sel:[0,1]
	s_and_saveexec_b64 s[10:11], s[0:1]
	s_cbranch_execz .LBB49_8
; %bb.5:
	v_and_b32_e32 v16, -8, v15
	s_mov_b64 s[12:13], 0
	v_mov_b32_e32 v17, s27
	v_pk_mov_b32 v[4:5], v[2:3], v[2:3] op_sel:[0,1]
.LBB49_6:                               ; =>This Inner Loop Header: Depth=1
	v_ashrrev_i32_e32 v21, 31, v4
	v_mov_b32_e32 v20, v4
	v_lshlrev_b64 v[20:21], 2, v[20:21]
	v_ashrrev_i32_e32 v19, 31, v5
	v_mov_b32_e32 v18, v5
	v_add_co_u32_e64 v20, s[0:1], s26, v20
	v_add_u32_e32 v6, 0x80, v4
	v_lshlrev_b64 v[18:19], 2, v[18:19]
	v_addc_co_u32_e64 v21, s[0:1], v17, v21, s[0:1]
	v_ashrrev_i32_e32 v7, 31, v6
	v_add_co_u32_e64 v18, s[0:1], s26, v18
	v_add_u32_e32 v8, 0x80, v5
	v_addc_co_u32_e64 v19, s[0:1], v17, v19, s[0:1]
	v_lshlrev_b64 v[42:43], 2, v[6:7]
	v_ashrrev_i32_e32 v9, 31, v8
	global_load_dword v3, v[20:21], off
	global_load_dword v7, v[18:19], off
	v_add_co_u32_e64 v18, s[0:1], s26, v42
	v_add_u32_e32 v10, 0x100, v4
	v_lshlrev_b64 v[44:45], 2, v[8:9]
	v_addc_co_u32_e64 v19, s[0:1], v17, v43, s[0:1]
	v_ashrrev_i32_e32 v11, 31, v10
	v_add_co_u32_e64 v20, s[0:1], s26, v44
	v_add_u32_e32 v12, 0x100, v5
	v_lshlrev_b64 v[46:47], 2, v[10:11]
	v_addc_co_u32_e64 v21, s[0:1], v17, v45, s[0:1]
	v_ashrrev_i32_e32 v13, 31, v12
	;; [unrolled: 5-line block ×12, first 2 shown]
	v_add_co_u32_e64 v62, s[0:1], s26, v66
	v_lshlrev_b64 v[68:69], 2, v[40:41]
	v_addc_co_u32_e64 v63, s[0:1], v17, v67, s[0:1]
	v_add_co_u32_e64 v64, s[0:1], s26, v68
	v_addc_co_u32_e64 v65, s[0:1], v17, v69, s[0:1]
	global_load_dword v9, v[20:21], off
	global_load_dword v11, v[18:19], off
	;; [unrolled: 1-line block ×14, first 2 shown]
	v_subrev_u32_e32 v19, s58, v4
	v_add_u32_e32 v16, -8, v16
	v_subrev_u32_e32 v18, s58, v5
	v_lshlrev_b32_e32 v19, 2, v19
	v_subrev_u32_e32 v6, s58, v6
	v_cmp_eq_u32_e64 s[0:1], 0, v16
	s_waitcnt vmcnt(14)
	v_subrev_u32_e32 v7, s21, v7
	v_subrev_u32_e32 v3, s21, v3
	v_add_u32_e32 v5, 0x400, v5
	v_add_u32_e32 v4, 0x400, v4
	v_lshlrev_b32_e32 v18, 2, v18
	v_subrev_u32_e32 v8, s58, v8
	v_subrev_u32_e32 v12, s58, v12
	;; [unrolled: 1-line block ×13, first 2 shown]
	v_lshlrev_b32_e32 v6, 2, v6
	s_or_b64 s[12:13], s[0:1], s[12:13]
	ds_write_b32 v19, v3 offset:25600
	ds_write_b32 v18, v7 offset:25600
	v_lshlrev_b32_e32 v8, 2, v8
	v_lshlrev_b32_e32 v10, 2, v10
	;; [unrolled: 1-line block ×13, first 2 shown]
	s_waitcnt vmcnt(13)
	v_subrev_u32_e32 v3, s21, v9
	s_waitcnt vmcnt(12)
	v_subrev_u32_e32 v7, s21, v11
	s_waitcnt vmcnt(11)
	v_subrev_u32_e32 v9, s21, v13
	s_waitcnt vmcnt(10)
	v_subrev_u32_e32 v11, s21, v23
	s_waitcnt vmcnt(9)
	v_subrev_u32_e32 v13, s21, v25
	s_waitcnt vmcnt(8)
	v_subrev_u32_e32 v18, s21, v27
	s_waitcnt vmcnt(7)
	v_subrev_u32_e32 v19, s21, v29
	s_waitcnt vmcnt(6)
	v_subrev_u32_e32 v23, s21, v31
	s_waitcnt vmcnt(5)
	v_subrev_u32_e32 v25, s21, v33
	s_waitcnt vmcnt(4)
	v_subrev_u32_e32 v27, s21, v35
	s_waitcnt vmcnt(3)
	v_subrev_u32_e32 v29, s21, v37
	s_waitcnt vmcnt(2)
	v_subrev_u32_e32 v31, s21, v39
	s_waitcnt vmcnt(1)
	v_subrev_u32_e32 v33, s21, v41
	s_waitcnt vmcnt(0)
	v_subrev_u32_e32 v35, s21, v66
	ds_write_b32 v6, v7 offset:25600
	ds_write_b32 v8, v3 offset:25600
	;; [unrolled: 1-line block ×14, first 2 shown]
	s_andn2_b64 exec, exec, s[12:13]
	s_cbranch_execnz .LBB49_6
; %bb.7:
	s_or_b64 exec, exec, s[12:13]
.LBB49_8:
	s_or_b64 exec, exec, s[10:11]
	v_and_b32_e32 v3, 7, v15
	v_cmp_ne_u32_e64 s[0:1], 0, v3
	s_and_saveexec_b64 s[10:11], s[0:1]
	s_cbranch_execz .LBB49_11
; %bb.9:
	s_mov_b64 s[12:13], 0
	v_mov_b32_e32 v6, s27
.LBB49_10:                              ; =>This Inner Loop Header: Depth=1
	v_ashrrev_i32_e32 v11, 31, v4
	v_mov_b32_e32 v10, v4
	v_lshlrev_b64 v[10:11], 2, v[10:11]
	v_ashrrev_i32_e32 v9, 31, v5
	v_mov_b32_e32 v8, v5
	v_add_co_u32_e64 v10, s[0:1], s26, v10
	v_lshlrev_b64 v[8:9], 2, v[8:9]
	v_addc_co_u32_e64 v11, s[0:1], v6, v11, s[0:1]
	v_add_co_u32_e64 v8, s[0:1], s26, v8
	v_addc_co_u32_e64 v9, s[0:1], v6, v9, s[0:1]
	global_load_dword v7, v[8:9], off
	global_load_dword v12, v[10:11], off
	v_add_u32_e32 v3, -1, v3
	v_subrev_u32_e32 v9, s58, v4
	v_cmp_eq_u32_e64 s[0:1], 0, v3
	v_subrev_u32_e32 v8, s58, v5
	v_add_u32_e32 v5, 0x80, v5
	v_add_u32_e32 v4, 0x80, v4
	v_lshlrev_b32_e32 v9, 2, v9
	s_or_b64 s[12:13], s[0:1], s[12:13]
	v_lshlrev_b32_e32 v8, 2, v8
	s_waitcnt vmcnt(1)
	v_subrev_u32_e32 v7, s21, v7
	s_waitcnt vmcnt(0)
	v_subrev_u32_e32 v10, s21, v12
	ds_write_b32 v9, v10 offset:25600
	ds_write_b32 v8, v7 offset:25600
	s_andn2_b64 exec, exec, s[12:13]
	s_cbranch_execnz .LBB49_10
.LBB49_11:
	s_or_b64 exec, exec, s[10:11]
	v_add_u32_e32 v3, 1, v14
	v_and_b32_e32 v4, 0x7fffffe, v3
	v_cmp_ne_u32_e64 s[0:1], v3, v4
	v_lshl_add_u32 v2, v4, 6, v2
	s_orn2_b64 s[10:11], s[0:1], exec
.LBB49_12:
	s_or_b64 exec, exec, s[8:9]
	s_andn2_b64 s[0:1], vcc, exec
	s_and_b64 s[8:9], s[10:11], exec
	s_or_b64 vcc, s[0:1], s[8:9]
.LBB49_13:
	s_or_b64 exec, exec, s[6:7]
	s_and_b64 exec, exec, vcc
	s_cbranch_execz .LBB49_16
; %bb.14:
	v_add_u32_e32 v3, s21, v2
	v_subrev_u32_e32 v3, s28, v3
	v_mov_b32_e32 v4, 0x6400
	v_lshl_add_u32 v4, v3, 2, v4
	s_mov_b64 s[0:1], 0
	v_mov_b32_e32 v5, s27
.LBB49_15:                              ; =>This Inner Loop Header: Depth=1
	v_ashrrev_i32_e32 v3, 31, v2
	v_lshlrev_b64 v[6:7], 2, v[2:3]
	v_add_co_u32_e32 v6, vcc, s26, v6
	v_addc_co_u32_e32 v7, vcc, v5, v7, vcc
	global_load_dword v3, v[6:7], off
	v_add_u32_e32 v2, 64, v2
	v_cmp_lt_i32_e32 vcc, s33, v2
	s_or_b64 s[0:1], vcc, s[0:1]
	s_waitcnt vmcnt(0)
	v_subrev_u32_e32 v3, s21, v3
	ds_write_b32 v4, v3
	v_add_u32_e32 v4, 0x100, v4
	s_andn2_b64 exec, exec, s[0:1]
	s_cbranch_execnz .LBB49_15
.LBB49_16:
	s_or_b64 exec, exec, s[2:3]
	s_load_dwordx2 s[28:29], s[4:5], 0x20
	v_cmp_gt_u32_e32 vcc, 32, v1
	v_lshlrev_b32_e32 v15, 3, v1
	s_and_saveexec_b64 s[0:1], vcc
	s_cbranch_execz .LBB49_19
; %bb.17:
	v_mul_u32_u24_e32 v2, 0x108, v0
	v_lshlrev_b32_e32 v3, 3, v1
	s_movk_i32 s2, 0x4200
	v_add3_u32 v5, v2, v3, s2
	v_mov_b32_e32 v2, 0
	v_add_u32_e32 v4, -2, v1
	s_mov_b64 s[2:3], 0
	v_mov_b32_e32 v3, v2
.LBB49_18:                              ; =>This Inner Loop Header: Depth=1
	v_add_u32_e32 v4, 2, v4
	v_cmp_lt_u32_e32 vcc, 29, v4
	ds_write_b64 v5, v[2:3]
	s_or_b64 s[2:3], vcc, s[2:3]
	v_add_u32_e32 v5, 16, v5
	s_andn2_b64 exec, exec, s[2:3]
	s_cbranch_execnz .LBB49_18
.LBB49_19:
	s_or_b64 exec, exec, s[0:1]
	s_load_dword s56, s[4:5], 0x8
	s_load_dword s57, s[4:5], 0x0
	s_cmp_ge_i32 s58, s33
	s_waitcnt lgkmcnt(0)
	v_cmp_gt_i32_e64 s[0:1], s56, v1
	v_xad_u32 v16, v1, -1, s56
	s_cbranch_scc1 .LBB49_128
; %bb.20:
	v_lshlrev_b32_e32 v18, 3, v1
	s_movk_i32 s60, 0x108
	v_or_b32_e32 v2, v1, v0
	v_mad_u32_u24 v19, v0, s60, v18
	v_cmp_ne_u32_e64 s[4:5], 0, v2
	v_lshrrev_b32_e32 v2, 1, v16
	v_add_u32_e32 v20, 0x4200, v19
	s_cmp_eq_u32 s57, 0
	v_add_u32_e32 v4, 1, v2
	v_lshl_add_u32 v2, v2, 4, v20
	s_cselect_b64 s[34:35], -1, 0
	s_cmp_lg_u32 s57, 0
	v_add_u32_e32 v3, 0x4204, v19
	v_or_b32_e32 v5, 4, v2
	s_cselect_b64 s[36:37], -1, 0
	s_cmp_gt_i32 s56, 0
	v_cmp_lt_u32_e64 s[6:7], v5, v3
	s_brev_b32 s8, -8
	v_cmp_lt_u32_e64 s[10:11], v2, v20
	v_cmp_lt_u32_e64 s[8:9], s8, v16
	s_cselect_b64 s[38:39], -1, 0
	s_or_b64 s[6:7], s[10:11], s[6:7]
	s_or_b64 s[6:7], s[6:7], s[8:9]
	v_cmp_lt_u32_e32 vcc, 41, v16
	s_xor_b64 s[12:13], s[6:7], -1
	s_and_b64 s[40:41], vcc, s[12:13]
	s_mul_i32 s12, s56, s58
	v_add_u32_e32 v3, s12, v0
	v_and_b32_e32 v21, -2, v4
	v_mul_lo_u32 v24, s56, v3
	v_mov_b32_e32 v3, 0x2100
	v_lshl_add_u32 v22, v21, 1, v1
	v_and_b32_e32 v2, 3, v4
	v_mad_u32_u24 v25, v0, s60, v3
	v_mad_u32_u24 v27, v1, s60, v3
	v_mov_b32_e32 v3, 0x4200
	s_mul_i32 s59, s56, s56
	s_mov_b32 s30, 0
	v_cmp_gt_i32_e64 s[2:3], s56, v0
	v_mul_lo_u32 v17, v0, s56
	v_cmp_ne_u32_e64 s[6:7], v4, v21
	v_cmp_ne_u32_e64 s[8:9], 0, v2
	v_cmp_lt_u32_e64 s[10:11], 5, v16
	v_mul_lo_u32 v23, v1, s56
	s_lshl_b32 s61, s56, 1
	v_mul_u32_u24_e32 v26, 0x108, v1
	v_mad_u32_u24 v28, v0, s60, v3
	v_add_u32_e32 v29, 0x2100, v19
	v_lshlrev_b32_e32 v30, 3, v2
	v_mov_b32_e32 v2, 0
	v_mul_u32_u24_e32 v31, 0x108, v0
	v_mul_lo_u32 v32, v22, s60
	v_lshlrev_b32_e32 v33, 3, v22
	v_cndmask_b32_e64 v34, 0, 1, s[36:37]
	s_mov_b32 s42, s58
	s_branch .LBB49_22
.LBB49_21:                              ;   in Loop: Header=BB49_22 Depth=1
	s_or_b64 exec, exec, s[44:45]
	s_add_i32 s42, s42, 1
	s_cmp_ge_i32 s42, s33
	s_waitcnt vmcnt(0)
	buffer_wbinvl1_vol
	v_add_u32_e32 v24, s59, v24
	s_cselect_b64 s[12:13], -1, 0
	s_and_b64 vcc, exec, s[12:13]
	s_cbranch_vccnz .LBB49_128
.LBB49_22:                              ; =>This Loop Header: Depth=1
                                        ;     Child Loop BB49_26 Depth 2
                                        ;     Child Loop BB49_39 Depth 2
	;; [unrolled: 1-line block ×4, first 2 shown]
                                        ;       Child Loop BB49_57 Depth 3
                                        ;     Child Loop BB49_70 Depth 2
                                        ;       Child Loop BB49_77 Depth 3
                                        ;       Child Loop BB49_82 Depth 3
	;; [unrolled: 1-line block ×3, first 2 shown]
                                        ;     Child Loop BB49_94 Depth 2
                                        ;     Child Loop BB49_105 Depth 2
	s_ashr_i32 s43, s42, 31
	s_lshl_b64 s[12:13], s[42:43], 2
	s_add_u32 s12, s26, s12
	s_addc_u32 s13, s27, s13
	s_load_dword s62, s[12:13], 0x0
	s_waitcnt lgkmcnt(0)
	s_sub_i32 s44, s62, s21
	s_ashr_i32 s45, s44, 31
	s_lshl_b64 s[12:13], s[44:45], 2
	s_add_u32 s46, s16, s12
	s_addc_u32 s47, s17, s13
	s_load_dword s63, s[46:47], 0x0
	s_waitcnt lgkmcnt(0)
	s_cmp_eq_u32 s63, -1
	s_cbranch_scc1 .LBB49_99
; %bb.23:                               ;   in Loop: Header=BB49_22 Depth=1
	s_add_u32 s46, s24, s12
	s_addc_u32 s47, s25, s13
	s_load_dword s31, s[46:47], 0x0
	s_mul_i32 s43, s42, s56
	s_and_saveexec_b64 s[46:47], s[0:1]
	s_cbranch_execz .LBB49_36
; %bb.24:                               ;   in Loop: Header=BB49_22 Depth=1
	s_mov_b64 s[48:49], 0
	v_mov_b32_e32 v8, v19
	v_mov_b32_e32 v9, v1
	s_branch .LBB49_26
.LBB49_25:                              ;   in Loop: Header=BB49_26 Depth=2
	s_or_b64 exec, exec, s[52:53]
	v_add_u32_e32 v9, 2, v9
	v_mov_b32_e32 v3, v2
	v_cmp_le_i32_e32 vcc, s56, v9
	s_waitcnt vmcnt(0)
	ds_write_b64 v8, v[6:7] offset:8448
	ds_write_b64 v8, v[2:3]
	s_or_b64 s[48:49], vcc, s[48:49]
	v_add_u32_e32 v8, 16, v8
	s_andn2_b64 exec, exec, s[48:49]
	s_cbranch_execz .LBB49_36
.LBB49_26:                              ;   Parent Loop BB49_22 Depth=1
                                        ; =>  This Inner Loop Header: Depth=2
	s_and_b64 vcc, exec, s[36:37]
	s_cbranch_vccz .LBB49_30
; %bb.27:                               ;   in Loop: Header=BB49_26 Depth=2
	s_mov_b64 s[52:53], 0
	s_mov_b64 s[50:51], 0
                                        ; implicit-def: $vgpr4
	s_and_saveexec_b64 s[54:55], s[2:3]
	s_xor_b64 s[54:55], exec, s[54:55]
; %bb.28:                               ;   in Loop: Header=BB49_26 Depth=2
	v_add_u32_e32 v3, s43, v9
	s_mov_b64 s[50:51], exec
	v_mad_u64_u32 v[4:5], s[64:65], v3, s56, v[0:1]
; %bb.29:                               ;   in Loop: Header=BB49_26 Depth=2
	s_or_b64 exec, exec, s[54:55]
	s_mov_b32 s45, 0
	s_and_b64 vcc, exec, s[52:53]
	s_cbranch_vccnz .LBB49_31
	s_branch .LBB49_34
.LBB49_30:                              ;   in Loop: Header=BB49_26 Depth=2
	s_mov_b64 s[50:51], 0
                                        ; implicit-def: $vgpr4
                                        ; implicit-def: $sgpr45
	s_cbranch_execz .LBB49_34
.LBB49_31:                              ;   in Loop: Header=BB49_26 Depth=2
                                        ; implicit-def: $vgpr4
	s_and_saveexec_b64 s[52:53], s[2:3]
; %bb.32:                               ;   in Loop: Header=BB49_26 Depth=2
	v_add_u32_e32 v4, v24, v9
	s_or_b64 s[50:51], s[50:51], exec
; %bb.33:                               ;   in Loop: Header=BB49_26 Depth=2
	s_or_b64 exec, exec, s[52:53]
	s_mov_b32 s45, 0
.LBB49_34:                              ;   in Loop: Header=BB49_26 Depth=2
	v_mov_b32_e32 v6, s45
	v_mov_b32_e32 v7, s45
	s_and_saveexec_b64 s[52:53], s[50:51]
	s_cbranch_execz .LBB49_25
; %bb.35:                               ;   in Loop: Header=BB49_26 Depth=2
	v_ashrrev_i32_e32 v5, 31, v4
	v_lshlrev_b64 v[4:5], 3, v[4:5]
	v_mov_b32_e32 v3, s29
	v_add_co_u32_e32 v4, vcc, s28, v4
	v_addc_co_u32_e32 v5, vcc, v3, v5, vcc
	global_load_dwordx2 v[6:7], v[4:5], off
	s_branch .LBB49_25
.LBB49_36:                              ;   in Loop: Header=BB49_22 Depth=1
	s_or_b64 exec, exec, s[46:47]
; %bb.37:                               ;   in Loop: Header=BB49_22 Depth=1
	ds_read_b32 v3, v2 offset:25600
	s_waitcnt lgkmcnt(0)
	s_sub_i32 s46, s31, s21
	s_cmp_le_i32 s46, s63
	s_cselect_b64 s[48:49], -1, 0
	s_mov_b32 s47, 0
	v_cmp_ge_i32_e32 vcc, s44, v3
	s_and_b64 s[48:49], s[48:49], vcc
	s_andn2_b64 vcc, exec, s[48:49]
	s_cbranch_vccnz .LBB49_49
; %bb.38:                               ;   in Loop: Header=BB49_22 Depth=1
	s_mov_b32 s31, 0
	s_mov_b32 s45, 0
.LBB49_39:                              ;   Parent Loop BB49_22 Depth=1
                                        ; =>  This Inner Loop Header: Depth=2
	s_ashr_i32 s47, s46, 31
	s_lshl_b64 s[48:49], s[46:47], 2
	s_add_u32 s48, s26, s48
	s_addc_u32 s49, s27, s49
	s_load_dword s47, s[48:49], 0x0
	s_lshl_b32 s48, s45, 2
	v_mov_b32_e32 v3, s48
	ds_read_b32 v3, v3 offset:25600
	s_mov_b64 s[48:49], -1
	s_waitcnt lgkmcnt(0)
	s_sub_i32 s53, s47, s21
                                        ; implicit-def: $sgpr47
                                        ; implicit-def: $sgpr52
                                        ; implicit-def: $sgpr51
	v_cmp_ge_i32_e32 vcc, s53, v3
	v_readfirstlane_b32 s50, v3
	s_cbranch_vccz .LBB49_45
; %bb.40:                               ;   in Loop: Header=BB49_39 Depth=2
	s_cmp_le_i32 s53, s50
                                        ; implicit-def: $sgpr47
                                        ; implicit-def: $sgpr52
                                        ; implicit-def: $sgpr51
	s_cbranch_scc0 .LBB49_42
; %bb.41:                               ;   in Loop: Header=BB49_39 Depth=2
	s_add_i32 s47, s45, s58
	s_mul_i32 s47, s47, s59
	s_lshl_b32 s48, s31, 2
	v_mov_b32_e32 v3, s48
	v_mov_b32_e32 v4, s47
	s_mul_i32 s47, s46, s59
	v_mov_b32_e32 v5, s47
	v_add_u32_e32 v3, 0x6000, v3
	ds_write2_b32 v3, v5, v4 offset0:192 offset1:224
	s_add_i32 s51, s45, 1
	s_add_i32 s52, s46, 1
	;; [unrolled: 1-line block ×3, first 2 shown]
	s_mov_b64 s[48:49], 0
.LBB49_42:                              ;   in Loop: Header=BB49_39 Depth=2
	s_andn2_b64 vcc, exec, s[48:49]
	s_cbranch_vccnz .LBB49_44
; %bb.43:                               ;   in Loop: Header=BB49_39 Depth=2
	s_add_i32 s51, s45, 1
	s_mov_b32 s47, s31
	s_mov_b32 s52, s46
.LBB49_44:                              ;   in Loop: Header=BB49_39 Depth=2
	s_mov_b64 s[48:49], 0
.LBB49_45:                              ;   in Loop: Header=BB49_39 Depth=2
	s_andn2_b64 vcc, exec, s[48:49]
	s_cbranch_vccnz .LBB49_47
; %bb.46:                               ;   in Loop: Header=BB49_39 Depth=2
	s_add_i32 s52, s46, 1
	s_mov_b32 s51, s45
	s_mov_b32 s47, s31
.LBB49_47:                              ;   in Loop: Header=BB49_39 Depth=2
	s_cmp_le_i32 s52, s63
	s_cselect_b64 s[48:49], -1, 0
	s_cmp_le_i32 s50, s44
	s_cselect_b64 s[54:55], -1, 0
	s_and_b64 s[48:49], s[48:49], s[54:55]
	s_and_b64 vcc, exec, s[48:49]
	s_cbranch_vccz .LBB49_49
; %bb.48:                               ;   in Loop: Header=BB49_39 Depth=2
	s_mov_b32 s31, s47
	s_mov_b32 s46, s52
	;; [unrolled: 1-line block ×3, first 2 shown]
	s_branch .LBB49_39
.LBB49_49:                              ;   in Loop: Header=BB49_22 Depth=1
	s_add_u32 s12, s18, s12
	s_addc_u32 s13, s19, s13
	s_waitcnt lgkmcnt(0)
.LBB49_50:                              ;   Parent Loop BB49_22 Depth=1
                                        ; =>  This Inner Loop Header: Depth=2
	global_load_dword v3, v2, s[12:13] glc
	s_waitcnt vmcnt(0)
	v_cmp_eq_u32_e32 vcc, 0, v3
	s_cbranch_vccnz .LBB49_50
; %bb.51:                               ;   in Loop: Header=BB49_22 Depth=1
	s_cmp_lt_i32 s47, 2
	buffer_wbinvl1_vol
	s_cbranch_scc1 .LBB49_67
; %bb.52:                               ;   in Loop: Header=BB49_22 Depth=1
	s_add_i32 s48, s47, -2
	s_mov_b32 s49, 0
	s_branch .LBB49_54
.LBB49_53:                              ;   in Loop: Header=BB49_54 Depth=2
	s_or_b64 exec, exec, s[12:13]
	s_add_i32 s12, s49, 1
	s_cmp_eq_u32 s49, s48
	s_mov_b32 s49, s12
	s_cbranch_scc1 .LBB49_67
.LBB49_54:                              ;   Parent Loop BB49_22 Depth=1
                                        ; =>  This Loop Header: Depth=2
                                        ;       Child Loop BB49_57 Depth 3
	s_and_saveexec_b64 s[12:13], s[0:1]
	s_cbranch_execz .LBB49_53
; %bb.55:                               ;   in Loop: Header=BB49_54 Depth=2
	s_lshl_b32 s31, s49, 2
	v_mov_b32_e32 v3, s31
	v_add_u32_e32 v3, 0x6000, v3
	ds_read2_b32 v[4:5], v3 offset0:192 offset1:224
	s_mov_b64 s[44:45], 0
	v_mov_b32_e32 v38, v1
	s_waitcnt lgkmcnt(0)
	v_add_u32_e32 v3, v5, v17
	v_add_u32_e32 v35, v0, v5
	;; [unrolled: 1-line block ×4, first 2 shown]
	s_branch .LBB49_57
.LBB49_56:                              ;   in Loop: Header=BB49_57 Depth=3
	v_lshlrev_b32_e32 v4, 3, v38
	v_mad_u32_u24 v6, v0, s60, v4
	ds_read_b64 v[4:5], v6
	v_add_u32_e32 v38, 2, v38
	v_cmp_le_i32_e32 vcc, s56, v38
	v_add_u32_e32 v36, 2, v36
	s_or_b64 s[44:45], vcc, s[44:45]
	s_waitcnt lgkmcnt(0)
	v_pk_add_f32 v[4:5], v[10:11], v[4:5]
	v_add_u32_e32 v37, s61, v37
	ds_write_b64 v6, v[4:5]
	s_andn2_b64 exec, exec, s[44:45]
	s_cbranch_execz .LBB49_53
.LBB49_57:                              ;   Parent Loop BB49_22 Depth=1
                                        ;     Parent Loop BB49_54 Depth=2
                                        ; =>    This Inner Loop Header: Depth=3
	s_mov_b32 s31, s30
	s_mov_b32 s50, 0
	v_pk_mov_b32 v[8:9], s[30:31], s[30:31] op_sel:[0,1]
	v_mov_b32_e32 v4, v36
	v_mov_b32_e32 v6, v35
	s_and_b64 vcc, exec, s[36:37]
	s_cbranch_vccz .LBB49_61
.LBB49_58:                              ;   in Loop: Header=BB49_57 Depth=3
	v_ashrrev_i32_e32 v5, 31, v4
	v_lshlrev_b64 v[10:11], 3, v[4:5]
	v_mov_b32_e32 v5, s29
	v_add_co_u32_e32 v10, vcc, s28, v10
	v_addc_co_u32_e32 v11, vcc, v5, v11, vcc
	global_load_dwordx2 v[10:11], v[10:11], off
	v_mov_b32_e32 v12, 0
	v_mov_b32_e32 v14, 0
	s_and_saveexec_b64 s[46:47], s[2:3]
	s_cbranch_execz .LBB49_60
; %bb.59:                               ;   in Loop: Header=BB49_57 Depth=3
	v_ashrrev_i32_e32 v7, 31, v6
	v_lshlrev_b64 v[12:13], 3, v[6:7]
	v_mov_b32_e32 v5, s29
	v_add_co_u32_e32 v12, vcc, s28, v12
	v_addc_co_u32_e32 v13, vcc, v5, v13, vcc
	global_load_dwordx2 v[12:13], v[12:13], off
	s_waitcnt vmcnt(0)
	v_mov_b32_e32 v14, v13
.LBB49_60:                              ;   in Loop: Header=BB49_57 Depth=3
	s_or_b64 exec, exec, s[46:47]
	s_waitcnt vmcnt(0)
	v_pk_fma_f32 v[12:13], v[10:11], v[12:13], v[8:9] op_sel_hi:[1,0,1]
	v_pk_fma_f32 v[10:11], v[10:11], v[14:15], v[12:13] op_sel:[1,0,0] op_sel_hi:[0,0,1] neg_hi:[0,1,0]
	s_branch .LBB49_65
.LBB49_61:                              ;   in Loop: Header=BB49_57 Depth=3
                                        ; implicit-def: $vgpr10_vgpr11
	s_cbranch_execz .LBB49_65
; %bb.62:                               ;   in Loop: Header=BB49_57 Depth=3
	v_add_u32_e32 v10, s50, v37
	v_ashrrev_i32_e32 v11, 31, v10
	v_lshlrev_b64 v[10:11], 3, v[10:11]
	v_mov_b32_e32 v5, s29
	v_add_co_u32_e32 v10, vcc, s28, v10
	v_addc_co_u32_e32 v11, vcc, v5, v11, vcc
	global_load_dwordx2 v[10:11], v[10:11], off
	v_mov_b32_e32 v12, 0
	v_mov_b32_e32 v14, 0
	s_and_saveexec_b64 s[46:47], s[2:3]
	s_cbranch_execz .LBB49_64
; %bb.63:                               ;   in Loop: Header=BB49_57 Depth=3
	v_add_u32_e32 v12, s50, v3
	v_ashrrev_i32_e32 v13, 31, v12
	v_lshlrev_b64 v[12:13], 3, v[12:13]
	v_mov_b32_e32 v5, s29
	v_add_co_u32_e32 v12, vcc, s28, v12
	v_addc_co_u32_e32 v13, vcc, v5, v13, vcc
	global_load_dwordx2 v[12:13], v[12:13], off
	s_waitcnt vmcnt(0)
	v_mov_b32_e32 v14, v13
.LBB49_64:                              ;   in Loop: Header=BB49_57 Depth=3
	s_or_b64 exec, exec, s[46:47]
	s_waitcnt vmcnt(0)
	v_pk_fma_f32 v[8:9], v[10:11], v[12:13], v[8:9] op_sel_hi:[1,0,1]
	v_pk_fma_f32 v[10:11], v[10:11], v[14:15], v[8:9] op_sel:[1,0,0] op_sel_hi:[0,0,1] neg_hi:[0,1,0]
.LBB49_65:                              ;   in Loop: Header=BB49_57 Depth=3
	s_add_i32 s50, s50, 1
	v_add_u32_e32 v6, s56, v6
	s_cmp_eq_u32 s56, s50
	v_add_u32_e32 v4, s56, v4
	s_cbranch_scc1 .LBB49_56
; %bb.66:                               ;   in Loop: Header=BB49_57 Depth=3
	v_pk_mov_b32 v[8:9], v[10:11], v[10:11] op_sel:[0,1]
	s_and_b64 vcc, exec, s[36:37]
	s_cbranch_vccz .LBB49_61
	s_branch .LBB49_58
.LBB49_67:                              ;   in Loop: Header=BB49_22 Depth=1
	s_andn2_b64 vcc, exec, s[38:39]
	s_waitcnt lgkmcnt(0)
	s_cbranch_vccnz .LBB49_89
; %bb.68:                               ;   in Loop: Header=BB49_22 Depth=1
	s_mul_i32 s31, s59, s63
	s_mov_b32 s50, 0
	s_movk_i32 s51, 0x2100
	v_mov_b32_e32 v3, v27
	s_mov_b32 s52, s31
	s_branch .LBB49_70
.LBB49_69:                              ;   in Loop: Header=BB49_70 Depth=2
	s_or_b64 exec, exec, s[12:13]
	s_add_i32 s50, s50, 1
	s_add_i32 s52, s52, 1
	;; [unrolled: 1-line block ×3, first 2 shown]
	s_cmp_eq_u32 s50, s56
	v_add_u32_e32 v3, 8, v3
	s_waitcnt lgkmcnt(0)
	s_cbranch_scc1 .LBB49_89
.LBB49_70:                              ;   Parent Loop BB49_22 Depth=1
                                        ; =>  This Loop Header: Depth=2
                                        ;       Child Loop BB49_77 Depth 3
                                        ;       Child Loop BB49_82 Depth 3
	;; [unrolled: 1-line block ×3, first 2 shown]
	s_mul_i32 s46, s50, s56
	s_add_i32 s46, s46, s31
	s_add_i32 s12, s46, s50
	s_ashr_i32 s13, s12, 31
	s_lshl_b64 s[12:13], s[12:13], 3
	s_add_u32 s12, s28, s12
	s_addc_u32 s13, s29, s13
	global_load_dwordx2 v[8:9], v2, s[12:13]
	v_lshl_add_u32 v7, s50, 3, v31
	ds_read_b64 v[4:5], v7 offset:8448
	s_waitcnt vmcnt(0)
	v_cmp_neq_f32_e32 vcc, 0, v8
	v_cmp_neq_f32_e64 s[12:13], 0, v9
	s_or_b64 vcc, vcc, s[12:13]
	s_or_b64 s[12:13], vcc, s[4:5]
	v_cndmask_b32_e32 v6, 1.0, v8, vcc
	s_xor_b64 s[44:45], s[12:13], -1
	v_cndmask_b32_e32 v8, 0, v9, vcc
	s_and_saveexec_b64 s[12:13], s[44:45]
	s_cbranch_execz .LBB49_74
; %bb.71:                               ;   in Loop: Header=BB49_70 Depth=2
	v_mbcnt_lo_u32_b32 v6, exec_lo, 0
	v_mbcnt_hi_u32_b32 v6, exec_hi, v6
	v_cmp_eq_u32_e32 vcc, 0, v6
	s_and_saveexec_b64 s[44:45], vcc
	s_cbranch_execz .LBB49_73
; %bb.72:                               ;   in Loop: Header=BB49_70 Depth=2
	v_mov_b32_e32 v6, s62
	global_atomic_smin v2, v6, s[22:23]
.LBB49_73:                              ;   in Loop: Header=BB49_70 Depth=2
	s_or_b64 exec, exec, s[44:45]
	v_mov_b32_e32 v6, 1.0
	v_mov_b32_e32 v8, 0
.LBB49_74:                              ;   in Loop: Header=BB49_70 Depth=2
	s_or_b64 exec, exec, s[12:13]
	ds_read_b64 v[12:13], v7
	s_cmp_eq_u32 s50, 0
	s_waitcnt lgkmcnt(0)
	v_mov_b32_e32 v10, v13
	v_mov_b32_e32 v11, v12
	s_cbranch_scc1 .LBB49_79
; %bb.75:                               ;   in Loop: Header=BB49_70 Depth=2
	s_mov_b32 s44, 0
	s_mov_b32 s45, s52
	v_mov_b32_e32 v9, v25
	s_branch .LBB49_77
.LBB49_76:                              ;   in Loop: Header=BB49_77 Depth=3
	s_ashr_i32 s13, s12, 31
	s_lshl_b64 s[12:13], s[12:13], 3
	s_add_u32 s12, s28, s12
	s_addc_u32 s13, s29, s13
	global_load_dwordx2 v[12:13], v2, s[12:13]
	ds_read_b64 v[36:37], v9
	s_add_i32 s44, s44, 1
	s_add_i32 s45, s45, s56
	s_cmp_ge_u32 s44, s50
	v_add_u32_e32 v9, 8, v9
	s_waitcnt vmcnt(0) lgkmcnt(0)
	v_pk_fma_f32 v[10:11], v[12:13], v[36:37], v[10:11] op_sel:[1,0,0] op_sel_hi:[0,0,1]
	v_pk_fma_f32 v[10:11], v[12:13], v[36:37], v[10:11] op_sel:[0,1,0] neg_lo:[0,1,0]
	s_cbranch_scc1 .LBB49_79
.LBB49_77:                              ;   Parent Loop BB49_22 Depth=1
                                        ;     Parent Loop BB49_70 Depth=2
                                        ; =>    This Inner Loop Header: Depth=3
	s_andn2_b64 vcc, exec, s[34:35]
	s_mov_b32 s12, s45
	s_cbranch_vccnz .LBB49_76
; %bb.78:                               ;   in Loop: Header=BB49_77 Depth=3
	s_add_i32 s12, s44, s46
	s_branch .LBB49_76
.LBB49_79:                              ;   in Loop: Header=BB49_70 Depth=2
	v_mul_f32_e32 v9, v8, v8
	v_fmac_f32_e32 v9, v6, v6
	v_div_scale_f32 v12, s[12:13], v9, v9, 1.0
	v_rcp_f32_e32 v13, v12
	v_div_scale_f32 v14, vcc, 1.0, v9, 1.0
	v_mov_b32_e32 v37, v4
	v_fma_f32 v35, -v12, v13, 1.0
	v_fmac_f32_e32 v13, v35, v13
	v_mul_f32_e32 v35, v14, v13
	v_fma_f32 v36, -v12, v35, v14
	v_fmac_f32_e32 v35, v36, v13
	v_fma_f32 v12, -v12, v35, v14
	v_mov_b32_e32 v36, v5
	v_div_fmas_f32 v12, v12, v13, v35
	v_pk_add_f32 v[4:5], v[36:37], v[10:11] neg_lo:[0,1] neg_hi:[0,1]
	v_add_u32_e32 v7, 0x2100, v7
	v_div_fixup_f32 v12, v12, v9, 1.0
	v_pk_mul_f32 v[8:9], v[8:9], v[4:5] op_sel:[0,1] op_sel_hi:[0,0] neg_lo:[0,1]
	v_pk_fma_f32 v[4:5], v[4:5], v[6:7], v[8:9] op_sel_hi:[1,0,1]
	v_pk_mul_f32 v[4:5], v[12:13], v[4:5] op_sel_hi:[0,1]
	v_mov_b32_e32 v8, v5
	v_mov_b32_e32 v9, v4
	ds_write_b64 v7, v[8:9]
	s_waitcnt lgkmcnt(0)
	s_and_saveexec_b64 s[12:13], s[0:1]
	s_cbranch_execz .LBB49_69
; %bb.80:                               ;   in Loop: Header=BB49_70 Depth=2
	s_mov_b64 s[46:47], -1
	v_mov_b32_e32 v8, v1
	v_mov_b32_e32 v9, v26
	v_mov_b32_e32 v10, v18
	s_and_saveexec_b64 s[44:45], s[40:41]
	s_cbranch_execz .LBB49_86
; %bb.81:                               ;   in Loop: Header=BB49_70 Depth=2
	v_mov_b32_e32 v6, v5
	v_mov_b32_e32 v7, v5
	;; [unrolled: 1-line block ×4, first 2 shown]
	s_mov_b64 s[46:47], 0
	v_mov_b32_e32 v10, v21
	v_mov_b32_e32 v11, v20
	;; [unrolled: 1-line block ×3, first 2 shown]
.LBB49_82:                              ;   Parent Loop BB49_22 Depth=1
                                        ;     Parent Loop BB49_70 Depth=2
                                        ; =>    This Inner Loop Header: Depth=3
	ds_read2_b64 v[36:39], v12 offset1:66
	ds_read2_b64 v[40:43], v11 offset1:2
	v_add_u32_e32 v10, -2, v10
	v_cmp_eq_u32_e32 vcc, 0, v10
	v_add_u32_e32 v12, 0x420, v12
	s_waitcnt lgkmcnt(1)
	v_mov_b32_e32 v44, v36
	v_mov_b32_e32 v45, v38
	;; [unrolled: 1-line block ×3, first 2 shown]
	s_waitcnt lgkmcnt(0)
	v_mov_b32_e32 v36, v40
	v_mov_b32_e32 v37, v42
	;; [unrolled: 1-line block ×3, first 2 shown]
	v_pk_fma_f32 v[36:37], v[6:7], v[44:45], v[36:37]
	v_pk_fma_f32 v[40:41], v[8:9], v[44:45], v[42:43]
	;; [unrolled: 1-line block ×3, first 2 shown]
	v_pk_fma_f32 v[38:39], v[6:7], v[38:39], v[40:41] neg_lo:[0,1,0] neg_hi:[0,1,0]
	v_mov_b32_e32 v40, v36
	v_mov_b32_e32 v41, v38
	;; [unrolled: 1-line block ×3, first 2 shown]
	ds_write2_b64 v11, v[40:41], v[38:39] offset1:2
	s_or_b64 s[46:47], vcc, s[46:47]
	v_add_u32_e32 v11, 32, v11
	s_andn2_b64 exec, exec, s[46:47]
	s_cbranch_execnz .LBB49_82
; %bb.83:                               ;   in Loop: Header=BB49_70 Depth=2
	s_or_b64 exec, exec, s[46:47]
	s_mov_b64 s[46:47], 0
	s_and_saveexec_b64 s[48:49], s[6:7]
	s_xor_b64 s[48:49], exec, s[48:49]
; %bb.84:                               ;   in Loop: Header=BB49_70 Depth=2
	s_mov_b64 s[46:47], exec
; %bb.85:                               ;   in Loop: Header=BB49_70 Depth=2
	s_or_b64 exec, exec, s[48:49]
	s_orn2_b64 s[46:47], s[46:47], exec
	v_mov_b32_e32 v8, v22
	v_mov_b32_e32 v9, v32
	;; [unrolled: 1-line block ×3, first 2 shown]
.LBB49_86:                              ;   in Loop: Header=BB49_70 Depth=2
	s_or_b64 exec, exec, s[44:45]
	s_and_b64 exec, exec, s[46:47]
	s_cbranch_execz .LBB49_69
; %bb.87:                               ;   in Loop: Header=BB49_70 Depth=2
	v_mov_b32_e32 v6, v5
	v_mov_b32_e32 v7, v4
	v_add_u32_e32 v10, v28, v10
	s_mov_b64 s[44:45], 0
	s_mov_b32 s46, s51
.LBB49_88:                              ;   Parent Loop BB49_22 Depth=1
                                        ;     Parent Loop BB49_70 Depth=2
                                        ; =>    This Inner Loop Header: Depth=3
	v_add_u32_e32 v11, s46, v9
	ds_read_b64 v[12:13], v10
	ds_read_b64 v[36:37], v11
	v_add_u32_e32 v8, 2, v8
	s_addk_i32 s46, 0x210
	v_cmp_le_i32_e32 vcc, s56, v8
	s_or_b64 s[44:45], vcc, s[44:45]
	s_waitcnt lgkmcnt(0)
	v_pk_fma_f32 v[12:13], v[6:7], v[36:37], v[12:13] op_sel_hi:[1,0,1]
	v_pk_fma_f32 v[12:13], v[4:5], v[36:37], v[12:13] op_sel:[0,1,0] neg_hi:[0,1,0]
	ds_write_b64 v10, v[12:13]
	v_add_u32_e32 v10, 16, v10
	s_andn2_b64 exec, exec, s[44:45]
	s_cbranch_execnz .LBB49_88
	s_branch .LBB49_69
.LBB49_89:                              ;   in Loop: Header=BB49_22 Depth=1
	s_and_saveexec_b64 s[44:45], s[0:1]
	s_cbranch_execz .LBB49_21
; %bb.90:                               ;   in Loop: Header=BB49_22 Depth=1
	v_mov_b32_e32 v3, v1
	s_and_saveexec_b64 s[12:13], s[8:9]
	s_cbranch_execz .LBB49_101
; %bb.91:                               ;   in Loop: Header=BB49_22 Depth=1
	s_mov_b64 s[46:47], 0
	v_mov_b32_e32 v6, v30
	v_mov_b32_e32 v7, v29
	;; [unrolled: 1-line block ×3, first 2 shown]
	s_branch .LBB49_94
.LBB49_92:                              ;   in Loop: Header=BB49_94 Depth=2
	ds_read_b64 v[8:9], v7
	v_ashrrev_i32_e32 v5, 31, v4
	v_lshlrev_b64 v[4:5], 3, v[4:5]
	v_mov_b32_e32 v10, s29
	v_add_co_u32_e32 v4, vcc, s28, v4
	v_addc_co_u32_e32 v5, vcc, v10, v5, vcc
	s_waitcnt lgkmcnt(0)
	global_store_dwordx2 v[4:5], v[8:9], off
.LBB49_93:                              ;   in Loop: Header=BB49_94 Depth=2
	s_or_b64 exec, exec, s[48:49]
	v_add_u32_e32 v6, -8, v6
	v_cmp_eq_u32_e32 vcc, 0, v6
	v_add_u32_e32 v3, 2, v3
	s_or_b64 s[46:47], vcc, s[46:47]
	v_add_u32_e32 v7, 16, v7
	s_andn2_b64 exec, exec, s[46:47]
	s_cbranch_execz .LBB49_100
.LBB49_94:                              ;   Parent Loop BB49_22 Depth=1
                                        ; =>  This Inner Loop Header: Depth=2
	s_and_saveexec_b64 s[48:49], s[2:3]
	s_cbranch_execz .LBB49_93
; %bb.95:                               ;   in Loop: Header=BB49_94 Depth=2
	s_andn2_b64 vcc, exec, s[36:37]
	s_cbranch_vccnz .LBB49_97
; %bb.96:                               ;   in Loop: Header=BB49_94 Depth=2
	v_add_u32_e32 v4, s43, v3
	v_mad_u64_u32 v[4:5], s[50:51], v4, s56, v[0:1]
	s_cbranch_execnz .LBB49_92
	s_branch .LBB49_98
.LBB49_97:                              ;   in Loop: Header=BB49_94 Depth=2
                                        ; implicit-def: $vgpr4
.LBB49_98:                              ;   in Loop: Header=BB49_94 Depth=2
	v_add_u32_e32 v4, v24, v3
	s_branch .LBB49_92
.LBB49_99:                              ;   in Loop: Header=BB49_22 Depth=1
                                        ; implicit-def: $sgpr42
                                        ; implicit-def: $vgpr24
	s_cbranch_execz .LBB49_22
	s_branch .LBB49_128
.LBB49_100:                             ;   in Loop: Header=BB49_22 Depth=1
	s_or_b64 exec, exec, s[46:47]
.LBB49_101:                             ;   in Loop: Header=BB49_22 Depth=1
	s_or_b64 exec, exec, s[12:13]
	s_and_b64 exec, exec, s[10:11]
	s_cbranch_execz .LBB49_21
; %bb.102:                              ;   in Loop: Header=BB49_22 Depth=1
	v_lshl_add_u32 v6, v3, 3, v25
	s_mov_b64 s[46:47], 0
	s_branch .LBB49_105
.LBB49_103:                             ;   in Loop: Header=BB49_105 Depth=2
	ds_read_b64 v[8:9], v6 offset:48
	v_ashrrev_i32_e32 v5, 31, v4
	v_lshlrev_b64 v[4:5], 3, v[4:5]
	v_mov_b32_e32 v7, s29
	v_add_co_u32_e32 v4, vcc, s28, v4
	v_addc_co_u32_e32 v5, vcc, v7, v5, vcc
	s_waitcnt lgkmcnt(0)
	global_store_dwordx2 v[4:5], v[8:9], off
.LBB49_104:                             ;   in Loop: Header=BB49_105 Depth=2
	s_or_b64 exec, exec, s[48:49]
	v_add_u32_e32 v3, 8, v3
	v_cmp_le_i32_e32 vcc, s56, v3
	s_or_b64 s[46:47], vcc, s[46:47]
	v_add_u32_e32 v6, 64, v6
	s_andn2_b64 exec, exec, s[46:47]
	s_cbranch_execz .LBB49_21
.LBB49_105:                             ;   Parent Loop BB49_22 Depth=1
                                        ; =>  This Inner Loop Header: Depth=2
	s_and_saveexec_b64 s[12:13], s[2:3]
	s_cbranch_execnz .LBB49_109
; %bb.106:                              ;   in Loop: Header=BB49_105 Depth=2
	s_or_b64 exec, exec, s[12:13]
	v_cmp_ne_u32_e64 s[12:13], 1, v34
	s_and_saveexec_b64 s[48:49], s[2:3]
	s_cbranch_execnz .LBB49_114
.LBB49_107:                             ;   in Loop: Header=BB49_105 Depth=2
	s_or_b64 exec, exec, s[48:49]
	s_and_saveexec_b64 s[48:49], s[2:3]
	s_cbranch_execnz .LBB49_119
.LBB49_108:                             ;   in Loop: Header=BB49_105 Depth=2
	s_or_b64 exec, exec, s[48:49]
	s_and_saveexec_b64 s[48:49], s[2:3]
	s_cbranch_execz .LBB49_104
	s_branch .LBB49_124
.LBB49_109:                             ;   in Loop: Header=BB49_105 Depth=2
	s_and_b64 vcc, exec, s[36:37]
	s_cbranch_vccz .LBB49_111
; %bb.110:                              ;   in Loop: Header=BB49_105 Depth=2
	v_add_u32_e32 v4, s43, v3
	v_mad_u64_u32 v[4:5], s[48:49], v4, s56, v[0:1]
	s_cbranch_execz .LBB49_112
	s_branch .LBB49_113
.LBB49_111:                             ;   in Loop: Header=BB49_105 Depth=2
                                        ; implicit-def: $vgpr4
.LBB49_112:                             ;   in Loop: Header=BB49_105 Depth=2
	v_add_u32_e32 v4, v24, v3
.LBB49_113:                             ;   in Loop: Header=BB49_105 Depth=2
	ds_read_b64 v[8:9], v6
	v_ashrrev_i32_e32 v5, 31, v4
	v_lshlrev_b64 v[4:5], 3, v[4:5]
	v_mov_b32_e32 v7, s29
	v_add_co_u32_e32 v4, vcc, s28, v4
	v_addc_co_u32_e32 v5, vcc, v7, v5, vcc
	s_waitcnt lgkmcnt(0)
	global_store_dwordx2 v[4:5], v[8:9], off
	s_or_b64 exec, exec, s[12:13]
	v_cmp_ne_u32_e64 s[12:13], 1, v34
	s_and_saveexec_b64 s[48:49], s[2:3]
	s_cbranch_execz .LBB49_107
.LBB49_114:                             ;   in Loop: Header=BB49_105 Depth=2
	s_and_b64 vcc, exec, s[12:13]
	s_cbranch_vccnz .LBB49_116
; %bb.115:                              ;   in Loop: Header=BB49_105 Depth=2
	v_add3_u32 v4, v3, s43, 2
	v_mad_u64_u32 v[4:5], s[50:51], v4, s56, v[0:1]
	s_cbranch_execz .LBB49_117
	s_branch .LBB49_118
.LBB49_116:                             ;   in Loop: Header=BB49_105 Depth=2
                                        ; implicit-def: $vgpr4
.LBB49_117:                             ;   in Loop: Header=BB49_105 Depth=2
	v_add3_u32 v4, v24, v3, 2
.LBB49_118:                             ;   in Loop: Header=BB49_105 Depth=2
	ds_read_b64 v[8:9], v6 offset:16
	v_ashrrev_i32_e32 v5, 31, v4
	v_lshlrev_b64 v[4:5], 3, v[4:5]
	v_mov_b32_e32 v7, s29
	v_add_co_u32_e32 v4, vcc, s28, v4
	v_addc_co_u32_e32 v5, vcc, v7, v5, vcc
	s_waitcnt lgkmcnt(0)
	global_store_dwordx2 v[4:5], v[8:9], off
	s_or_b64 exec, exec, s[48:49]
	s_and_saveexec_b64 s[48:49], s[2:3]
	s_cbranch_execz .LBB49_108
.LBB49_119:                             ;   in Loop: Header=BB49_105 Depth=2
	s_and_b64 vcc, exec, s[12:13]
	s_cbranch_vccnz .LBB49_121
; %bb.120:                              ;   in Loop: Header=BB49_105 Depth=2
	v_add3_u32 v4, v3, s43, 4
	v_mad_u64_u32 v[4:5], s[50:51], v4, s56, v[0:1]
	s_cbranch_execz .LBB49_122
	s_branch .LBB49_123
.LBB49_121:                             ;   in Loop: Header=BB49_105 Depth=2
                                        ; implicit-def: $vgpr4
.LBB49_122:                             ;   in Loop: Header=BB49_105 Depth=2
	v_add3_u32 v4, v24, v3, 4
.LBB49_123:                             ;   in Loop: Header=BB49_105 Depth=2
	ds_read_b64 v[8:9], v6 offset:32
	v_ashrrev_i32_e32 v5, 31, v4
	v_lshlrev_b64 v[4:5], 3, v[4:5]
	v_mov_b32_e32 v7, s29
	v_add_co_u32_e32 v4, vcc, s28, v4
	v_addc_co_u32_e32 v5, vcc, v7, v5, vcc
	s_waitcnt lgkmcnt(0)
	global_store_dwordx2 v[4:5], v[8:9], off
	s_or_b64 exec, exec, s[48:49]
	s_and_saveexec_b64 s[48:49], s[2:3]
	s_cbranch_execz .LBB49_104
.LBB49_124:                             ;   in Loop: Header=BB49_105 Depth=2
	s_and_b64 vcc, exec, s[12:13]
	s_cbranch_vccnz .LBB49_126
; %bb.125:                              ;   in Loop: Header=BB49_105 Depth=2
	v_add3_u32 v4, v3, s43, 6
	v_mad_u64_u32 v[4:5], s[12:13], v4, s56, v[0:1]
	s_cbranch_execnz .LBB49_103
	s_branch .LBB49_127
.LBB49_126:                             ;   in Loop: Header=BB49_105 Depth=2
                                        ; implicit-def: $vgpr4
.LBB49_127:                             ;   in Loop: Header=BB49_105 Depth=2
	v_add3_u32 v4, v24, v3, 6
	s_branch .LBB49_103
.LBB49_128:
	v_cmp_gt_i32_e64 s[0:1], s56, v1
	s_and_saveexec_b64 s[4:5], s[0:1]
	s_cbranch_execz .LBB49_141
; %bb.129:
	s_mul_i32 s24, s33, s56
	v_add_u32_e32 v2, s24, v0
	s_cmp_lg_u32 s57, 0
	v_mul_lo_u32 v6, v2, s56
	v_mul_u32_u24_e32 v2, 0x108, v0
	v_lshlrev_b32_e32 v3, 3, v1
	s_movk_i32 s8, 0x2100
	s_cselect_b64 s[6:7], -1, 0
	v_cmp_gt_i32_e64 s[2:3], s56, v0
	v_add3_u32 v7, v2, v3, s8
	s_mov_b64 s[8:9], 0
	v_mov_b32_e32 v8, v1
	s_branch .LBB49_131
.LBB49_130:                             ;   in Loop: Header=BB49_131 Depth=1
	s_or_b64 exec, exec, s[12:13]
	v_add_u32_e32 v8, 2, v8
	v_cmp_le_i32_e32 vcc, s56, v8
	s_waitcnt vmcnt(0)
	ds_write_b64 v7, v[4:5]
	s_or_b64 s[8:9], vcc, s[8:9]
	v_add_u32_e32 v7, 16, v7
	s_andn2_b64 exec, exec, s[8:9]
	s_cbranch_execz .LBB49_141
.LBB49_131:                             ; =>This Inner Loop Header: Depth=1
	s_and_b64 vcc, exec, s[6:7]
	s_cbranch_vccz .LBB49_136
; %bb.132:                              ;   in Loop: Header=BB49_131 Depth=1
	s_mov_b64 s[12:13], 0
	s_mov_b64 s[10:11], 0
                                        ; implicit-def: $vgpr2
	s_and_saveexec_b64 s[16:17], s[2:3]
	s_xor_b64 s[16:17], exec, s[16:17]
; %bb.133:                              ;   in Loop: Header=BB49_131 Depth=1
	v_add_u32_e32 v2, s24, v8
	s_mov_b64 s[10:11], exec
	v_mad_u64_u32 v[2:3], s[26:27], v2, s56, v[0:1]
; %bb.134:                              ;   in Loop: Header=BB49_131 Depth=1
	s_or_b64 exec, exec, s[16:17]
	s_mov_b32 s16, 0
	s_and_b64 vcc, exec, s[12:13]
	s_cbranch_vccnz .LBB49_137
.LBB49_135:                             ;   in Loop: Header=BB49_131 Depth=1
	v_mov_b32_e32 v4, s16
	v_mov_b32_e32 v5, s16
	s_and_saveexec_b64 s[12:13], s[10:11]
	s_cbranch_execz .LBB49_130
	s_branch .LBB49_140
.LBB49_136:                             ;   in Loop: Header=BB49_131 Depth=1
	s_mov_b64 s[10:11], 0
                                        ; implicit-def: $vgpr2
                                        ; implicit-def: $sgpr16
	s_cbranch_execz .LBB49_135
.LBB49_137:                             ;   in Loop: Header=BB49_131 Depth=1
                                        ; implicit-def: $vgpr2
	s_and_saveexec_b64 s[12:13], s[2:3]
; %bb.138:                              ;   in Loop: Header=BB49_131 Depth=1
	v_add_u32_e32 v2, v6, v8
	s_or_b64 s[10:11], s[10:11], exec
; %bb.139:                              ;   in Loop: Header=BB49_131 Depth=1
	s_or_b64 exec, exec, s[12:13]
	s_mov_b32 s16, 0
	v_mov_b32_e32 v4, s16
	v_mov_b32_e32 v5, s16
	s_and_saveexec_b64 s[12:13], s[10:11]
	s_cbranch_execz .LBB49_130
.LBB49_140:                             ;   in Loop: Header=BB49_131 Depth=1
	v_ashrrev_i32_e32 v3, 31, v2
	v_lshlrev_b64 v[2:3], 3, v[2:3]
	v_mov_b32_e32 v4, s29
	v_add_co_u32_e32 v2, vcc, s28, v2
	v_addc_co_u32_e32 v3, vcc, v4, v3, vcc
	global_load_dwordx2 v[4:5], v[2:3], off
	s_branch .LBB49_130
.LBB49_141:
	s_or_b64 exec, exec, s[4:5]
; %bb.142:
	s_cmp_lt_i32 s56, 1
	s_waitcnt lgkmcnt(0)
	s_cbranch_scc1 .LBB49_173
; %bb.143:
	v_or_b32_e32 v2, v1, v0
	s_movk_i32 s34, 0x108
	v_mov_b32_e32 v3, 0x4200
	v_cmp_ne_u32_e64 s[2:3], 0, v2
	v_lshlrev_b32_e32 v2, 3, v0
	v_mul_u32_u24_e32 v10, 0x108, v0
	s_movk_i32 s35, 0x2100
	v_mad_u32_u24 v12, v0, s34, v3
	v_add3_u32 v11, v10, v2, s35
	v_add_u32_e32 v13, v12, v2
	v_lshrrev_b32_e32 v2, 1, v16
	v_add_u32_e32 v14, v12, v15
	v_add_u32_e32 v4, 1, v2
	v_add_u32_e32 v5, -1, v2
	v_lshl_add_u32 v2, v2, 4, v14
	v_or_b32_e32 v3, 4, v14
	v_or_b32_e32 v7, 4, v2
	v_cmp_lt_u32_e64 s[4:5], v7, v3
	s_brev_b32 s6, -8
	v_cmp_lt_u32_e64 s[8:9], v2, v14
	v_lshrrev_b32_e32 v6, 1, v5
	v_cmp_lt_u32_e64 s[6:7], s6, v16
	s_or_b64 s[4:5], s[8:9], s[4:5]
	v_add_u32_e32 v6, 1, v6
	s_or_b64 s[4:5], s[4:5], s[6:7]
	v_and_b32_e32 v2, -2, v4
	v_cmp_lt_u32_e32 vcc, 41, v16
	s_xor_b64 s[10:11], s[4:5], -1
	v_lshl_add_u32 v16, v2, 1, v1
	v_and_b32_e32 v17, 3, v6
	v_cmp_ne_u32_e64 s[8:9], v4, v2
	v_mov_b32_e32 v2, 0x2100
	s_mov_b32 s30, 0
	s_add_i32 s31, s20, s21
	v_cmp_lt_u32_e64 s[4:5], 5, v5
	v_and_b32_e32 v18, -4, v6
	v_cmp_ne_u32_e64 s[6:7], 0, v17
	s_and_b64 s[12:13], vcc, s[10:11]
	v_mul_u32_u24_e32 v19, 0x108, v1
	v_mad_u32_u24 v20, v1, s34, v2
	s_mov_b32 s36, 0xf800000
	v_mov_b32_e32 v21, 0x260
	v_mov_b32_e32 v3, 0
	s_movk_i32 s37, 0x210
	v_mul_lo_u32 v22, v16, s34
	v_lshlrev_b32_e32 v23, 3, v16
	s_branch .LBB49_145
.LBB49_144:                             ;   in Loop: Header=BB49_145 Depth=1
	s_or_b64 exec, exec, s[10:11]
	s_add_i32 s30, s30, 1
	s_add_i32 s35, s35, 8
	s_cmp_eq_u32 s30, s56
	v_add_u32_e32 v20, 8, v20
	s_waitcnt lgkmcnt(0)
	s_cbranch_scc1 .LBB49_173
.LBB49_145:                             ; =>This Loop Header: Depth=1
                                        ;     Child Loop BB49_162 Depth 2
                                        ;     Child Loop BB49_166 Depth 2
	;; [unrolled: 1-line block ×3, first 2 shown]
	v_cmp_eq_u32_e32 vcc, s30, v0
	s_and_saveexec_b64 s[16:17], vcc
	s_cbranch_execz .LBB49_153
; %bb.146:                              ;   in Loop: Header=BB49_145 Depth=1
	ds_read_b64 v[4:5], v11
	ds_read_b64 v[6:7], v13
	s_waitcnt lgkmcnt(0)
	v_sub_f32_e32 v2, v4, v6
	v_sub_f32_e32 v6, v5, v7
	v_cmp_gt_f32_e32 vcc, 0, v2
	v_cndmask_b32_e64 v2, v2, -v2, vcc
	v_cmp_gt_f32_e32 vcc, 0, v6
	v_cndmask_b32_e64 v4, v6, -v6, vcc
	v_cmp_ngt_f32_e32 vcc, v2, v4
                                        ; implicit-def: $vgpr5
	s_and_saveexec_b64 s[10:11], vcc
	s_xor_b64 s[24:25], exec, s[10:11]
	s_cbranch_execz .LBB49_150
; %bb.147:                              ;   in Loop: Header=BB49_145 Depth=1
	v_cmp_neq_f32_e32 vcc, 0, v6
	v_mov_b32_e32 v5, 0
	s_and_saveexec_b64 s[26:27], vcc
	s_cbranch_execz .LBB49_149
; %bb.148:                              ;   in Loop: Header=BB49_145 Depth=1
	v_div_scale_f32 v5, s[10:11], v4, v4, v2
	v_rcp_f32_e32 v6, v5
	v_div_scale_f32 v7, vcc, v2, v4, v2
	v_fma_f32 v8, -v5, v6, 1.0
	v_fmac_f32_e32 v6, v8, v6
	v_mul_f32_e32 v8, v7, v6
	v_fma_f32 v9, -v5, v8, v7
	v_fmac_f32_e32 v8, v9, v6
	v_fma_f32 v5, -v5, v8, v7
	v_div_fmas_f32 v5, v5, v6, v8
	v_div_fixup_f32 v2, v5, v4, v2
	v_fma_f32 v2, v2, v2, 1.0
	v_mul_f32_e32 v5, 0x4f800000, v2
	v_cmp_gt_f32_e32 vcc, s36, v2
	v_cndmask_b32_e32 v2, v2, v5, vcc
	v_sqrt_f32_e32 v5, v2
	v_add_u32_e32 v6, -1, v5
	v_fma_f32 v7, -v6, v5, v2
	v_cmp_ge_f32_e64 s[10:11], 0, v7
	v_add_u32_e32 v7, 1, v5
	v_cndmask_b32_e64 v6, v5, v6, s[10:11]
	v_fma_f32 v5, -v7, v5, v2
	v_cmp_lt_f32_e64 s[10:11], 0, v5
	v_cndmask_b32_e64 v5, v6, v7, s[10:11]
	v_mul_f32_e32 v6, 0x37800000, v5
	v_cndmask_b32_e32 v5, v5, v6, vcc
	v_cmp_class_f32_e32 vcc, v2, v21
	v_cndmask_b32_e32 v2, v5, v2, vcc
	v_mul_f32_e32 v5, v4, v2
.LBB49_149:                             ;   in Loop: Header=BB49_145 Depth=1
	s_or_b64 exec, exec, s[26:27]
                                        ; implicit-def: $vgpr2
                                        ; implicit-def: $vgpr4
.LBB49_150:                             ;   in Loop: Header=BB49_145 Depth=1
	s_andn2_saveexec_b64 s[24:25], s[24:25]
	s_cbranch_execz .LBB49_152
; %bb.151:                              ;   in Loop: Header=BB49_145 Depth=1
	v_div_scale_f32 v5, s[10:11], v2, v2, v4
	v_rcp_f32_e32 v6, v5
	v_div_scale_f32 v7, vcc, v4, v2, v4
	v_fma_f32 v8, -v5, v6, 1.0
	v_fmac_f32_e32 v6, v8, v6
	v_mul_f32_e32 v8, v7, v6
	v_fma_f32 v9, -v5, v8, v7
	v_fmac_f32_e32 v8, v9, v6
	v_fma_f32 v5, -v5, v8, v7
	v_div_fmas_f32 v5, v5, v6, v8
	v_div_fixup_f32 v4, v5, v2, v4
	v_fma_f32 v4, v4, v4, 1.0
	v_mul_f32_e32 v5, 0x4f800000, v4
	v_cmp_gt_f32_e32 vcc, s36, v4
	v_cndmask_b32_e32 v4, v4, v5, vcc
	v_sqrt_f32_e32 v5, v4
	v_add_u32_e32 v6, -1, v5
	v_fma_f32 v7, -v6, v5, v4
	v_cmp_ge_f32_e64 s[10:11], 0, v7
	v_add_u32_e32 v7, 1, v5
	v_cndmask_b32_e64 v6, v5, v6, s[10:11]
	v_fma_f32 v5, -v7, v5, v4
	v_cmp_lt_f32_e64 s[10:11], 0, v5
	v_cndmask_b32_e64 v5, v6, v7, s[10:11]
	v_mul_f32_e32 v6, 0x37800000, v5
	v_cndmask_b32_e32 v5, v5, v6, vcc
	v_cmp_class_f32_e32 vcc, v4, v21
	v_cndmask_b32_e32 v4, v5, v4, vcc
	v_mul_f32_e32 v5, v2, v4
.LBB49_152:                             ;   in Loop: Header=BB49_145 Depth=1
	s_or_b64 exec, exec, s[24:25]
	v_mul_f32_e32 v2, 0x4f800000, v5
	v_cmp_gt_f32_e32 vcc, s36, v5
	v_cndmask_b32_e32 v2, v5, v2, vcc
	v_sqrt_f32_e32 v4, v2
	v_add_u32_e32 v5, -1, v4
	v_fma_f32 v7, -v5, v4, v2
	v_add_u32_e32 v6, 1, v4
	v_cmp_ge_f32_e64 s[10:11], 0, v7
	v_cndmask_b32_e64 v5, v4, v5, s[10:11]
	v_fma_f32 v4, -v6, v4, v2
	v_cmp_lt_f32_e64 s[10:11], 0, v4
	v_cndmask_b32_e64 v4, v5, v6, s[10:11]
	v_mul_f32_e32 v5, 0x37800000, v4
	v_cndmask_b32_e32 v4, v4, v5, vcc
	v_cmp_class_f32_e32 vcc, v2, v21
	v_cndmask_b32_e32 v2, v4, v2, vcc
	ds_write_b64 v11, v[2:3]
.LBB49_153:                             ;   in Loop: Header=BB49_145 Depth=1
	s_or_b64 exec, exec, s[16:17]
	s_lshl_b32 s10, s30, 3
	s_mul_i32 s11, s30, 0x108
	s_add_i32 s11, s11, s10
	v_mov_b32_e32 v2, s11
	s_waitcnt lgkmcnt(0)
	ds_read_b64 v[8:9], v2 offset:8448
	v_mov_b32_e32 v2, s10
	v_mad_u32_u24 v7, v0, s34, v2
	ds_read_b64 v[4:5], v7 offset:8448
	s_waitcnt lgkmcnt(1)
	v_cmp_neq_f32_e32 vcc, 0, v8
	v_cmp_neq_f32_e64 s[10:11], 0, v9
	s_or_b64 vcc, vcc, s[10:11]
	s_or_b64 s[10:11], vcc, s[2:3]
	v_cndmask_b32_e32 v2, 0, v9, vcc
	s_xor_b64 s[16:17], s[10:11], -1
	v_cndmask_b32_e32 v6, 1.0, v8, vcc
	s_and_saveexec_b64 s[10:11], s[16:17]
	s_cbranch_execz .LBB49_157
; %bb.154:                              ;   in Loop: Header=BB49_145 Depth=1
	v_mbcnt_lo_u32_b32 v2, exec_lo, 0
	v_mbcnt_hi_u32_b32 v2, exec_hi, v2
	v_cmp_eq_u32_e32 vcc, 0, v2
	s_and_saveexec_b64 s[16:17], vcc
	s_cbranch_execz .LBB49_156
; %bb.155:                              ;   in Loop: Header=BB49_145 Depth=1
	v_mov_b32_e32 v2, s31
	global_atomic_smin v3, v2, s[22:23]
.LBB49_156:                             ;   in Loop: Header=BB49_145 Depth=1
	s_or_b64 exec, exec, s[16:17]
	v_mov_b32_e32 v2, 0
	v_mov_b32_e32 v6, 1.0
.LBB49_157:                             ;   in Loop: Header=BB49_145 Depth=1
	s_or_b64 exec, exec, s[10:11]
	v_cmp_lt_u32_e32 vcc, s30, v0
	s_and_saveexec_b64 s[10:11], vcc
	s_cbranch_execz .LBB49_144
; %bb.158:                              ;   in Loop: Header=BB49_145 Depth=1
	v_mul_f32_e32 v24, v2, v2
	v_fmac_f32_e32 v24, v6, v6
	v_div_scale_f32 v8, s[16:17], v24, v24, 1.0
	v_rcp_f32_e32 v25, v8
	v_add_u32_e32 v28, 0x2100, v7
	v_lshl_add_u32 v7, s30, 3, v10
	v_fma_f32 v9, -v8, v25, 1.0
	v_fmac_f32_e32 v25, v9, v25
	v_div_scale_f32 v9, vcc, 1.0, v24, 1.0
	v_mul_f32_e32 v26, v9, v25
	v_fma_f32 v27, -v8, v26, v9
	v_fmac_f32_e32 v26, v27, v25
	v_fma_f32 v27, -v8, v26, v9
	ds_read_b64 v[8:9], v7 offset:16896
	v_div_fmas_f32 v7, v27, v25, v26
	s_waitcnt lgkmcnt(1)
	v_mov_b32_e32 v26, v5
	v_mov_b32_e32 v27, v4
	v_div_fixup_f32 v24, v7, v24, 1.0
	s_waitcnt lgkmcnt(0)
	v_pk_add_f32 v[4:5], v[26:27], v[8:9] op_sel:[0,1] op_sel_hi:[1,0] neg_lo:[0,1] neg_hi:[0,1]
	v_pk_mul_f32 v[8:9], v[2:3], v[4:5] op_sel:[0,1] op_sel_hi:[0,0] neg_lo:[0,1]
	v_pk_fma_f32 v[4:5], v[4:5], v[6:7], v[8:9] op_sel_hi:[1,0,1]
	v_pk_mul_f32 v[4:5], v[24:25], v[4:5] op_sel_hi:[0,1]
	v_mov_b32_e32 v6, v5
	v_mov_b32_e32 v7, v4
	ds_write_b64 v28, v[6:7]
	s_waitcnt lgkmcnt(0)
	s_and_b64 exec, exec, s[0:1]
	s_cbranch_execz .LBB49_144
; %bb.159:                              ;   in Loop: Header=BB49_145 Depth=1
	s_mov_b64 s[24:25], -1
	v_mov_b32_e32 v2, v1
	v_mov_b32_e32 v8, v19
	;; [unrolled: 1-line block ×3, first 2 shown]
	s_and_saveexec_b64 s[16:17], s[12:13]
	s_cbranch_execz .LBB49_170
; %bb.160:                              ;   in Loop: Header=BB49_145 Depth=1
	v_mov_b32_e32 v6, v5
	v_mov_b32_e32 v7, v5
	;; [unrolled: 1-line block ×5, first 2 shown]
	s_and_saveexec_b64 s[24:25], s[4:5]
	s_cbranch_execz .LBB49_164
; %bb.161:                              ;   in Loop: Header=BB49_145 Depth=1
	s_mov_b32 s38, 0
	s_mov_b64 s[26:27], 0
	v_mov_b32_e32 v2, v18
	v_mov_b32_e32 v24, v14
	;; [unrolled: 1-line block ×3, first 2 shown]
.LBB49_162:                             ;   Parent Loop BB49_145 Depth=1
                                        ; =>  This Inner Loop Header: Depth=2
	ds_read2_b64 v[26:29], v25 offset1:66
	ds_read2_b64 v[30:33], v24 offset1:2
	ds_read2_b64 v[34:37], v24 offset0:4 offset1:6
	v_add_u32_e32 v2, -4, v2
	s_add_i32 s38, s38, 8
	s_waitcnt lgkmcnt(2)
	v_mov_b32_e32 v38, v26
	v_mov_b32_e32 v39, v28
	;; [unrolled: 1-line block ×3, first 2 shown]
	s_waitcnt lgkmcnt(1)
	v_mov_b32_e32 v26, v30
	v_mov_b32_e32 v27, v32
	;; [unrolled: 1-line block ×3, first 2 shown]
	v_pk_fma_f32 v[26:27], v[6:7], v[38:39], v[26:27]
	v_pk_fma_f32 v[30:31], v[8:9], v[28:29], v[26:27]
	;; [unrolled: 1-line block ×3, first 2 shown]
	v_pk_fma_f32 v[32:33], v[6:7], v[28:29], v[26:27] neg_lo:[0,1,0] neg_hi:[0,1,0]
	ds_read2_b64 v[26:29], v25 offset0:132 offset1:198
	v_mov_b32_e32 v38, v30
	v_mov_b32_e32 v39, v32
	;; [unrolled: 1-line block ×3, first 2 shown]
	ds_write2_b64 v24, v[38:39], v[32:33] offset1:2
	s_waitcnt lgkmcnt(1)
	v_mov_b32_e32 v30, v26
	v_mov_b32_e32 v31, v28
	;; [unrolled: 1-line block ×6, first 2 shown]
	v_pk_fma_f32 v[26:27], v[6:7], v[30:31], v[26:27]
	v_pk_fma_f32 v[32:33], v[8:9], v[28:29], v[26:27]
	;; [unrolled: 1-line block ×3, first 2 shown]
	v_pk_fma_f32 v[34:35], v[6:7], v[28:29], v[26:27] neg_lo:[0,1,0] neg_hi:[0,1,0]
	v_add_u32_e32 v38, 0x800, v25
	v_mov_b32_e32 v36, v32
	ds_read2_b64 v[26:29], v38 offset0:8 offset1:74
	v_mov_b32_e32 v37, v34
	v_mov_b32_e32 v34, v33
	ds_read2_b64 v[30:33], v24 offset0:8 offset1:10
	ds_write2_b64 v24, v[36:37], v[34:35] offset0:4 offset1:6
	s_waitcnt lgkmcnt(2)
	v_mov_b32_e32 v34, v26
	v_mov_b32_e32 v35, v28
	;; [unrolled: 1-line block ×3, first 2 shown]
	s_waitcnt lgkmcnt(1)
	v_mov_b32_e32 v26, v30
	v_mov_b32_e32 v27, v32
	;; [unrolled: 1-line block ×3, first 2 shown]
	v_pk_fma_f32 v[26:27], v[6:7], v[34:35], v[26:27]
	v_pk_fma_f32 v[30:31], v[8:9], v[28:29], v[26:27]
	;; [unrolled: 1-line block ×3, first 2 shown]
	v_pk_fma_f32 v[34:35], v[6:7], v[28:29], v[26:27] neg_lo:[0,1,0] neg_hi:[0,1,0]
	v_mov_b32_e32 v36, v30
	ds_read2_b64 v[26:29], v38 offset0:140 offset1:206
	v_mov_b32_e32 v37, v34
	v_mov_b32_e32 v34, v31
	ds_read2_b64 v[30:33], v24 offset0:12 offset1:14
	ds_write2_b64 v24, v[36:37], v[34:35] offset0:8 offset1:10
	s_waitcnt lgkmcnt(2)
	v_mov_b32_e32 v34, v26
	v_mov_b32_e32 v35, v28
	;; [unrolled: 1-line block ×3, first 2 shown]
	s_waitcnt lgkmcnt(1)
	v_mov_b32_e32 v26, v30
	v_mov_b32_e32 v27, v32
	;; [unrolled: 1-line block ×3, first 2 shown]
	v_pk_fma_f32 v[26:27], v[6:7], v[34:35], v[26:27]
	v_pk_fma_f32 v[30:31], v[8:9], v[34:35], v[32:33]
	;; [unrolled: 1-line block ×3, first 2 shown]
	v_pk_fma_f32 v[28:29], v[6:7], v[28:29], v[30:31] neg_lo:[0,1,0] neg_hi:[0,1,0]
	v_mov_b32_e32 v30, v26
	v_mov_b32_e32 v31, v28
	v_mov_b32_e32 v28, v27
	v_cmp_eq_u32_e32 vcc, 0, v2
	ds_write2_b64 v24, v[30:31], v[28:29] offset0:12 offset1:14
	v_add_u32_e32 v25, 0x1080, v25
	v_add_u32_e32 v24, 0x80, v24
	s_or_b64 s[26:27], vcc, s[26:27]
	v_mov_b32_e32 v26, s38
	s_andn2_b64 exec, exec, s[26:27]
	s_cbranch_execnz .LBB49_162
; %bb.163:                              ;   in Loop: Header=BB49_145 Depth=1
	s_or_b64 exec, exec, s[26:27]
.LBB49_164:                             ;   in Loop: Header=BB49_145 Depth=1
	s_or_b64 exec, exec, s[24:25]
	s_and_saveexec_b64 s[24:25], s[6:7]
	s_cbranch_execz .LBB49_167
; %bb.165:                              ;   in Loop: Header=BB49_145 Depth=1
	v_lshl_add_u32 v2, v26, 4, v14
	v_mul_lo_u32 v24, v26, s37
	s_mov_b64 s[26:27], 0
	v_mov_b32_e32 v25, v17
.LBB49_166:                             ;   Parent Loop BB49_145 Depth=1
                                        ; =>  This Inner Loop Header: Depth=2
	v_add_u32_e32 v30, v20, v24
	ds_read2_b64 v[26:29], v2 offset1:2
	ds_read2_b64 v[30:33], v30 offset1:66
	v_add_u32_e32 v25, -1, v25
	v_cmp_eq_u32_e32 vcc, 0, v25
	s_or_b64 s[26:27], vcc, s[26:27]
	s_waitcnt lgkmcnt(1)
	v_mov_b32_e32 v34, v26
	s_waitcnt lgkmcnt(0)
	v_mov_b32_e32 v36, v30
	v_mov_b32_e32 v37, v32
	;; [unrolled: 1-line block ×5, first 2 shown]
	v_pk_fma_f32 v[26:27], v[6:7], v[36:37], v[34:35]
	v_pk_fma_f32 v[28:29], v[8:9], v[36:37], v[28:29]
	;; [unrolled: 1-line block ×3, first 2 shown]
	v_pk_fma_f32 v[28:29], v[6:7], v[32:33], v[28:29] neg_lo:[0,1,0] neg_hi:[0,1,0]
	v_mov_b32_e32 v30, v26
	v_mov_b32_e32 v31, v28
	;; [unrolled: 1-line block ×3, first 2 shown]
	ds_write2_b64 v2, v[30:31], v[28:29] offset1:2
	v_add_u32_e32 v2, 32, v2
	v_add_u32_e32 v24, 0x420, v24
	s_andn2_b64 exec, exec, s[26:27]
	s_cbranch_execnz .LBB49_166
.LBB49_167:                             ;   in Loop: Header=BB49_145 Depth=1
	s_or_b64 exec, exec, s[24:25]
	s_mov_b64 s[24:25], 0
	s_and_saveexec_b64 s[26:27], s[8:9]
; %bb.168:                              ;   in Loop: Header=BB49_145 Depth=1
	s_mov_b64 s[24:25], exec
; %bb.169:                              ;   in Loop: Header=BB49_145 Depth=1
	s_or_b64 exec, exec, s[26:27]
	s_orn2_b64 s[24:25], s[24:25], exec
	v_mov_b32_e32 v2, v16
	v_mov_b32_e32 v8, v22
	;; [unrolled: 1-line block ×3, first 2 shown]
.LBB49_170:                             ;   in Loop: Header=BB49_145 Depth=1
	s_or_b64 exec, exec, s[16:17]
	s_and_b64 exec, exec, s[24:25]
	s_cbranch_execz .LBB49_144
; %bb.171:                              ;   in Loop: Header=BB49_145 Depth=1
	v_mov_b32_e32 v6, v5
	v_mov_b32_e32 v7, v4
	v_add_u32_e32 v9, v12, v9
	s_mov_b64 s[16:17], 0
	s_mov_b32 s24, s35
.LBB49_172:                             ;   Parent Loop BB49_145 Depth=1
                                        ; =>  This Inner Loop Header: Depth=2
	v_add_u32_e32 v26, s24, v8
	ds_read_b64 v[24:25], v9
	ds_read_b64 v[26:27], v26
	v_add_u32_e32 v2, 2, v2
	s_addk_i32 s24, 0x210
	v_cmp_le_i32_e32 vcc, s56, v2
	s_or_b64 s[16:17], vcc, s[16:17]
	s_waitcnt lgkmcnt(0)
	v_pk_fma_f32 v[24:25], v[6:7], v[26:27], v[24:25] op_sel_hi:[1,0,1]
	v_pk_fma_f32 v[24:25], v[4:5], v[26:27], v[24:25] op_sel:[0,1,0] neg_hi:[0,1,0]
	ds_write_b64 v9, v[24:25]
	v_add_u32_e32 v9, 16, v9
	s_andn2_b64 exec, exec, s[16:17]
	s_cbranch_execnz .LBB49_172
	s_branch .LBB49_144
.LBB49_173:
	s_and_saveexec_b64 s[2:3], s[0:1]
	s_cbranch_execz .LBB49_182
; %bb.174:
	s_mul_i32 s33, s33, s56
	v_add_u32_e32 v2, s33, v0
	s_cmp_lg_u32 s57, 0
	v_mul_lo_u32 v4, v2, s56
	v_mul_u32_u24_e32 v2, 0x108, v0
	s_movk_i32 s6, 0x2100
	v_cmp_gt_i32_e64 s[0:1], s56, v0
	s_cselect_b64 s[4:5], -1, 0
	v_add3_u32 v5, v2, v15, s6
	s_mov_b64 s[6:7], 0
	v_mov_b32_e32 v6, v1
	s_branch .LBB49_177
.LBB49_175:                             ;   in Loop: Header=BB49_177 Depth=1
	ds_read_b64 v[8:9], v5
	v_ashrrev_i32_e32 v3, 31, v2
	v_lshlrev_b64 v[2:3], 3, v[2:3]
	v_mov_b32_e32 v7, s29
	v_add_co_u32_e32 v2, vcc, s28, v2
	v_addc_co_u32_e32 v3, vcc, v7, v3, vcc
	s_waitcnt lgkmcnt(0)
	global_store_dwordx2 v[2:3], v[8:9], off
.LBB49_176:                             ;   in Loop: Header=BB49_177 Depth=1
	s_or_b64 exec, exec, s[8:9]
	v_add_u32_e32 v6, 2, v6
	v_cmp_le_i32_e32 vcc, s56, v6
	s_or_b64 s[6:7], vcc, s[6:7]
	v_add_u32_e32 v5, 16, v5
	s_andn2_b64 exec, exec, s[6:7]
	s_cbranch_execz .LBB49_182
.LBB49_177:                             ; =>This Inner Loop Header: Depth=1
	s_and_saveexec_b64 s[8:9], s[0:1]
	s_cbranch_execz .LBB49_176
; %bb.178:                              ;   in Loop: Header=BB49_177 Depth=1
	s_and_b64 vcc, exec, s[4:5]
	s_cbranch_vccz .LBB49_180
; %bb.179:                              ;   in Loop: Header=BB49_177 Depth=1
	v_add_u32_e32 v2, s33, v6
	v_mad_u64_u32 v[2:3], s[10:11], v2, s56, v[0:1]
	s_cbranch_execnz .LBB49_175
	s_branch .LBB49_181
.LBB49_180:                             ;   in Loop: Header=BB49_177 Depth=1
                                        ; implicit-def: $vgpr2
.LBB49_181:                             ;   in Loop: Header=BB49_177 Depth=1
	v_add_u32_e32 v2, v4, v6
	s_branch .LBB49_175
.LBB49_182:
	s_or_b64 exec, exec, s[2:3]
	v_or_b32_e32 v2, v1, v0
	v_cmp_eq_u32_e64 s[0:1], 0, v2
.LBB49_183:
	s_and_saveexec_b64 s[2:3], s[0:1]
	s_cbranch_execnz .LBB49_191
.LBB49_184:
	s_endpgm
.LBB49_185:
	s_mov_b64 s[0:1], 0
	s_cbranch_execz .LBB49_183
; %bb.186:
	v_or_b32_e32 v0, v1, v0
	v_cmp_eq_u32_e32 vcc, 0, v0
	s_and_saveexec_b64 s[2:3], vcc
	s_cbranch_execz .LBB49_190
; %bb.187:
	v_mbcnt_lo_u32_b32 v0, exec_lo, 0
	v_mbcnt_hi_u32_b32 v0, exec_hi, v0
	v_cmp_eq_u32_e32 vcc, 0, v0
	s_and_saveexec_b64 s[4:5], vcc
	s_cbranch_execz .LBB49_189
; %bb.188:
	s_add_i32 s6, s20, s21
	v_mov_b32_e32 v0, 0
	v_mov_b32_e32 v1, s6
	global_atomic_smin v0, v1, s[22:23]
.LBB49_189:
	s_or_b64 exec, exec, s[4:5]
	s_or_b64 s[0:1], s[0:1], exec
.LBB49_190:
	s_or_b64 exec, exec, s[2:3]
	s_and_saveexec_b64 s[2:3], s[0:1]
	s_cbranch_execz .LBB49_184
.LBB49_191:
	s_add_u32 s0, s18, s14
	s_addc_u32 s1, s19, s15
	v_mov_b32_e32 v0, 0
	v_mov_b32_e32 v1, 1
	s_waitcnt vmcnt(0)
	global_store_dword v0, v1, s[0:1]
	s_endpgm
	.section	.rodata,"a",@progbits
	.p2align	6, 0x0
	.amdhsa_kernel _ZN9rocsparseL19bsric0_17_32_kernelILi64ELi32ELi32E21rocsparse_complex_numIfEEEv20rocsparse_direction_iiPKiS5_PT2_S5_PiS5_S8_21rocsparse_index_base_
		.amdhsa_group_segment_fixed_size 25728
		.amdhsa_private_segment_fixed_size 0
		.amdhsa_kernarg_size 76
		.amdhsa_user_sgpr_count 6
		.amdhsa_user_sgpr_private_segment_buffer 1
		.amdhsa_user_sgpr_dispatch_ptr 0
		.amdhsa_user_sgpr_queue_ptr 0
		.amdhsa_user_sgpr_kernarg_segment_ptr 1
		.amdhsa_user_sgpr_dispatch_id 0
		.amdhsa_user_sgpr_flat_scratch_init 0
		.amdhsa_user_sgpr_kernarg_preload_length 0
		.amdhsa_user_sgpr_kernarg_preload_offset 0
		.amdhsa_user_sgpr_private_segment_size 0
		.amdhsa_uses_dynamic_stack 0
		.amdhsa_system_sgpr_private_segment_wavefront_offset 0
		.amdhsa_system_sgpr_workgroup_id_x 1
		.amdhsa_system_sgpr_workgroup_id_y 0
		.amdhsa_system_sgpr_workgroup_id_z 0
		.amdhsa_system_sgpr_workgroup_info 0
		.amdhsa_system_vgpr_workitem_id 1
		.amdhsa_next_free_vgpr 70
		.amdhsa_next_free_sgpr 66
		.amdhsa_accum_offset 72
		.amdhsa_reserve_vcc 1
		.amdhsa_reserve_flat_scratch 0
		.amdhsa_float_round_mode_32 0
		.amdhsa_float_round_mode_16_64 0
		.amdhsa_float_denorm_mode_32 3
		.amdhsa_float_denorm_mode_16_64 3
		.amdhsa_dx10_clamp 1
		.amdhsa_ieee_mode 1
		.amdhsa_fp16_overflow 0
		.amdhsa_tg_split 0
		.amdhsa_exception_fp_ieee_invalid_op 0
		.amdhsa_exception_fp_denorm_src 0
		.amdhsa_exception_fp_ieee_div_zero 0
		.amdhsa_exception_fp_ieee_overflow 0
		.amdhsa_exception_fp_ieee_underflow 0
		.amdhsa_exception_fp_ieee_inexact 0
		.amdhsa_exception_int_div_zero 0
	.end_amdhsa_kernel
	.section	.text._ZN9rocsparseL19bsric0_17_32_kernelILi64ELi32ELi32E21rocsparse_complex_numIfEEEv20rocsparse_direction_iiPKiS5_PT2_S5_PiS5_S8_21rocsparse_index_base_,"axG",@progbits,_ZN9rocsparseL19bsric0_17_32_kernelILi64ELi32ELi32E21rocsparse_complex_numIfEEEv20rocsparse_direction_iiPKiS5_PT2_S5_PiS5_S8_21rocsparse_index_base_,comdat
.Lfunc_end49:
	.size	_ZN9rocsparseL19bsric0_17_32_kernelILi64ELi32ELi32E21rocsparse_complex_numIfEEEv20rocsparse_direction_iiPKiS5_PT2_S5_PiS5_S8_21rocsparse_index_base_, .Lfunc_end49-_ZN9rocsparseL19bsric0_17_32_kernelILi64ELi32ELi32E21rocsparse_complex_numIfEEEv20rocsparse_direction_iiPKiS5_PT2_S5_PiS5_S8_21rocsparse_index_base_
                                        ; -- End function
	.section	.AMDGPU.csdata,"",@progbits
; Kernel info:
; codeLenInByte = 7640
; NumSgprs: 70
; NumVgprs: 70
; NumAgprs: 0
; TotalNumVgprs: 70
; ScratchSize: 0
; MemoryBound: 0
; FloatMode: 240
; IeeeMode: 1
; LDSByteSize: 25728 bytes/workgroup (compile time only)
; SGPRBlocks: 8
; VGPRBlocks: 8
; NumSGPRsForWavesPerEU: 70
; NumVGPRsForWavesPerEU: 70
; AccumOffset: 72
; Occupancy: 1
; WaveLimiterHint : 1
; COMPUTE_PGM_RSRC2:SCRATCH_EN: 0
; COMPUTE_PGM_RSRC2:USER_SGPR: 6
; COMPUTE_PGM_RSRC2:TRAP_HANDLER: 0
; COMPUTE_PGM_RSRC2:TGID_X_EN: 1
; COMPUTE_PGM_RSRC2:TGID_Y_EN: 0
; COMPUTE_PGM_RSRC2:TGID_Z_EN: 0
; COMPUTE_PGM_RSRC2:TIDIG_COMP_CNT: 1
; COMPUTE_PGM_RSRC3_GFX90A:ACCUM_OFFSET: 17
; COMPUTE_PGM_RSRC3_GFX90A:TG_SPLIT: 0
	.section	.text._ZN9rocsparseL23bsric0_binsearch_kernelILj64ELj64ELb0E21rocsparse_complex_numIfEEEv20rocsparse_direction_iiPKiS5_PT2_S5_PiS5_S8_21rocsparse_index_base_,"axG",@progbits,_ZN9rocsparseL23bsric0_binsearch_kernelILj64ELj64ELb0E21rocsparse_complex_numIfEEEv20rocsparse_direction_iiPKiS5_PT2_S5_PiS5_S8_21rocsparse_index_base_,comdat
	.globl	_ZN9rocsparseL23bsric0_binsearch_kernelILj64ELj64ELb0E21rocsparse_complex_numIfEEEv20rocsparse_direction_iiPKiS5_PT2_S5_PiS5_S8_21rocsparse_index_base_ ; -- Begin function _ZN9rocsparseL23bsric0_binsearch_kernelILj64ELj64ELb0E21rocsparse_complex_numIfEEEv20rocsparse_direction_iiPKiS5_PT2_S5_PiS5_S8_21rocsparse_index_base_
	.p2align	8
	.type	_ZN9rocsparseL23bsric0_binsearch_kernelILj64ELj64ELb0E21rocsparse_complex_numIfEEEv20rocsparse_direction_iiPKiS5_PT2_S5_PiS5_S8_21rocsparse_index_base_,@function
_ZN9rocsparseL23bsric0_binsearch_kernelILj64ELj64ELb0E21rocsparse_complex_numIfEEEv20rocsparse_direction_iiPKiS5_PT2_S5_PiS5_S8_21rocsparse_index_base_: ; @_ZN9rocsparseL23bsric0_binsearch_kernelILj64ELj64ELb0E21rocsparse_complex_numIfEEEv20rocsparse_direction_iiPKiS5_PT2_S5_PiS5_S8_21rocsparse_index_base_
; %bb.0:
	s_load_dwordx8 s[16:23], s[4:5], 0x28
	s_ashr_i32 s7, s6, 31
	s_lshl_b64 s[0:1], s[6:7], 2
	s_waitcnt lgkmcnt(0)
	s_add_u32 s0, s20, s0
	s_addc_u32 s1, s21, s1
	s_load_dword s14, s[0:1], 0x0
	s_waitcnt lgkmcnt(0)
	s_ashr_i32 s15, s14, 31
	s_lshl_b64 s[0:1], s[14:15], 2
	s_add_u32 s0, s16, s0
	s_addc_u32 s1, s17, s1
	s_load_dword s54, s[0:1], 0x0
	s_load_dword s33, s[4:5], 0x48
	v_pk_mov_b32 v[2:3], s[14:15], s[14:15] op_sel:[0,1]
	s_mov_b64 s[0:1], 0
	s_waitcnt lgkmcnt(0)
	s_cmp_lg_u32 s54, -1
	s_cselect_b64 s[2:3], -1, 0
	s_and_saveexec_b64 s[6:7], s[2:3]
	s_xor_b64 s[20:21], exec, s[6:7]
	s_cbranch_execnz .LBB50_4
; %bb.1:
	s_andn2_saveexec_b64 s[2:3], s[20:21]
	s_cbranch_execnz .LBB50_77
.LBB50_2:
	s_or_b64 exec, exec, s[2:3]
	s_and_saveexec_b64 s[2:3], s[0:1]
	s_cbranch_execnz .LBB50_84
.LBB50_3:
	s_endpgm
.LBB50_4:
	s_load_dword s55, s[4:5], 0x8
	s_waitcnt lgkmcnt(0)
	v_cmp_gt_i32_e32 vcc, s55, v0
	s_and_saveexec_b64 s[28:29], vcc
	s_cbranch_execz .LBB50_76
; %bb.5:
	s_load_dwordx4 s[24:27], s[4:5], 0x10
	s_load_dword s6, s[4:5], 0x0
	v_lshlrev_b64 v[4:5], 2, s[14:15]
	v_add_u32_e32 v26, s33, v2
	s_load_dwordx2 s[30:31], s[4:5], 0x20
	s_waitcnt lgkmcnt(0)
	v_mov_b32_e32 v1, s25
	v_add_co_u32_e32 v4, vcc, s24, v4
	v_addc_co_u32_e32 v5, vcc, v1, v5, vcc
	global_load_dwordx2 v[4:5], v[4:5], off
	v_mov_b32_e32 v6, s54
	s_mul_i32 s25, s55, s55
	v_mul_lo_u32 v28, v6, s25
	s_cmp_eq_u32 s6, 0
	v_mov_b32_e32 v29, s27
	s_cselect_b64 s[2:3], -1, 0
	s_cmp_lg_u32 s6, 0
	s_mov_b32 s34, 0
	v_cmp_ne_u32_e64 s[0:1], 0, v0
	s_mov_b64 s[36:37], 0
	v_mov_b32_e32 v3, 0
	s_mov_b32 s56, 0xf800000
	v_mov_b32_e32 v27, 0x260
	s_cselect_b64 s[38:39], -1, 0
	s_waitcnt vmcnt(0)
	v_subrev_u32_e32 v30, s33, v4
	v_xad_u32 v31, s33, -1, v5
	v_add_u32_e32 v2, v31, v30
	v_ashrrev_i32_e32 v4, 1, v2
	v_ashrrev_i32_e32 v5, 31, v4
	v_lshlrev_b64 v[6:7], 2, v[4:5]
	v_mul_lo_u32 v32, s25, v30
	v_add_co_u32_e32 v6, vcc, s26, v6
	v_cmp_gt_i32_e64 s[4:5], s54, v30
	v_cmp_le_i32_e64 s[6:7], s54, v30
	v_cmp_lt_i32_e64 s[8:9], v30, v31
	v_add_u32_e32 v33, v32, v0
	v_addc_co_u32_e32 v7, vcc, v29, v7, vcc
	v_mov_b32_e32 v5, v0
	s_branch .LBB50_7
.LBB50_6:                               ;   in Loop: Header=BB50_7 Depth=1
	v_add_u32_e32 v5, 64, v5
	v_cmp_le_i32_e32 vcc, s55, v5
	s_or_b64 s[36:37], vcc, s[36:37]
	v_add_u32_e32 v33, 64, v33
	s_andn2_b64 exec, exec, s[36:37]
	s_cbranch_execz .LBB50_76
.LBB50_7:                               ; =>This Loop Header: Depth=1
                                        ;     Child Loop BB50_13 Depth 2
                                        ;       Child Loop BB50_16 Depth 3
                                        ;       Child Loop BB50_20 Depth 3
                                        ;         Child Loop BB50_22 Depth 4
                                        ;         Child Loop BB50_29 Depth 4
                                        ;           Child Loop BB50_31 Depth 5
                                        ;           Child Loop BB50_37 Depth 5
                                        ;     Child Loop BB50_44 Depth 2
                                        ;       Child Loop BB50_54 Depth 3
                                        ;       Child Loop BB50_62 Depth 3
                                        ;         Child Loop BB50_64 Depth 4
                                        ;       Child Loop BB50_72 Depth 3
	v_mul_lo_u32 v34, v5, s55
	s_and_saveexec_b64 s[10:11], s[6:7]
	s_xor_b64 s[10:11], exec, s[10:11]
; %bb.8:                                ;   in Loop: Header=BB50_7 Depth=1
	v_mul_lo_u32 v34, v5, s55
	s_mov_b32 s35, s34
; %bb.9:                                ;   in Loop: Header=BB50_7 Depth=1
	s_or_saveexec_b64 s[40:41], s[10:11]
	v_pk_mov_b32 v[8:9], s[34:35], s[34:35] op_sel:[0,1]
	s_xor_b64 exec, exec, s[40:41]
	s_cbranch_execz .LBB50_41
; %bb.10:                               ;   in Loop: Header=BB50_7 Depth=1
	s_mov_b32 s35, s34
	s_mov_b64 s[42:43], 0
	v_pk_mov_b32 v[8:9], s[34:35], s[34:35] op_sel:[0,1]
	v_mov_b32_e32 v10, v30
                                        ; implicit-def: $sgpr44_sgpr45
	s_branch .LBB50_13
.LBB50_11:                              ;   in Loop: Header=BB50_13 Depth=2
	v_add_u32_e32 v10, 1, v10
	v_cmp_le_i32_e32 vcc, s54, v10
	s_andn2_b64 s[10:11], s[44:45], exec
	s_and_b64 s[12:13], vcc, exec
	s_or_b64 s[44:45], s[10:11], s[12:13]
.LBB50_12:                              ;   in Loop: Header=BB50_13 Depth=2
	s_or_b64 exec, exec, s[46:47]
	s_and_b64 s[10:11], exec, s[44:45]
	s_or_b64 s[42:43], s[10:11], s[42:43]
	s_andn2_b64 exec, exec, s[42:43]
	s_cbranch_execz .LBB50_40
.LBB50_13:                              ;   Parent Loop BB50_7 Depth=1
                                        ; =>  This Loop Header: Depth=2
                                        ;       Child Loop BB50_16 Depth 3
                                        ;       Child Loop BB50_20 Depth 3
                                        ;         Child Loop BB50_22 Depth 4
                                        ;         Child Loop BB50_29 Depth 4
                                        ;           Child Loop BB50_31 Depth 5
                                        ;           Child Loop BB50_37 Depth 5
	v_ashrrev_i32_e32 v11, 31, v10
	v_lshlrev_b64 v[12:13], 2, v[10:11]
	v_add_co_u32_e32 v12, vcc, s26, v12
	v_addc_co_u32_e32 v13, vcc, v29, v13, vcc
	global_load_dword v11, v[12:13], off
	v_mov_b32_e32 v2, s17
	s_or_b64 s[44:45], s[44:45], exec
	s_waitcnt vmcnt(0)
	v_subrev_u32_e32 v12, s33, v11
	v_ashrrev_i32_e32 v13, 31, v12
	v_lshlrev_b64 v[14:15], 2, v[12:13]
	v_add_co_u32_e32 v16, vcc, s16, v14
	v_addc_co_u32_e32 v17, vcc, v2, v15, vcc
	global_load_dword v13, v[16:17], off
	s_waitcnt vmcnt(0)
	v_cmp_ne_u32_e32 vcc, -1, v13
	s_and_saveexec_b64 s[46:47], vcc
	s_cbranch_execz .LBB50_12
; %bb.14:                               ;   in Loop: Header=BB50_13 Depth=2
	v_add_co_u32_e32 v16, vcc, s24, v14
	v_addc_co_u32_e32 v17, vcc, v1, v15, vcc
	global_load_dword v2, v[16:17], off
	v_mov_b32_e32 v16, s19
	v_add_co_u32_e32 v14, vcc, s18, v14
	v_addc_co_u32_e32 v15, vcc, v16, v15, vcc
	global_load_dword v16, v[14:15], off glc
	s_waitcnt vmcnt(0)
	v_cmp_eq_u32_e32 vcc, 0, v16
	s_and_saveexec_b64 s[10:11], vcc
	s_cbranch_execz .LBB50_17
; %bb.15:                               ;   in Loop: Header=BB50_13 Depth=2
	s_mov_b64 s[12:13], 0
.LBB50_16:                              ;   Parent Loop BB50_7 Depth=1
                                        ;     Parent Loop BB50_13 Depth=2
                                        ; =>    This Inner Loop Header: Depth=3
	global_load_dword v16, v[14:15], off glc
	s_waitcnt vmcnt(0)
	v_cmp_ne_u32_e32 vcc, 0, v16
	s_or_b64 s[12:13], vcc, s[12:13]
	s_andn2_b64 exec, exec, s[12:13]
	s_cbranch_execnz .LBB50_16
.LBB50_17:                              ;   in Loop: Header=BB50_13 Depth=2
	s_or_b64 exec, exec, s[10:11]
	v_subrev_u32_e32 v35, s33, v2
	v_mul_lo_u32 v2, v10, s25
	v_mul_lo_u32 v36, v12, s55
	;; [unrolled: 1-line block ×3, first 2 shown]
	v_add_u32_e32 v38, v2, v5
	v_add_u32_e32 v39, v2, v34
	v_cmp_le_i32_e64 s[10:11], v35, v13
	v_mul_lo_u32 v40, s25, v35
	s_mov_b32 s57, 0
	buffer_wbinvl1_vol
	s_branch .LBB50_20
.LBB50_18:                              ;   in Loop: Header=BB50_20 Depth=3
	s_or_b64 exec, exec, s[48:49]
.LBB50_19:                              ;   in Loop: Header=BB50_20 Depth=3
	s_or_b64 exec, exec, s[12:13]
	v_mul_f32_e32 v20, v12, v12
	v_fmac_f32_e32 v20, v2, v2
	v_div_scale_f32 v21, s[12:13], v20, v20, 1.0
	v_rcp_f32_e32 v22, v21
	s_waitcnt vmcnt(0)
	v_pk_add_f32 v[16:17], v[16:17], v[18:19] neg_lo:[0,1] neg_hi:[0,1]
	s_add_i32 s57, s57, 1
	s_cmp_eq_u32 s57, s55
	v_fma_f32 v18, -v21, v22, 1.0
	v_fmac_f32_e32 v22, v18, v22
	v_div_scale_f32 v18, vcc, 1.0, v20, 1.0
	v_mul_f32_e32 v19, v18, v22
	v_fma_f32 v23, -v21, v19, v18
	v_fmac_f32_e32 v19, v23, v22
	v_fma_f32 v18, -v21, v19, v18
	v_div_fmas_f32 v18, v18, v22, v19
	v_div_fixup_f32 v18, v18, v20, 1.0
	v_pk_mul_f32 v[20:21], v[12:13], v[16:17] op_sel:[0,1] op_sel_hi:[0,0] neg_hi:[0,1]
	v_pk_fma_f32 v[16:17], v[16:17], v[2:3], v[20:21] op_sel_hi:[1,0,1]
	v_pk_mul_f32 v[16:17], v[18:19], v[16:17] op_sel_hi:[0,1]
	v_xor_b32_e32 v18, 0x80000000, v17
	v_pk_fma_f32 v[8:9], v[16:17], v[16:17], v[8:9] op_sel:[1,0,0] op_sel_hi:[0,0,1]
	v_mov_b32_e32 v19, v17
	v_pk_fma_f32 v[8:9], v[16:17], v[18:19], v[8:9]
	v_add_u32_e32 v40, 1, v40
	global_store_dwordx2 v[14:15], v[16:17], off
	s_cbranch_scc1 .LBB50_11
.LBB50_20:                              ;   Parent Loop BB50_7 Depth=1
                                        ;     Parent Loop BB50_13 Depth=2
                                        ; =>    This Loop Header: Depth=3
                                        ;         Child Loop BB50_22 Depth 4
                                        ;         Child Loop BB50_29 Depth 4
                                        ;           Child Loop BB50_31 Depth 5
                                        ;           Child Loop BB50_37 Depth 5
	s_mul_i32 s58, s57, s55
	s_add_i32 s12, s58, s57
	v_add_u32_e32 v14, s12, v37
	v_ashrrev_i32_e32 v15, 31, v14
	v_lshlrev_b64 v[14:15], 3, v[14:15]
	v_mov_b32_e32 v2, s31
	v_add_co_u32_e32 v14, vcc, s30, v14
	v_addc_co_u32_e32 v15, vcc, v2, v15, vcc
	global_load_dwordx2 v[14:15], v[14:15], off
	s_waitcnt vmcnt(0)
	v_cmp_neq_f32_e32 vcc, 0, v14
	v_cmp_neq_f32_e64 s[12:13], 0, v15
	s_or_b64 vcc, vcc, s[12:13]
	s_or_b64 s[12:13], vcc, s[0:1]
	v_cndmask_b32_e32 v2, 1.0, v14, vcc
	s_xor_b64 s[48:49], s[12:13], -1
	v_cndmask_b32_e32 v12, 0, v15, vcc
	s_and_saveexec_b64 s[12:13], s[48:49]
	s_cbranch_execz .LBB50_26
; %bb.21:                               ;   in Loop: Header=BB50_20 Depth=3
	s_mov_b64 s[48:49], exec
	s_brev_b32 s35, -2
.LBB50_22:                              ;   Parent Loop BB50_7 Depth=1
                                        ;     Parent Loop BB50_13 Depth=2
                                        ;       Parent Loop BB50_20 Depth=3
                                        ; =>      This Inner Loop Header: Depth=4
	s_ff1_i32_b64 s50, s[48:49]
	v_readlane_b32 s52, v11, s50
	s_lshl_b64 s[50:51], 1, s50
	s_min_i32 s35, s35, s52
	s_andn2_b64 s[48:49], s[48:49], s[50:51]
	s_cmp_lg_u64 s[48:49], 0
	s_cbranch_scc1 .LBB50_22
; %bb.23:                               ;   in Loop: Header=BB50_20 Depth=3
	v_mbcnt_lo_u32_b32 v2, exec_lo, 0
	v_mbcnt_hi_u32_b32 v2, exec_hi, v2
	v_cmp_eq_u32_e32 vcc, 0, v2
	s_and_saveexec_b64 s[48:49], vcc
	s_xor_b64 s[48:49], exec, s[48:49]
	s_cbranch_execz .LBB50_25
; %bb.24:                               ;   in Loop: Header=BB50_20 Depth=3
	v_mov_b32_e32 v2, s35
	global_atomic_smin v3, v2, s[22:23]
.LBB50_25:                              ;   in Loop: Header=BB50_20 Depth=3
	s_or_b64 exec, exec, s[48:49]
	v_mov_b32_e32 v12, 0
	v_mov_b32_e32 v2, 1.0
.LBB50_26:                              ;   in Loop: Header=BB50_20 Depth=3
	s_or_b64 exec, exec, s[12:13]
	v_add_u32_e32 v14, s57, v39
	v_add_u32_e32 v15, s58, v38
	v_cndmask_b32_e64 v14, v15, v14, s[2:3]
	v_ashrrev_i32_e32 v15, 31, v14
	v_lshlrev_b64 v[14:15], 3, v[14:15]
	v_mov_b32_e32 v16, s31
	v_add_co_u32_e32 v14, vcc, s30, v14
	v_addc_co_u32_e32 v15, vcc, v16, v15, vcc
	global_load_dwordx2 v[16:17], v[14:15], off
	s_mov_b32 s35, s34
	v_pk_mov_b32 v[18:19], s[34:35], s[34:35] op_sel:[0,1]
	s_and_saveexec_b64 s[12:13], s[10:11]
	s_cbranch_execz .LBB50_19
; %bb.27:                               ;   in Loop: Header=BB50_20 Depth=3
	global_load_dword v41, v[6:7], off
	v_add_u32_e32 v42, s57, v36
	s_mov_b64 s[48:49], 0
	v_pk_mov_b32 v[18:19], s[34:35], s[34:35] op_sel:[0,1]
	v_mov_b32_e32 v43, v40
	v_mov_b32_e32 v20, v35
	s_branch .LBB50_29
.LBB50_28:                              ;   in Loop: Header=BB50_29 Depth=4
	s_or_b64 exec, exec, s[50:51]
	v_add_u32_e32 v21, 1, v20
	v_cmp_ge_i32_e32 vcc, v20, v13
	v_add_u32_e32 v43, s25, v43
	s_or_b64 s[48:49], vcc, s[48:49]
	v_mov_b32_e32 v20, v21
	s_andn2_b64 exec, exec, s[48:49]
	s_cbranch_execz .LBB50_18
.LBB50_29:                              ;   Parent Loop BB50_7 Depth=1
                                        ;     Parent Loop BB50_13 Depth=2
                                        ;       Parent Loop BB50_20 Depth=3
                                        ; =>      This Loop Header: Depth=4
                                        ;           Child Loop BB50_31 Depth 5
                                        ;           Child Loop BB50_37 Depth 5
	v_ashrrev_i32_e32 v21, 31, v20
	v_lshlrev_b64 v[22:23], 2, v[20:21]
	v_mov_b32_e32 v21, s27
	v_add_co_u32_e32 v22, vcc, s26, v22
	v_addc_co_u32_e32 v23, vcc, v21, v23, vcc
	global_load_dword v21, v[22:23], off
	s_waitcnt vmcnt(1)
	v_mov_b32_e32 v23, v41
	v_mov_b32_e32 v22, v4
	s_and_saveexec_b64 s[50:51], s[8:9]
	s_cbranch_execz .LBB50_33
; %bb.30:                               ;   in Loop: Header=BB50_29 Depth=4
	s_mov_b64 s[52:53], 0
	v_mov_b32_e32 v23, v41
	v_mov_b32_e32 v22, v4
	;; [unrolled: 1-line block ×4, first 2 shown]
.LBB50_31:                              ;   Parent Loop BB50_7 Depth=1
                                        ;     Parent Loop BB50_13 Depth=2
                                        ;       Parent Loop BB50_20 Depth=3
                                        ;         Parent Loop BB50_29 Depth=4
                                        ; =>        This Inner Loop Header: Depth=5
	v_add_u32_e32 v44, 1, v22
	s_waitcnt vmcnt(0)
	v_cmp_lt_i32_e32 vcc, v23, v21
	v_cndmask_b32_e32 v25, v22, v25, vcc
	v_cndmask_b32_e32 v24, v24, v44, vcc
	v_add_u32_e32 v22, v25, v24
	v_ashrrev_i32_e32 v22, 1, v22
	v_ashrrev_i32_e32 v23, 31, v22
	v_lshlrev_b64 v[44:45], 2, v[22:23]
	v_mov_b32_e32 v23, s27
	v_add_co_u32_e32 v44, vcc, s26, v44
	v_addc_co_u32_e32 v45, vcc, v23, v45, vcc
	global_load_dword v23, v[44:45], off
	v_cmp_ge_i32_e32 vcc, v24, v25
	s_or_b64 s[52:53], vcc, s[52:53]
	s_andn2_b64 exec, exec, s[52:53]
	s_cbranch_execnz .LBB50_31
; %bb.32:                               ;   in Loop: Header=BB50_29 Depth=4
	s_or_b64 exec, exec, s[52:53]
.LBB50_33:                              ;   in Loop: Header=BB50_29 Depth=4
	s_or_b64 exec, exec, s[50:51]
	s_waitcnt vmcnt(0)
	v_cmp_eq_u32_e32 vcc, v23, v21
	s_and_saveexec_b64 s[50:51], vcc
	s_cbranch_execz .LBB50_28
; %bb.34:                               ;   in Loop: Header=BB50_29 Depth=4
	v_subrev_u32_e32 v21, s33, v21
	v_mul_lo_u32 v23, v20, s25
	v_mul_lo_u32 v22, v22, s25
	;; [unrolled: 1-line block ×3, first 2 shown]
	v_add_u32_e32 v44, s58, v23
	v_add_u32_e32 v45, v22, v34
	v_add_u32_e32 v46, v5, v22
	s_mov_b32 s35, 0
	v_mov_b32_e32 v47, v43
	s_branch .LBB50_37
.LBB50_35:                              ;   in Loop: Header=BB50_37 Depth=5
	v_ashrrev_i32_e32 v25, 31, v24
	v_lshlrev_b64 v[24:25], 3, v[24:25]
	v_mov_b32_e32 v48, s31
	v_add_co_u32_e32 v24, vcc, s30, v24
	v_ashrrev_i32_e32 v23, 31, v22
	v_addc_co_u32_e32 v25, vcc, v48, v25, vcc
	v_lshlrev_b64 v[22:23], 3, v[22:23]
	v_add_co_u32_e32 v22, vcc, s30, v22
	v_addc_co_u32_e32 v23, vcc, v48, v23, vcc
	global_load_dwordx2 v[22:23], v[22:23], off
	s_nop 0
	global_load_dwordx2 v[24:25], v[24:25], off
	s_waitcnt vmcnt(0)
	v_pk_fma_f32 v[18:19], v[24:25], v[22:23], v[18:19] op_sel_hi:[1,0,1]
	v_pk_fma_f32 v[18:19], v[24:25], v[22:23], v[18:19] op_sel:[1,1,0] op_sel_hi:[0,1,1] neg_hi:[0,1,0]
.LBB50_36:                              ;   in Loop: Header=BB50_37 Depth=5
	s_or_b64 exec, exec, s[52:53]
	s_add_i32 s35, s35, 1
	v_add_u32_e32 v46, s55, v46
	s_cmp_lg_u32 s55, s35
	v_add_u32_e32 v47, s55, v47
	s_cbranch_scc0 .LBB50_28
.LBB50_37:                              ;   Parent Loop BB50_7 Depth=1
                                        ;     Parent Loop BB50_13 Depth=2
                                        ;       Parent Loop BB50_20 Depth=3
                                        ;         Parent Loop BB50_29 Depth=4
                                        ; =>        This Inner Loop Header: Depth=5
	v_add_u32_e32 v22, s35, v21
	v_cmp_lt_i32_e32 vcc, v22, v42
	s_and_saveexec_b64 s[52:53], vcc
	s_cbranch_execz .LBB50_36
; %bb.38:                               ;   in Loop: Header=BB50_37 Depth=5
	s_andn2_b64 vcc, exec, s[2:3]
	v_mov_b32_e32 v24, v47
	v_mov_b32_e32 v22, v46
	s_cbranch_vccnz .LBB50_35
; %bb.39:                               ;   in Loop: Header=BB50_37 Depth=5
	v_add_u32_e32 v24, s35, v44
	v_add_u32_e32 v22, s35, v45
	s_branch .LBB50_35
.LBB50_40:                              ;   in Loop: Header=BB50_7 Depth=1
	s_or_b64 exec, exec, s[42:43]
.LBB50_41:                              ;   in Loop: Header=BB50_7 Depth=1
	s_or_b64 exec, exec, s[40:41]
	v_add_u32_e32 v22, v34, v28
	s_mov_b32 s44, 0
	v_mov_b32_e32 v23, v32
	s_branch .LBB50_44
.LBB50_42:                              ;   in Loop: Header=BB50_44 Depth=2
	v_mul_f32_e32 v11, v2, v2
	v_fmac_f32_e32 v11, v10, v10
	v_div_scale_f32 v18, s[12:13], v11, v11, 1.0
	v_rcp_f32_e32 v19, v18
	s_waitcnt vmcnt(0)
	v_pk_add_f32 v[14:15], v[14:15], v[16:17] neg_lo:[0,1] neg_hi:[0,1]
	v_fma_f32 v16, -v18, v19, 1.0
	v_fmac_f32_e32 v19, v16, v19
	v_div_scale_f32 v16, vcc, 1.0, v11, 1.0
	v_mul_f32_e32 v17, v16, v19
	v_fma_f32 v20, -v18, v17, v16
	v_fmac_f32_e32 v17, v20, v19
	v_fma_f32 v16, -v18, v17, v16
	v_div_fmas_f32 v16, v16, v19, v17
	v_pk_mul_f32 v[18:19], v[2:3], v[14:15] op_sel:[0,1] op_sel_hi:[0,0] neg_hi:[0,1]
	v_div_fixup_f32 v16, v16, v11, 1.0
	v_pk_fma_f32 v[10:11], v[14:15], v[10:11], v[18:19] op_sel_hi:[1,0,1]
	v_pk_mul_f32 v[10:11], v[16:17], v[10:11] op_sel_hi:[0,1]
	v_xor_b32_e32 v14, 0x80000000, v11
	v_pk_fma_f32 v[8:9], v[10:11], v[10:11], v[8:9] op_sel:[1,0,0] op_sel_hi:[0,0,1]
	v_mov_b32_e32 v15, v11
	v_pk_fma_f32 v[8:9], v[10:11], v[14:15], v[8:9]
	global_store_dwordx2 v[12:13], v[10:11], off
.LBB50_43:                              ;   in Loop: Header=BB50_44 Depth=2
	s_or_b64 exec, exec, s[10:11]
	s_add_i32 s44, s44, 1
	s_cmp_eq_u32 s44, s55
	v_add_u32_e32 v23, 1, v23
	s_waitcnt vmcnt(0)
	buffer_wbinvl1_vol
	s_cbranch_scc1 .LBB50_6
.LBB50_44:                              ;   Parent Loop BB50_7 Depth=1
                                        ; =>  This Loop Header: Depth=2
                                        ;       Child Loop BB50_54 Depth 3
                                        ;       Child Loop BB50_62 Depth 3
                                        ;         Child Loop BB50_64 Depth 4
                                        ;       Child Loop BB50_72 Depth 3
	s_mul_i32 s45, s44, s55
	v_add_u32_e32 v24, s45, v28
	v_add_u32_e32 v10, s44, v24
	v_ashrrev_i32_e32 v11, 31, v10
	v_cmp_eq_u32_e32 vcc, s44, v5
	v_lshlrev_b64 v[10:11], 3, v[10:11]
	s_and_saveexec_b64 s[12:13], vcc
	s_cbranch_execz .LBB50_52
; %bb.45:                               ;   in Loop: Header=BB50_44 Depth=2
	v_mov_b32_e32 v2, s31
	v_add_co_u32_e32 v12, vcc, s30, v10
	v_addc_co_u32_e32 v13, vcc, v2, v11, vcc
	global_load_dwordx2 v[14:15], v[12:13], off
	s_waitcnt vmcnt(0)
	v_sub_f32_e32 v2, v14, v9
	v_sub_f32_e32 v16, v15, v8
	v_cmp_gt_f32_e32 vcc, 0, v2
	v_cndmask_b32_e64 v2, v2, -v2, vcc
	v_cmp_gt_f32_e32 vcc, 0, v16
	v_cndmask_b32_e64 v14, v16, -v16, vcc
	v_cmp_ngt_f32_e32 vcc, v2, v14
                                        ; implicit-def: $vgpr15
	s_and_saveexec_b64 s[10:11], vcc
	s_xor_b64 s[40:41], exec, s[10:11]
	s_cbranch_execz .LBB50_49
; %bb.46:                               ;   in Loop: Header=BB50_44 Depth=2
	v_cmp_neq_f32_e32 vcc, 0, v16
	v_mov_b32_e32 v15, 0
	s_and_saveexec_b64 s[42:43], vcc
	s_cbranch_execz .LBB50_48
; %bb.47:                               ;   in Loop: Header=BB50_44 Depth=2
	v_div_scale_f32 v15, s[10:11], v14, v14, v2
	v_rcp_f32_e32 v16, v15
	v_div_scale_f32 v17, vcc, v2, v14, v2
	v_fma_f32 v18, -v15, v16, 1.0
	v_fmac_f32_e32 v16, v18, v16
	v_mul_f32_e32 v18, v17, v16
	v_fma_f32 v19, -v15, v18, v17
	v_fmac_f32_e32 v18, v19, v16
	v_fma_f32 v15, -v15, v18, v17
	v_div_fmas_f32 v15, v15, v16, v18
	v_div_fixup_f32 v2, v15, v14, v2
	v_fma_f32 v2, v2, v2, 1.0
	v_mul_f32_e32 v15, 0x4f800000, v2
	v_cmp_gt_f32_e32 vcc, s56, v2
	v_cndmask_b32_e32 v2, v2, v15, vcc
	v_sqrt_f32_e32 v15, v2
	v_add_u32_e32 v16, -1, v15
	v_fma_f32 v17, -v16, v15, v2
	v_cmp_ge_f32_e64 s[10:11], 0, v17
	v_add_u32_e32 v17, 1, v15
	v_cndmask_b32_e64 v16, v15, v16, s[10:11]
	v_fma_f32 v15, -v17, v15, v2
	v_cmp_lt_f32_e64 s[10:11], 0, v15
	v_cndmask_b32_e64 v15, v16, v17, s[10:11]
	v_mul_f32_e32 v16, 0x37800000, v15
	v_cndmask_b32_e32 v15, v15, v16, vcc
	v_cmp_class_f32_e32 vcc, v2, v27
	v_cndmask_b32_e32 v2, v15, v2, vcc
	v_mul_f32_e32 v15, v14, v2
.LBB50_48:                              ;   in Loop: Header=BB50_44 Depth=2
	s_or_b64 exec, exec, s[42:43]
                                        ; implicit-def: $vgpr2
                                        ; implicit-def: $vgpr14
.LBB50_49:                              ;   in Loop: Header=BB50_44 Depth=2
	s_andn2_saveexec_b64 s[40:41], s[40:41]
	s_cbranch_execz .LBB50_51
; %bb.50:                               ;   in Loop: Header=BB50_44 Depth=2
	v_div_scale_f32 v15, s[10:11], v2, v2, v14
	v_rcp_f32_e32 v16, v15
	v_div_scale_f32 v17, vcc, v14, v2, v14
	v_fma_f32 v18, -v15, v16, 1.0
	v_fmac_f32_e32 v16, v18, v16
	v_mul_f32_e32 v18, v17, v16
	v_fma_f32 v19, -v15, v18, v17
	v_fmac_f32_e32 v18, v19, v16
	v_fma_f32 v15, -v15, v18, v17
	v_div_fmas_f32 v15, v15, v16, v18
	v_div_fixup_f32 v14, v15, v2, v14
	v_fma_f32 v14, v14, v14, 1.0
	v_mul_f32_e32 v15, 0x4f800000, v14
	v_cmp_gt_f32_e32 vcc, s56, v14
	v_cndmask_b32_e32 v14, v14, v15, vcc
	v_sqrt_f32_e32 v15, v14
	v_add_u32_e32 v16, -1, v15
	v_fma_f32 v17, -v16, v15, v14
	v_cmp_ge_f32_e64 s[10:11], 0, v17
	v_add_u32_e32 v17, 1, v15
	v_cndmask_b32_e64 v16, v15, v16, s[10:11]
	v_fma_f32 v15, -v17, v15, v14
	v_cmp_lt_f32_e64 s[10:11], 0, v15
	v_cndmask_b32_e64 v15, v16, v17, s[10:11]
	v_mul_f32_e32 v16, 0x37800000, v15
	v_cndmask_b32_e32 v15, v15, v16, vcc
	v_cmp_class_f32_e32 vcc, v14, v27
	v_cndmask_b32_e32 v14, v15, v14, vcc
	v_mul_f32_e32 v15, v2, v14
.LBB50_51:                              ;   in Loop: Header=BB50_44 Depth=2
	s_or_b64 exec, exec, s[40:41]
	v_mul_f32_e32 v2, 0x4f800000, v15
	v_cmp_gt_f32_e32 vcc, s56, v15
	v_cndmask_b32_e32 v2, v15, v2, vcc
	v_sqrt_f32_e32 v14, v2
	v_add_u32_e32 v15, -1, v14
	v_fma_f32 v17, -v15, v14, v2
	v_add_u32_e32 v16, 1, v14
	v_cmp_ge_f32_e64 s[10:11], 0, v17
	v_cndmask_b32_e64 v15, v14, v15, s[10:11]
	v_fma_f32 v14, -v16, v14, v2
	v_cmp_lt_f32_e64 s[10:11], 0, v14
	v_cndmask_b32_e64 v14, v15, v16, s[10:11]
	v_mul_f32_e32 v15, 0x37800000, v14
	v_cndmask_b32_e32 v14, v14, v15, vcc
	v_cmp_class_f32_e32 vcc, v2, v27
	v_cndmask_b32_e32 v2, v14, v2, vcc
	global_store_dwordx2 v[12:13], v[2:3], off
.LBB50_52:                              ;   in Loop: Header=BB50_44 Depth=2
	s_or_b64 exec, exec, s[12:13]
	v_mov_b32_e32 v2, s31
	v_add_co_u32_e32 v10, vcc, s30, v10
	v_addc_co_u32_e32 v11, vcc, v2, v11, vcc
	s_waitcnt vmcnt(0)
	buffer_wbinvl1_vol
	global_load_dwordx2 v[10:11], v[10:11], off
	s_waitcnt vmcnt(0)
	v_cmp_neq_f32_e32 vcc, 0, v10
	v_cmp_neq_f32_e64 s[10:11], 0, v11
	s_or_b64 vcc, vcc, s[10:11]
	s_or_b64 s[10:11], vcc, s[0:1]
	v_cndmask_b32_e32 v2, 0, v11, vcc
	s_xor_b64 s[12:13], s[10:11], -1
	v_cndmask_b32_e32 v10, 1.0, v10, vcc
	s_and_saveexec_b64 s[10:11], s[12:13]
	s_cbranch_execz .LBB50_58
; %bb.53:                               ;   in Loop: Header=BB50_44 Depth=2
	s_mov_b64 s[12:13], exec
	s_brev_b32 s35, -2
.LBB50_54:                              ;   Parent Loop BB50_7 Depth=1
                                        ;     Parent Loop BB50_44 Depth=2
                                        ; =>    This Inner Loop Header: Depth=3
	s_ff1_i32_b64 s40, s[12:13]
	v_readlane_b32 s42, v26, s40
	s_lshl_b64 s[40:41], 1, s40
	s_min_i32 s35, s35, s42
	s_andn2_b64 s[12:13], s[12:13], s[40:41]
	s_cmp_lg_u64 s[12:13], 0
	s_cbranch_scc1 .LBB50_54
; %bb.55:                               ;   in Loop: Header=BB50_44 Depth=2
	v_mbcnt_lo_u32_b32 v2, exec_lo, 0
	v_mbcnt_hi_u32_b32 v2, exec_hi, v2
	v_cmp_eq_u32_e32 vcc, 0, v2
	s_and_saveexec_b64 s[12:13], vcc
	s_xor_b64 s[12:13], exec, s[12:13]
	s_cbranch_execz .LBB50_57
; %bb.56:                               ;   in Loop: Header=BB50_44 Depth=2
	v_mov_b32_e32 v2, s35
	global_atomic_smin v3, v2, s[22:23]
.LBB50_57:                              ;   in Loop: Header=BB50_44 Depth=2
	s_or_b64 exec, exec, s[12:13]
	v_mov_b32_e32 v10, 1.0
	v_mov_b32_e32 v2, 0
.LBB50_58:                              ;   in Loop: Header=BB50_44 Depth=2
	s_or_b64 exec, exec, s[10:11]
	v_cmp_lt_i32_e32 vcc, s44, v5
	s_and_saveexec_b64 s[10:11], vcc
	s_cbranch_execz .LBB50_43
; %bb.59:                               ;   in Loop: Header=BB50_44 Depth=2
	v_add_u32_e32 v11, s44, v22
	v_add_u32_e32 v12, v24, v5
	v_cndmask_b32_e64 v12, v12, v11, s[2:3]
	v_ashrrev_i32_e32 v13, 31, v12
	v_lshlrev_b64 v[12:13], 3, v[12:13]
	v_mov_b32_e32 v11, s31
	v_add_co_u32_e32 v12, vcc, s30, v12
	v_addc_co_u32_e32 v13, vcc, v11, v13, vcc
	global_load_dwordx2 v[14:15], v[12:13], off
	s_mov_b32 s35, s34
	v_pk_mov_b32 v[16:17], s[34:35], s[34:35] op_sel:[0,1]
	s_and_saveexec_b64 s[12:13], s[4:5]
	s_cbranch_execz .LBB50_69
; %bb.60:                               ;   in Loop: Header=BB50_44 Depth=2
	s_mov_b64 s[40:41], 0
	v_pk_mov_b32 v[16:17], s[34:35], s[34:35] op_sel:[0,1]
	v_mov_b32_e32 v11, v23
	v_mov_b32_e32 v25, v33
	;; [unrolled: 1-line block ×3, first 2 shown]
	s_branch .LBB50_62
.LBB50_61:                              ;   in Loop: Header=BB50_62 Depth=3
	v_add_u32_e32 v35, 1, v35
	v_cmp_le_i32_e32 vcc, s54, v35
	v_add_u32_e32 v25, s25, v25
	s_or_b64 s[40:41], vcc, s[40:41]
	v_add_u32_e32 v11, s25, v11
	s_andn2_b64 exec, exec, s[40:41]
	s_cbranch_execz .LBB50_68
.LBB50_62:                              ;   Parent Loop BB50_7 Depth=1
                                        ;     Parent Loop BB50_44 Depth=2
                                        ; =>    This Loop Header: Depth=3
                                        ;         Child Loop BB50_64 Depth 4
	v_mul_lo_u32 v18, v35, s25
	v_add_u32_e32 v36, s45, v18
	v_add_u32_e32 v37, v18, v34
	s_mov_b32 s35, 0
	s_mov_b32 s46, s55
	;; [unrolled: 1-line block ×3, first 2 shown]
	s_branch .LBB50_64
.LBB50_63:                              ;   in Loop: Header=BB50_64 Depth=4
	v_ashrrev_i32_e32 v21, 31, v20
	v_lshlrev_b64 v[20:21], 3, v[20:21]
	v_mov_b32_e32 v38, s31
	v_add_co_u32_e32 v20, vcc, s30, v20
	v_ashrrev_i32_e32 v19, 31, v18
	v_addc_co_u32_e32 v21, vcc, v38, v21, vcc
	v_lshlrev_b64 v[18:19], 3, v[18:19]
	v_add_co_u32_e32 v18, vcc, s30, v18
	v_addc_co_u32_e32 v19, vcc, v38, v19, vcc
	global_load_dwordx2 v[18:19], v[18:19], off
	s_nop 0
	global_load_dwordx2 v[20:21], v[20:21], off
	s_add_i32 s47, s47, 1
	s_add_i32 s35, s35, s55
	s_add_i32 s46, s46, -1
	s_cmp_eq_u32 s46, 0
	s_waitcnt vmcnt(0)
	v_pk_fma_f32 v[16:17], v[20:21], v[18:19], v[16:17] op_sel_hi:[1,0,1]
	v_pk_fma_f32 v[16:17], v[20:21], v[18:19], v[16:17] op_sel:[1,1,0] op_sel_hi:[0,1,1] neg_hi:[0,1,0]
	s_cbranch_scc1 .LBB50_61
.LBB50_64:                              ;   Parent Loop BB50_7 Depth=1
                                        ;     Parent Loop BB50_44 Depth=2
                                        ;       Parent Loop BB50_62 Depth=3
                                        ; =>      This Inner Loop Header: Depth=4
	s_and_b64 vcc, exec, s[38:39]
	s_cbranch_vccz .LBB50_66
; %bb.65:                               ;   in Loop: Header=BB50_64 Depth=4
	v_add_u32_e32 v20, s35, v11
	v_add_u32_e32 v18, s35, v25
	s_cbranch_execnz .LBB50_63
	s_branch .LBB50_67
.LBB50_66:                              ;   in Loop: Header=BB50_64 Depth=4
                                        ; implicit-def: $vgpr18
                                        ; implicit-def: $vgpr20
.LBB50_67:                              ;   in Loop: Header=BB50_64 Depth=4
	v_add_u32_e32 v20, s47, v36
	v_add_u32_e32 v18, s47, v37
	s_branch .LBB50_63
.LBB50_68:                              ;   in Loop: Header=BB50_44 Depth=2
	s_or_b64 exec, exec, s[40:41]
.LBB50_69:                              ;   in Loop: Header=BB50_44 Depth=2
	s_or_b64 exec, exec, s[12:13]
	s_cmp_eq_u32 s44, 0
	s_cbranch_scc1 .LBB50_42
; %bb.70:                               ;   in Loop: Header=BB50_44 Depth=2
	s_mov_b32 s35, 0
	v_mov_b32_e32 v11, v28
	s_branch .LBB50_72
.LBB50_71:                              ;   in Loop: Header=BB50_72 Depth=3
	v_ashrrev_i32_e32 v21, 31, v20
	v_lshlrev_b64 v[20:21], 3, v[20:21]
	v_mov_b32_e32 v25, s31
	v_add_co_u32_e32 v20, vcc, s30, v20
	v_ashrrev_i32_e32 v19, 31, v18
	v_addc_co_u32_e32 v21, vcc, v25, v21, vcc
	v_lshlrev_b64 v[18:19], 3, v[18:19]
	v_add_co_u32_e32 v18, vcc, s30, v18
	v_addc_co_u32_e32 v19, vcc, v25, v19, vcc
	global_load_dwordx2 v[36:37], v[18:19], off
	global_load_dwordx2 v[38:39], v[20:21], off
	s_add_i32 s35, s35, 1
	s_cmp_ge_u32 s35, s44
	v_add_u32_e32 v11, s55, v11
	s_waitcnt vmcnt(0)
	v_pk_fma_f32 v[16:17], v[38:39], v[36:37], v[16:17] op_sel_hi:[1,0,1]
	v_pk_fma_f32 v[16:17], v[38:39], v[36:37], v[16:17] op_sel:[1,1,0] op_sel_hi:[0,1,1] neg_hi:[0,1,0]
	s_cbranch_scc1 .LBB50_42
.LBB50_72:                              ;   Parent Loop BB50_7 Depth=1
                                        ;     Parent Loop BB50_44 Depth=2
                                        ; =>    This Inner Loop Header: Depth=3
	s_and_b64 vcc, exec, s[38:39]
	s_cbranch_vccz .LBB50_74
; %bb.73:                               ;   in Loop: Header=BB50_72 Depth=3
	v_add_u32_e32 v20, s44, v11
	v_add_u32_e32 v18, v5, v11
	s_cbranch_execnz .LBB50_71
	s_branch .LBB50_75
.LBB50_74:                              ;   in Loop: Header=BB50_72 Depth=3
                                        ; implicit-def: $vgpr18
                                        ; implicit-def: $vgpr20
.LBB50_75:                              ;   in Loop: Header=BB50_72 Depth=3
	v_add_u32_e32 v20, s35, v24
	v_add_u32_e32 v18, s35, v22
	s_branch .LBB50_71
.LBB50_76:
	s_or_b64 exec, exec, s[28:29]
	v_cmp_eq_u32_e32 vcc, 63, v0
	s_and_b64 s[0:1], vcc, exec
                                        ; implicit-def: $vgpr0
                                        ; implicit-def: $vgpr2_vgpr3
	s_andn2_saveexec_b64 s[2:3], s[20:21]
	s_cbranch_execz .LBB50_2
.LBB50_77:
	v_cmp_eq_u32_e32 vcc, 63, v0
	s_mov_b64 s[6:7], s[0:1]
	s_and_saveexec_b64 s[4:5], vcc
	s_cbranch_execz .LBB50_83
; %bb.78:
	s_mov_b64 s[6:7], exec
	v_add_u32_e32 v0, s33, v2
	s_brev_b32 s8, -2
.LBB50_79:                              ; =>This Inner Loop Header: Depth=1
	s_ff1_i32_b64 s9, s[6:7]
	v_readlane_b32 s12, v0, s9
	s_lshl_b64 s[10:11], 1, s9
	s_min_i32 s8, s8, s12
	s_andn2_b64 s[6:7], s[6:7], s[10:11]
	s_cmp_lg_u64 s[6:7], 0
	s_cbranch_scc1 .LBB50_79
; %bb.80:
	v_mbcnt_lo_u32_b32 v0, exec_lo, 0
	v_mbcnt_hi_u32_b32 v0, exec_hi, v0
	v_cmp_eq_u32_e32 vcc, 0, v0
	s_and_saveexec_b64 s[6:7], vcc
	s_xor_b64 s[6:7], exec, s[6:7]
	s_cbranch_execz .LBB50_82
; %bb.81:
	v_mov_b32_e32 v0, 0
	v_mov_b32_e32 v1, s8
	global_atomic_smin v0, v1, s[22:23]
.LBB50_82:
	s_or_b64 exec, exec, s[6:7]
	s_or_b64 s[6:7], s[0:1], exec
.LBB50_83:
	s_or_b64 exec, exec, s[4:5]
	s_andn2_b64 s[0:1], s[0:1], exec
	s_and_b64 s[4:5], s[6:7], exec
	s_or_b64 s[0:1], s[0:1], s[4:5]
	s_or_b64 exec, exec, s[2:3]
	s_and_saveexec_b64 s[2:3], s[0:1]
	s_cbranch_execz .LBB50_3
.LBB50_84:
	v_lshlrev_b64 v[0:1], 2, s[14:15]
	v_mov_b32_e32 v2, s19
	v_add_co_u32_e32 v0, vcc, s18, v0
	v_addc_co_u32_e32 v1, vcc, v2, v1, vcc
	v_mov_b32_e32 v2, 1
	s_waitcnt vmcnt(0)
	global_store_dword v[0:1], v2, off
	s_endpgm
	.section	.rodata,"a",@progbits
	.p2align	6, 0x0
	.amdhsa_kernel _ZN9rocsparseL23bsric0_binsearch_kernelILj64ELj64ELb0E21rocsparse_complex_numIfEEEv20rocsparse_direction_iiPKiS5_PT2_S5_PiS5_S8_21rocsparse_index_base_
		.amdhsa_group_segment_fixed_size 0
		.amdhsa_private_segment_fixed_size 0
		.amdhsa_kernarg_size 76
		.amdhsa_user_sgpr_count 6
		.amdhsa_user_sgpr_private_segment_buffer 1
		.amdhsa_user_sgpr_dispatch_ptr 0
		.amdhsa_user_sgpr_queue_ptr 0
		.amdhsa_user_sgpr_kernarg_segment_ptr 1
		.amdhsa_user_sgpr_dispatch_id 0
		.amdhsa_user_sgpr_flat_scratch_init 0
		.amdhsa_user_sgpr_kernarg_preload_length 0
		.amdhsa_user_sgpr_kernarg_preload_offset 0
		.amdhsa_user_sgpr_private_segment_size 0
		.amdhsa_uses_dynamic_stack 0
		.amdhsa_system_sgpr_private_segment_wavefront_offset 0
		.amdhsa_system_sgpr_workgroup_id_x 1
		.amdhsa_system_sgpr_workgroup_id_y 0
		.amdhsa_system_sgpr_workgroup_id_z 0
		.amdhsa_system_sgpr_workgroup_info 0
		.amdhsa_system_vgpr_workitem_id 0
		.amdhsa_next_free_vgpr 49
		.amdhsa_next_free_sgpr 59
		.amdhsa_accum_offset 52
		.amdhsa_reserve_vcc 1
		.amdhsa_reserve_flat_scratch 0
		.amdhsa_float_round_mode_32 0
		.amdhsa_float_round_mode_16_64 0
		.amdhsa_float_denorm_mode_32 3
		.amdhsa_float_denorm_mode_16_64 3
		.amdhsa_dx10_clamp 1
		.amdhsa_ieee_mode 1
		.amdhsa_fp16_overflow 0
		.amdhsa_tg_split 0
		.amdhsa_exception_fp_ieee_invalid_op 0
		.amdhsa_exception_fp_denorm_src 0
		.amdhsa_exception_fp_ieee_div_zero 0
		.amdhsa_exception_fp_ieee_overflow 0
		.amdhsa_exception_fp_ieee_underflow 0
		.amdhsa_exception_fp_ieee_inexact 0
		.amdhsa_exception_int_div_zero 0
	.end_amdhsa_kernel
	.section	.text._ZN9rocsparseL23bsric0_binsearch_kernelILj64ELj64ELb0E21rocsparse_complex_numIfEEEv20rocsparse_direction_iiPKiS5_PT2_S5_PiS5_S8_21rocsparse_index_base_,"axG",@progbits,_ZN9rocsparseL23bsric0_binsearch_kernelILj64ELj64ELb0E21rocsparse_complex_numIfEEEv20rocsparse_direction_iiPKiS5_PT2_S5_PiS5_S8_21rocsparse_index_base_,comdat
.Lfunc_end50:
	.size	_ZN9rocsparseL23bsric0_binsearch_kernelILj64ELj64ELb0E21rocsparse_complex_numIfEEEv20rocsparse_direction_iiPKiS5_PT2_S5_PiS5_S8_21rocsparse_index_base_, .Lfunc_end50-_ZN9rocsparseL23bsric0_binsearch_kernelILj64ELj64ELb0E21rocsparse_complex_numIfEEEv20rocsparse_direction_iiPKiS5_PT2_S5_PiS5_S8_21rocsparse_index_base_
                                        ; -- End function
	.section	.AMDGPU.csdata,"",@progbits
; Kernel info:
; codeLenInByte = 3296
; NumSgprs: 63
; NumVgprs: 49
; NumAgprs: 0
; TotalNumVgprs: 49
; ScratchSize: 0
; MemoryBound: 0
; FloatMode: 240
; IeeeMode: 1
; LDSByteSize: 0 bytes/workgroup (compile time only)
; SGPRBlocks: 7
; VGPRBlocks: 6
; NumSGPRsForWavesPerEU: 63
; NumVGPRsForWavesPerEU: 49
; AccumOffset: 52
; Occupancy: 8
; WaveLimiterHint : 1
; COMPUTE_PGM_RSRC2:SCRATCH_EN: 0
; COMPUTE_PGM_RSRC2:USER_SGPR: 6
; COMPUTE_PGM_RSRC2:TRAP_HANDLER: 0
; COMPUTE_PGM_RSRC2:TGID_X_EN: 1
; COMPUTE_PGM_RSRC2:TGID_Y_EN: 0
; COMPUTE_PGM_RSRC2:TGID_Z_EN: 0
; COMPUTE_PGM_RSRC2:TIDIG_COMP_CNT: 0
; COMPUTE_PGM_RSRC3_GFX90A:ACCUM_OFFSET: 12
; COMPUTE_PGM_RSRC3_GFX90A:TG_SPLIT: 0
	.section	.text._ZN9rocsparseL17bsric0_2_8_kernelILi64ELi64ELi8E21rocsparse_complex_numIfEEEv20rocsparse_direction_iiPKiS5_PT2_S5_PiS5_S8_21rocsparse_index_base_,"axG",@progbits,_ZN9rocsparseL17bsric0_2_8_kernelILi64ELi64ELi8E21rocsparse_complex_numIfEEEv20rocsparse_direction_iiPKiS5_PT2_S5_PiS5_S8_21rocsparse_index_base_,comdat
	.globl	_ZN9rocsparseL17bsric0_2_8_kernelILi64ELi64ELi8E21rocsparse_complex_numIfEEEv20rocsparse_direction_iiPKiS5_PT2_S5_PiS5_S8_21rocsparse_index_base_ ; -- Begin function _ZN9rocsparseL17bsric0_2_8_kernelILi64ELi64ELi8E21rocsparse_complex_numIfEEEv20rocsparse_direction_iiPKiS5_PT2_S5_PiS5_S8_21rocsparse_index_base_
	.p2align	8
	.type	_ZN9rocsparseL17bsric0_2_8_kernelILi64ELi64ELi8E21rocsparse_complex_numIfEEEv20rocsparse_direction_iiPKiS5_PT2_S5_PiS5_S8_21rocsparse_index_base_,@function
_ZN9rocsparseL17bsric0_2_8_kernelILi64ELi64ELi8E21rocsparse_complex_numIfEEEv20rocsparse_direction_iiPKiS5_PT2_S5_PiS5_S8_21rocsparse_index_base_: ; @_ZN9rocsparseL17bsric0_2_8_kernelILi64ELi64ELi8E21rocsparse_complex_numIfEEEv20rocsparse_direction_iiPKiS5_PT2_S5_PiS5_S8_21rocsparse_index_base_
; %bb.0:
	s_load_dwordx8 s[12:19], s[4:5], 0x28
	s_mov_b32 s7, 0
	s_lshl_b64 s[0:1], s[6:7], 2
	v_and_b32_e32 v15, 0x3ff, v0
	v_bfe_u32 v16, v0, 10, 10
	s_waitcnt lgkmcnt(0)
	s_add_u32 s0, s16, s0
	s_addc_u32 s1, s17, s1
	s_load_dword s16, s[0:1], 0x0
	s_waitcnt lgkmcnt(0)
	s_ashr_i32 s17, s16, 31
	s_lshl_b64 s[10:11], s[16:17], 2
	s_add_u32 s0, s12, s10
	s_addc_u32 s1, s13, s11
	s_load_dword s33, s[0:1], 0x0
	s_load_dword s17, s[4:5], 0x48
	s_waitcnt lgkmcnt(0)
	s_cmp_lg_u32 s33, -1
	s_cbranch_scc0 .LBB51_92
; %bb.1:
	s_load_dwordx4 s[20:23], s[4:5], 0x10
	s_load_dwordx2 s[24:25], s[4:5], 0x20
	v_lshlrev_b32_e32 v17, 3, v16
	v_add_u32_e32 v1, v17, v15
	s_waitcnt lgkmcnt(0)
	s_add_u32 s0, s20, s10
	s_addc_u32 s1, s21, s11
	s_load_dword s26, s[0:1], 0x0
	s_waitcnt lgkmcnt(0)
	s_sub_i32 s42, s26, s17
	v_add_u32_e32 v0, s42, v1
	v_cmp_ge_i32_e32 vcc, s33, v0
	s_and_saveexec_b64 s[0:1], vcc
	s_cbranch_execz .LBB51_14
; %bb.2:
	v_add_u32_e32 v1, s26, v1
	v_subrev_u32_e32 v1, s17, v1
	v_add_u32_e32 v1, 64, v1
	s_add_i32 s2, s33, 1
	v_max_i32_e32 v1, s2, v1
	v_not_b32_e32 v2, v15
	v_add3_u32 v1, v1, s17, v2
	v_add_u32_e32 v2, s26, v17
	v_sub_u32_e32 v1, v1, v2
	v_cmp_lt_u32_e32 vcc, 63, v1
	s_mov_b64 s[6:7], -1
	s_and_saveexec_b64 s[2:3], vcc
	s_cbranch_execz .LBB51_11
; %bb.3:
	v_lshrrev_b32_e32 v12, 6, v1
	v_add_u32_e32 v2, -1, v12
	v_add_u32_e32 v1, 64, v0
	v_lshrrev_b32_e32 v3, 1, v2
	v_add_u32_e32 v13, 1, v3
	v_cmp_lt_u32_e32 vcc, 13, v2
	v_pk_mov_b32 v[2:3], v[0:1], v[0:1] op_sel:[0,1]
	s_and_saveexec_b64 s[6:7], vcc
	s_cbranch_execz .LBB51_7
; %bb.4:
	v_and_b32_e32 v14, -8, v13
	s_mov_b64 s[8:9], 0
	v_mov_b32_e32 v18, s23
	v_pk_mov_b32 v[2:3], v[0:1], v[0:1] op_sel:[0,1]
.LBB51_5:                               ; =>This Inner Loop Header: Depth=1
	v_ashrrev_i32_e32 v23, 31, v2
	v_mov_b32_e32 v22, v2
	v_lshlrev_b64 v[22:23], 2, v[22:23]
	v_ashrrev_i32_e32 v21, 31, v3
	v_mov_b32_e32 v20, v3
	v_add_co_u32_e32 v22, vcc, s22, v22
	v_add_u32_e32 v4, 0x80, v2
	v_lshlrev_b64 v[20:21], 2, v[20:21]
	v_addc_co_u32_e32 v23, vcc, v18, v23, vcc
	v_ashrrev_i32_e32 v5, 31, v4
	v_add_co_u32_e32 v20, vcc, s22, v20
	v_add_u32_e32 v6, 0x80, v3
	v_addc_co_u32_e32 v21, vcc, v18, v21, vcc
	v_lshlrev_b64 v[44:45], 2, v[4:5]
	v_ashrrev_i32_e32 v7, 31, v6
	global_load_dword v1, v[22:23], off
	global_load_dword v5, v[20:21], off
	v_add_co_u32_e32 v20, vcc, s22, v44
	v_add_u32_e32 v8, 0x100, v2
	v_lshlrev_b64 v[46:47], 2, v[6:7]
	v_addc_co_u32_e32 v21, vcc, v18, v45, vcc
	v_ashrrev_i32_e32 v9, 31, v8
	v_add_co_u32_e32 v22, vcc, s22, v46
	v_add_u32_e32 v10, 0x100, v3
	v_lshlrev_b64 v[48:49], 2, v[8:9]
	v_addc_co_u32_e32 v23, vcc, v18, v47, vcc
	v_ashrrev_i32_e32 v11, 31, v10
	;; [unrolled: 5-line block ×12, first 2 shown]
	v_add_co_u32_e32 v64, vcc, s22, v68
	v_lshlrev_b64 v[70:71], 2, v[42:43]
	v_addc_co_u32_e32 v65, vcc, v18, v69, vcc
	v_add_co_u32_e32 v66, vcc, s22, v70
	v_addc_co_u32_e32 v67, vcc, v18, v71, vcc
	global_load_dword v7, v[22:23], off
	global_load_dword v9, v[20:21], off
	;; [unrolled: 1-line block ×14, first 2 shown]
	v_subrev_u32_e32 v21, s42, v2
	v_add_u32_e32 v14, -8, v14
	v_subrev_u32_e32 v20, s42, v3
	v_lshlrev_b32_e32 v21, 2, v21
	v_subrev_u32_e32 v4, s42, v4
	v_cmp_eq_u32_e32 vcc, 0, v14
	s_waitcnt vmcnt(14)
	v_subrev_u32_e32 v5, s17, v5
	v_subrev_u32_e32 v1, s17, v1
	v_add_u32_e32 v3, 0x400, v3
	v_add_u32_e32 v2, 0x400, v2
	v_lshlrev_b32_e32 v20, 2, v20
	v_subrev_u32_e32 v6, s42, v6
	v_subrev_u32_e32 v10, s42, v10
	v_subrev_u32_e32 v8, s42, v8
	v_subrev_u32_e32 v22, s42, v26
	v_subrev_u32_e32 v23, s42, v24
	v_subrev_u32_e32 v24, s42, v30
	v_subrev_u32_e32 v26, s42, v28
	v_subrev_u32_e32 v28, s42, v34
	v_subrev_u32_e32 v30, s42, v32
	v_subrev_u32_e32 v32, s42, v38
	v_subrev_u32_e32 v34, s42, v36
	v_subrev_u32_e32 v36, s42, v42
	v_subrev_u32_e32 v38, s42, v40
	v_lshlrev_b32_e32 v4, 2, v4
	s_or_b64 s[8:9], vcc, s[8:9]
	ds_write_b32 v21, v1 offset:2816
	ds_write_b32 v20, v5 offset:2816
	v_lshlrev_b32_e32 v6, 2, v6
	v_lshlrev_b32_e32 v8, 2, v8
	;; [unrolled: 1-line block ×13, first 2 shown]
	s_waitcnt vmcnt(13)
	v_subrev_u32_e32 v1, s17, v7
	s_waitcnt vmcnt(12)
	v_subrev_u32_e32 v5, s17, v9
	;; [unrolled: 2-line block ×14, first 2 shown]
	ds_write_b32 v4, v5 offset:2816
	ds_write_b32 v6, v1 offset:2816
	;; [unrolled: 1-line block ×14, first 2 shown]
	s_andn2_b64 exec, exec, s[8:9]
	s_cbranch_execnz .LBB51_5
; %bb.6:
	s_or_b64 exec, exec, s[8:9]
.LBB51_7:
	s_or_b64 exec, exec, s[6:7]
	v_and_b32_e32 v1, 7, v13
	v_cmp_ne_u32_e32 vcc, 0, v1
	s_and_saveexec_b64 s[6:7], vcc
	s_cbranch_execz .LBB51_10
; %bb.8:
	s_mov_b64 s[8:9], 0
	v_mov_b32_e32 v4, s23
.LBB51_9:                               ; =>This Inner Loop Header: Depth=1
	v_ashrrev_i32_e32 v9, 31, v2
	v_mov_b32_e32 v8, v2
	v_lshlrev_b64 v[8:9], 2, v[8:9]
	v_ashrrev_i32_e32 v7, 31, v3
	v_mov_b32_e32 v6, v3
	v_add_co_u32_e32 v8, vcc, s22, v8
	v_lshlrev_b64 v[6:7], 2, v[6:7]
	v_addc_co_u32_e32 v9, vcc, v4, v9, vcc
	v_add_co_u32_e32 v6, vcc, s22, v6
	v_addc_co_u32_e32 v7, vcc, v4, v7, vcc
	global_load_dword v5, v[6:7], off
	global_load_dword v10, v[8:9], off
	v_add_u32_e32 v1, -1, v1
	v_subrev_u32_e32 v7, s42, v2
	v_cmp_eq_u32_e32 vcc, 0, v1
	v_subrev_u32_e32 v6, s42, v3
	v_add_u32_e32 v3, 0x80, v3
	v_add_u32_e32 v2, 0x80, v2
	v_lshlrev_b32_e32 v7, 2, v7
	s_or_b64 s[8:9], vcc, s[8:9]
	v_lshlrev_b32_e32 v6, 2, v6
	s_waitcnt vmcnt(1)
	v_subrev_u32_e32 v5, s17, v5
	s_waitcnt vmcnt(0)
	v_subrev_u32_e32 v8, s17, v10
	ds_write_b32 v7, v8 offset:2816
	ds_write_b32 v6, v5 offset:2816
	s_andn2_b64 exec, exec, s[8:9]
	s_cbranch_execnz .LBB51_9
.LBB51_10:
	s_or_b64 exec, exec, s[6:7]
	v_add_u32_e32 v1, 1, v12
	v_and_b32_e32 v2, 0x7fffffe, v1
	v_cmp_ne_u32_e32 vcc, v1, v2
	v_lshl_add_u32 v0, v2, 6, v0
	s_orn2_b64 s[6:7], vcc, exec
.LBB51_11:
	s_or_b64 exec, exec, s[2:3]
	s_and_b64 exec, exec, s[6:7]
	s_cbranch_execz .LBB51_14
; %bb.12:
	v_add_u32_e32 v1, s17, v0
	v_subrev_u32_e32 v1, s26, v1
	v_mov_b32_e32 v2, 0xb00
	v_lshl_add_u32 v4, v1, 2, v2
	v_ashrrev_i32_e32 v1, 31, v0
	v_lshlrev_b64 v[2:3], 2, v[0:1]
	v_mov_b32_e32 v1, s23
	v_add_co_u32_e32 v2, vcc, s22, v2
	v_addc_co_u32_e32 v3, vcc, v1, v3, vcc
	s_mov_b64 s[2:3], 0
.LBB51_13:                              ; =>This Inner Loop Header: Depth=1
	global_load_dword v1, v[2:3], off
	v_add_co_u32_e32 v2, vcc, 0x100, v2
	v_add_u32_e32 v0, 64, v0
	v_addc_co_u32_e32 v3, vcc, 0, v3, vcc
	v_cmp_lt_i32_e32 vcc, s33, v0
	s_or_b64 s[2:3], vcc, s[2:3]
	s_waitcnt vmcnt(0)
	v_subrev_u32_e32 v1, s17, v1
	ds_write_b32 v4, v1
	v_add_u32_e32 v4, 0x100, v4
	s_andn2_b64 exec, exec, s[2:3]
	s_cbranch_execnz .LBB51_13
.LBB51_14:
	s_or_b64 exec, exec, s[0:1]
	s_load_dword s44, s[4:5], 0x0
	s_load_dword s43, s[4:5], 0x8
	v_lshlrev_b32_e32 v18, 3, v15
	s_movk_i32 s45, 0x48
	v_mad_u32_u24 v19, v16, s45, v18
	v_mov_b32_e32 v0, 0
	v_add_u32_e32 v3, 0x6c0, v19
	s_mov_b32 s26, 0
	v_mov_b32_e32 v1, v0
	s_cmp_ge_i32 s42, s33
	ds_write_b64 v19, v[0:1] offset:1728
	s_waitcnt lgkmcnt(0)
	s_cbranch_scc1 .LBB51_68
; %bb.15:
	s_cmp_eq_u32 s44, 0
	s_cselect_b64 vcc, -1, 0
	s_cmp_lg_u32 s44, 0
	v_cmp_gt_i32_e64 s[0:1], s43, v15
	v_cmp_gt_i32_e64 s[2:3], s43, v16
	s_cselect_b64 s[28:29], -1, 0
	s_and_b64 s[30:31], s[0:1], s[2:3]
	s_cmp_gt_i32 s43, 0
	v_mov_b32_e32 v1, 0x480
	s_cselect_b64 s[6:7], -1, 0
	v_mad_u32_u24 v1, v16, s45, v1
	v_or_b32_e32 v2, v15, v16
	v_cndmask_b32_e64 v4, 0, 1, s[6:7]
	v_add_u32_e32 v20, v1, v18
	s_mul_i32 s46, s43, s43
	v_mul_lo_u32 v21, v15, s43
	v_mul_lo_u32 v22, v16, s43
	v_add_u32_e32 v23, 0x240, v19
	v_cmp_ne_u32_e64 s[4:5], 0, v2
	v_cndmask_b32_e32 v2, v16, v15, vcc
	v_cndmask_b32_e32 v24, v15, v16, vcc
	v_mov_b32_e32 v25, 0
	v_cmp_ne_u32_e64 s[6:7], 1, v4
	s_mov_b32 s34, s42
	s_branch .LBB51_18
.LBB51_16:                              ;   in Loop: Header=BB51_18 Depth=1
	s_or_b64 exec, exec, s[8:9]
	s_add_i32 s34, s34, 1
	s_cmp_ge_i32 s34, s33
	s_cselect_b64 s[38:39], -1, 0
	s_waitcnt vmcnt(0)
	buffer_wbinvl1_vol
.LBB51_17:                              ;   in Loop: Header=BB51_18 Depth=1
	s_and_b64 vcc, exec, s[38:39]
	s_cbranch_vccnz .LBB51_68
.LBB51_18:                              ; =>This Loop Header: Depth=1
                                        ;     Child Loop BB51_23 Depth 2
                                        ;     Child Loop BB51_34 Depth 2
	;; [unrolled: 1-line block ×3, first 2 shown]
                                        ;       Child Loop BB51_65 Depth 3
	s_ashr_i32 s35, s34, 31
	s_lshl_b64 s[8:9], s[34:35], 2
	s_add_u32 s8, s22, s8
	s_addc_u32 s9, s23, s9
	s_load_dword s35, s[8:9], 0x0
	s_waitcnt lgkmcnt(0)
	s_sub_i32 s36, s35, s17
	s_ashr_i32 s37, s36, 31
	s_lshl_b64 s[8:9], s[36:37], 2
	s_add_u32 s38, s12, s8
	s_addc_u32 s39, s13, s9
	s_load_dword s27, s[38:39], 0x0
	s_mov_b64 s[38:39], -1
	s_waitcnt lgkmcnt(0)
	s_cmp_eq_u32 s27, -1
	s_cbranch_scc1 .LBB51_17
; %bb.19:                               ;   in Loop: Header=BB51_18 Depth=1
	s_add_u32 s38, s20, s8
	v_mov_b32_e32 v4, 0
	s_mul_i32 s40, s34, s43
	s_addc_u32 s39, s21, s9
	s_mov_b32 s37, 0
	v_add_u32_e32 v26, s40, v24
	v_mov_b32_e32 v5, v4
	s_and_saveexec_b64 s[40:41], s[30:31]
	s_cbranch_execz .LBB51_21
; %bb.20:                               ;   in Loop: Header=BB51_18 Depth=1
	v_mad_u64_u32 v[4:5], s[48:49], v26, s43, v[2:3]
	v_ashrrev_i32_e32 v5, 31, v4
	v_lshlrev_b64 v[4:5], 3, v[4:5]
	v_mov_b32_e32 v6, s25
	v_add_co_u32_e32 v4, vcc, s24, v4
	v_addc_co_u32_e32 v5, vcc, v6, v5, vcc
	global_load_dwordx2 v[4:5], v[4:5], off
.LBB51_21:                              ;   in Loop: Header=BB51_18 Depth=1
	s_or_b64 exec, exec, s[40:41]
	s_load_dword s38, s[38:39], 0x0
	ds_read_b32 v6, v25 offset:2816
	s_waitcnt vmcnt(0)
	ds_write_b64 v20, v[4:5]
	s_waitcnt lgkmcnt(0)
	s_sub_i32 s38, s38, s17
	s_cmp_le_i32 s38, s27
	v_cmp_ge_i32_e32 vcc, s36, v6
	s_cselect_b64 s[40:41], -1, 0
	s_and_b64 s[40:41], s[40:41], vcc
	s_andn2_b64 vcc, exec, s[40:41]
	s_cbranch_vccnz .LBB51_33
; %bb.22:                               ;   in Loop: Header=BB51_18 Depth=1
	s_mov_b32 s47, 0
	s_mov_b32 s48, 0
.LBB51_23:                              ;   Parent Loop BB51_18 Depth=1
                                        ; =>  This Inner Loop Header: Depth=2
	s_ashr_i32 s39, s38, 31
	s_lshl_b64 s[40:41], s[38:39], 2
	s_add_u32 s40, s22, s40
	s_addc_u32 s41, s23, s41
	s_lshl_b32 s39, s48, 2
	s_load_dword s37, s[40:41], 0x0
	v_mov_b32_e32 v4, s39
	ds_read_b32 v4, v4 offset:2816
	s_mov_b64 s[40:41], -1
                                        ; implicit-def: $sgpr50
                                        ; implicit-def: $sgpr49
	s_waitcnt lgkmcnt(0)
	s_sub_i32 s51, s37, s17
                                        ; implicit-def: $sgpr37
	v_cmp_ge_i32_e32 vcc, s51, v4
	v_readfirstlane_b32 s39, v4
	s_cbranch_vccz .LBB51_29
; %bb.24:                               ;   in Loop: Header=BB51_23 Depth=2
	s_cmp_le_i32 s51, s39
                                        ; implicit-def: $sgpr37
                                        ; implicit-def: $sgpr50
                                        ; implicit-def: $sgpr49
	s_cbranch_scc0 .LBB51_26
; %bb.25:                               ;   in Loop: Header=BB51_23 Depth=2
	s_add_i32 s37, s48, s42
	s_mul_i32 s37, s37, s46
	s_lshl_b32 s40, s47, 2
	v_mov_b32_e32 v5, s37
	s_mul_i32 s37, s38, s46
	v_mov_b32_e32 v4, s40
	v_mov_b32_e32 v6, s37
	ds_write2st64_b32 v4, v6, v5 offset0:9 offset1:10
	s_add_i32 s49, s48, 1
	s_add_i32 s50, s38, 1
	;; [unrolled: 1-line block ×3, first 2 shown]
	s_mov_b64 s[40:41], 0
.LBB51_26:                              ;   in Loop: Header=BB51_23 Depth=2
	s_andn2_b64 vcc, exec, s[40:41]
	s_cbranch_vccnz .LBB51_28
; %bb.27:                               ;   in Loop: Header=BB51_23 Depth=2
	s_add_i32 s49, s48, 1
	s_mov_b32 s37, s47
	s_mov_b32 s50, s38
.LBB51_28:                              ;   in Loop: Header=BB51_23 Depth=2
	s_mov_b64 s[40:41], 0
.LBB51_29:                              ;   in Loop: Header=BB51_23 Depth=2
	s_andn2_b64 vcc, exec, s[40:41]
	s_cbranch_vccnz .LBB51_31
; %bb.30:                               ;   in Loop: Header=BB51_23 Depth=2
	s_add_i32 s50, s38, 1
	s_mov_b32 s49, s48
	s_mov_b32 s37, s47
.LBB51_31:                              ;   in Loop: Header=BB51_23 Depth=2
	s_cmp_le_i32 s50, s27
	s_cselect_b64 s[40:41], -1, 0
	s_cmp_le_i32 s39, s36
	s_cselect_b64 s[38:39], -1, 0
	s_and_b64 s[38:39], s[40:41], s[38:39]
	s_and_b64 vcc, exec, s[38:39]
	s_cbranch_vccz .LBB51_33
; %bb.32:                               ;   in Loop: Header=BB51_23 Depth=2
	s_mov_b32 s47, s37
	s_mov_b32 s38, s50
	;; [unrolled: 1-line block ×3, first 2 shown]
	s_branch .LBB51_23
.LBB51_33:                              ;   in Loop: Header=BB51_18 Depth=1
	s_add_u32 s8, s14, s8
	s_addc_u32 s9, s15, s9
	s_waitcnt lgkmcnt(0)
.LBB51_34:                              ;   Parent Loop BB51_18 Depth=1
                                        ; =>  This Inner Loop Header: Depth=2
	global_load_dword v4, v25, s[8:9] glc
	s_waitcnt vmcnt(0)
	v_cmp_eq_u32_e32 vcc, 0, v4
	s_cbranch_vccnz .LBB51_34
; %bb.35:                               ;   in Loop: Header=BB51_18 Depth=1
	v_mov_b32_e32 v4, 0
	v_mov_b32_e32 v5, v4
	buffer_wbinvl1_vol
	s_and_saveexec_b64 s[8:9], s[30:31]
	s_cbranch_execz .LBB51_37
; %bb.36:                               ;   in Loop: Header=BB51_18 Depth=1
	s_mul_i32 s27, s27, s43
	v_add_u32_e32 v4, s27, v24
	v_mad_u64_u32 v[4:5], s[38:39], v4, s43, v[2:3]
	v_ashrrev_i32_e32 v5, 31, v4
	v_lshlrev_b64 v[4:5], 3, v[4:5]
	v_mov_b32_e32 v6, s25
	v_add_co_u32_e32 v4, vcc, s24, v4
	v_addc_co_u32_e32 v5, vcc, v6, v5, vcc
	global_load_dwordx2 v[4:5], v[4:5], off
.LBB51_37:                              ;   in Loop: Header=BB51_18 Depth=1
	s_or_b64 exec, exec, s[8:9]
	s_mov_b32 s27, s26
	s_cmp_lt_i32 s37, 2
	v_pk_mov_b32 v[10:11], s[26:27], s[26:27] op_sel:[0,1]
	s_waitcnt vmcnt(0)
	ds_write_b64 v19, v[4:5]
	s_waitcnt lgkmcnt(0)
	s_cbranch_scc1 .LBB51_56
; %bb.38:                               ;   in Loop: Header=BB51_18 Depth=1
	s_add_i32 s36, s37, -2
	s_mov_b32 s37, 0
	v_pk_mov_b32 v[6:7], s[26:27], s[26:27] op_sel:[0,1]
	s_and_b64 vcc, exec, s[6:7]
	s_cbranch_vccnz .LBB51_53
.LBB51_39:                              ;   in Loop: Header=BB51_18 Depth=1
	s_lshl_b32 s8, s37, 2
	v_mov_b32_e32 v4, s8
	ds_read2st64_b32 v[8:9], v4 offset0:9 offset1:10
	s_mov_b32 s27, 0
	s_waitcnt lgkmcnt(0)
	v_add_u32_e32 v27, v8, v21
	v_add_u32_e32 v28, v9, v22
	;; [unrolled: 1-line block ×4, first 2 shown]
	s_and_b64 vcc, exec, s[28:29]
	s_cbranch_vccz .LBB51_45
.LBB51_40:                              ;   in Loop: Header=BB51_18 Depth=1
	v_mov_b32_e32 v12, 0
	v_mov_b32_e32 v10, 0
	v_mov_b32_e32 v11, 0
	s_and_saveexec_b64 s[8:9], s[0:1]
	s_cbranch_execz .LBB51_42
; %bb.41:                               ;   in Loop: Header=BB51_18 Depth=1
	v_ashrrev_i32_e32 v9, 31, v8
	v_lshlrev_b64 v[10:11], 3, v[8:9]
	v_mov_b32_e32 v5, s25
	v_add_co_u32_e32 v10, vcc, s24, v10
	v_addc_co_u32_e32 v11, vcc, v5, v11, vcc
	global_load_dwordx2 v[10:11], v[10:11], off
.LBB51_42:                              ;   in Loop: Header=BB51_18 Depth=1
	s_or_b64 exec, exec, s[8:9]
	v_mov_b32_e32 v14, 0
	s_and_saveexec_b64 s[8:9], s[2:3]
	s_cbranch_execz .LBB51_44
; %bb.43:                               ;   in Loop: Header=BB51_18 Depth=1
	v_ashrrev_i32_e32 v5, 31, v4
	v_lshlrev_b64 v[12:13], 3, v[4:5]
	v_mov_b32_e32 v5, s25
	v_add_co_u32_e32 v12, vcc, s24, v12
	v_addc_co_u32_e32 v13, vcc, v5, v13, vcc
	global_load_dwordx2 v[12:13], v[12:13], off
	s_waitcnt vmcnt(0)
	v_mov_b32_e32 v14, v13
.LBB51_44:                              ;   in Loop: Header=BB51_18 Depth=1
	s_or_b64 exec, exec, s[8:9]
	s_waitcnt vmcnt(0)
	v_mov_b32_e32 v30, v11
	v_mov_b32_e32 v31, v10
	v_pk_fma_f32 v[12:13], v[30:31], v[12:13], v[6:7] op_sel_hi:[1,0,1]
	v_pk_fma_f32 v[10:11], v[10:11], v[14:15], v[12:13] op_sel_hi:[1,0,1] neg_lo:[0,1,0]
	s_branch .LBB51_51
.LBB51_45:                              ;   in Loop: Header=BB51_18 Depth=1
                                        ; implicit-def: $vgpr10_vgpr11
	s_cbranch_execz .LBB51_51
; %bb.46:                               ;   in Loop: Header=BB51_18 Depth=1
	v_mov_b32_e32 v12, 0
	v_mov_b32_e32 v10, 0
	;; [unrolled: 1-line block ×3, first 2 shown]
	s_and_saveexec_b64 s[8:9], s[0:1]
	s_cbranch_execz .LBB51_48
; %bb.47:                               ;   in Loop: Header=BB51_18 Depth=1
	v_add_u32_e32 v10, s27, v27
	v_ashrrev_i32_e32 v11, 31, v10
	v_lshlrev_b64 v[10:11], 3, v[10:11]
	v_mov_b32_e32 v5, s25
	v_add_co_u32_e32 v10, vcc, s24, v10
	v_addc_co_u32_e32 v11, vcc, v5, v11, vcc
	global_load_dwordx2 v[10:11], v[10:11], off
.LBB51_48:                              ;   in Loop: Header=BB51_18 Depth=1
	s_or_b64 exec, exec, s[8:9]
	v_mov_b32_e32 v14, 0
	s_and_saveexec_b64 s[8:9], s[2:3]
	s_cbranch_execz .LBB51_50
; %bb.49:                               ;   in Loop: Header=BB51_18 Depth=1
	v_add_u32_e32 v12, s27, v28
	v_ashrrev_i32_e32 v13, 31, v12
	v_lshlrev_b64 v[12:13], 3, v[12:13]
	v_mov_b32_e32 v5, s25
	v_add_co_u32_e32 v12, vcc, s24, v12
	v_addc_co_u32_e32 v13, vcc, v5, v13, vcc
	global_load_dwordx2 v[12:13], v[12:13], off
	s_waitcnt vmcnt(0)
	v_mov_b32_e32 v14, v13
.LBB51_50:                              ;   in Loop: Header=BB51_18 Depth=1
	s_or_b64 exec, exec, s[8:9]
	s_waitcnt vmcnt(0)
	v_mov_b32_e32 v30, v11
	v_mov_b32_e32 v31, v10
	v_pk_fma_f32 v[6:7], v[30:31], v[12:13], v[6:7] op_sel_hi:[1,0,1]
	v_pk_fma_f32 v[10:11], v[10:11], v[14:15], v[6:7] op_sel_hi:[1,0,1] neg_lo:[0,1,0]
.LBB51_51:                              ;   in Loop: Header=BB51_18 Depth=1
	s_add_i32 s27, s27, 1
	v_add_u32_e32 v4, s43, v4
	s_cmp_eq_u32 s43, s27
	v_add_u32_e32 v8, s43, v8
	s_cbranch_scc1 .LBB51_54
; %bb.52:                               ;   in Loop: Header=BB51_18 Depth=1
	v_pk_mov_b32 v[6:7], v[10:11], v[10:11] op_sel:[0,1]
	s_and_b64 vcc, exec, s[28:29]
	s_cbranch_vccz .LBB51_45
	s_branch .LBB51_40
.LBB51_53:                              ;   in Loop: Header=BB51_18 Depth=1
	v_pk_mov_b32 v[10:11], v[6:7], v[6:7] op_sel:[0,1]
.LBB51_54:                              ;   in Loop: Header=BB51_18 Depth=1
	s_add_i32 s8, s37, 1
	s_cmp_eq_u32 s37, s36
	s_cbranch_scc1 .LBB51_56
; %bb.55:                               ;   in Loop: Header=BB51_18 Depth=1
	s_mov_b32 s37, s8
	v_pk_mov_b32 v[6:7], v[10:11], v[10:11] op_sel:[0,1]
	s_and_b64 vcc, exec, s[6:7]
	s_cbranch_vccz .LBB51_39
	s_branch .LBB51_53
.LBB51_56:                              ;   in Loop: Header=BB51_18 Depth=1
	v_mov_b32_e32 v4, v11
	v_mov_b32_e32 v5, v10
	s_and_b64 vcc, exec, s[6:7]
	ds_write_b64 v23, v[4:5]
	s_waitcnt lgkmcnt(0)
	s_cbranch_vccnz .LBB51_66
; %bb.57:                               ;   in Loop: Header=BB51_18 Depth=1
	s_mov_b32 s27, 0
	s_mov_b32 s38, 0
	s_branch .LBB51_59
.LBB51_58:                              ;   in Loop: Header=BB51_59 Depth=2
	v_mul_f32_e32 v9, v6, v6
	v_fmac_f32_e32 v9, v8, v8
	v_div_scale_f32 v12, s[8:9], v9, v9, 1.0
	v_rcp_f32_e32 v13, v12
	v_div_scale_f32 v14, vcc, 1.0, v9, 1.0
	v_mov_b32_e32 v29, v4
	v_fma_f32 v27, -v12, v13, 1.0
	v_fmac_f32_e32 v13, v27, v13
	v_mul_f32_e32 v27, v14, v13
	v_fma_f32 v28, -v12, v27, v14
	v_fmac_f32_e32 v27, v28, v13
	v_fma_f32 v12, -v12, v27, v14
	v_mov_b32_e32 v28, v5
	v_add_u32_e32 v7, 0x480, v7
	v_div_fmas_f32 v12, v12, v13, v27
	v_pk_add_f32 v[4:5], v[28:29], v[10:11] neg_lo:[0,1] neg_hi:[0,1]
	v_div_fixup_f32 v12, v12, v9, 1.0
	v_mul_u32_u24_e32 v9, 0x48, v15
	v_pk_mul_f32 v[10:11], v[6:7], v[4:5] op_sel:[0,1] op_sel_hi:[0,0] neg_lo:[0,1]
	v_lshl_add_u32 v13, s38, 3, v9
	v_pk_fma_f32 v[4:5], v[4:5], v[8:9], v[10:11] op_sel_hi:[1,0,1]
	v_pk_mul_f32 v[4:5], v[12:13], v[4:5] op_sel_hi:[0,1]
	v_mov_b32_e32 v8, v5
	v_mov_b32_e32 v9, v4
	ds_write_b64 v7, v[8:9]
	s_waitcnt lgkmcnt(0)
	ds_read_b64 v[6:7], v13 offset:1152
	ds_read_b64 v[8:9], v3
	s_add_i32 s38, s38, 1
	s_addk_i32 s27, 0x48
	s_cmp_eq_u32 s38, s43
	s_waitcnt lgkmcnt(0)
	v_pk_fma_f32 v[8:9], v[4:5], v[6:7], v[8:9] op_sel:[1,0,0] op_sel_hi:[0,0,1]
	v_pk_fma_f32 v[4:5], v[4:5], v[6:7], v[8:9] op_sel:[0,1,0] neg_hi:[0,1,0]
	ds_write_b64 v3, v[4:5]
	s_waitcnt lgkmcnt(0)
	s_cbranch_scc1 .LBB51_66
.LBB51_59:                              ;   Parent Loop BB51_18 Depth=1
                                        ; =>  This Loop Header: Depth=2
                                        ;       Child Loop BB51_65 Depth 3
	s_lshl_b32 s8, s38, 3
	s_mul_i32 s9, s38, 0x48
	s_add_i32 s9, s8, s9
	v_mov_b32_e32 v4, s9
	ds_read_b64 v[8:9], v4
	v_mov_b32_e32 v4, s8
	v_mad_u32_u24 v7, v16, s45, v4
	ds_read_b64 v[4:5], v7 offset:1152
	s_waitcnt lgkmcnt(1)
	v_cmp_neq_f32_e32 vcc, 0, v8
	v_cmp_neq_f32_e64 s[8:9], 0, v9
	s_or_b64 vcc, vcc, s[8:9]
	s_or_b64 s[8:9], vcc, s[4:5]
	v_cndmask_b32_e32 v6, 0, v9, vcc
	s_xor_b64 s[36:37], s[8:9], -1
	v_cndmask_b32_e32 v8, 1.0, v8, vcc
	s_and_saveexec_b64 s[8:9], s[36:37]
	s_cbranch_execz .LBB51_63
; %bb.60:                               ;   in Loop: Header=BB51_59 Depth=2
	v_mbcnt_lo_u32_b32 v6, exec_lo, 0
	v_mbcnt_hi_u32_b32 v6, exec_hi, v6
	v_cmp_eq_u32_e32 vcc, 0, v6
	s_and_saveexec_b64 s[36:37], vcc
	s_cbranch_execz .LBB51_62
; %bb.61:                               ;   in Loop: Header=BB51_59 Depth=2
	v_mov_b32_e32 v6, s35
	global_atomic_smin v25, v6, s[18:19]
.LBB51_62:                              ;   in Loop: Header=BB51_59 Depth=2
	s_or_b64 exec, exec, s[36:37]
	v_mov_b32_e32 v6, 0
	v_mov_b32_e32 v8, 1.0
.LBB51_63:                              ;   in Loop: Header=BB51_59 Depth=2
	s_or_b64 exec, exec, s[8:9]
	v_mul_u32_u24_e32 v9, 0x48, v16
	v_lshl_add_u32 v9, s38, 3, v9
	ds_read_b64 v[12:13], v9 offset:576
	s_cmp_eq_u32 s38, 0
	s_waitcnt lgkmcnt(0)
	v_mov_b32_e32 v10, v13
	v_mov_b32_e32 v11, v12
	s_cbranch_scc1 .LBB51_58
; %bb.64:                               ;   in Loop: Header=BB51_59 Depth=2
	s_mov_b32 s8, 0
	v_mov_b32_e32 v9, v1
	s_mov_b32 s9, s27
.LBB51_65:                              ;   Parent Loop BB51_18 Depth=1
                                        ;     Parent Loop BB51_59 Depth=2
                                        ; =>    This Inner Loop Header: Depth=3
	v_mov_b32_e32 v14, s9
	ds_read_b64 v[12:13], v9
	ds_read_b64 v[28:29], v14
	s_add_i32 s8, s8, 1
	s_add_i32 s9, s9, 8
	v_add_u32_e32 v9, 8, v9
	s_cmp_ge_u32 s8, s38
	s_waitcnt lgkmcnt(0)
	v_pk_fma_f32 v[10:11], v[28:29], v[12:13], v[10:11] op_sel:[1,0,0] op_sel_hi:[0,0,1]
	v_pk_fma_f32 v[10:11], v[28:29], v[12:13], v[10:11] op_sel:[0,1,0] neg_lo:[0,1,0]
	s_cbranch_scc0 .LBB51_65
	s_branch .LBB51_58
.LBB51_66:                              ;   in Loop: Header=BB51_18 Depth=1
	s_and_saveexec_b64 s[8:9], s[30:31]
	s_cbranch_execz .LBB51_16
; %bb.67:                               ;   in Loop: Header=BB51_18 Depth=1
	ds_read_b64 v[4:5], v20
	v_mad_u64_u32 v[6:7], s[36:37], v26, s43, v[2:3]
	v_ashrrev_i32_e32 v7, 31, v6
	v_lshlrev_b64 v[6:7], 3, v[6:7]
	v_mov_b32_e32 v8, s25
	v_add_co_u32_e32 v6, vcc, s24, v6
	v_addc_co_u32_e32 v7, vcc, v8, v7, vcc
	s_waitcnt lgkmcnt(0)
	global_store_dwordx2 v[6:7], v[4:5], off
	s_branch .LBB51_16
.LBB51_68:
	s_cmp_eq_u32 s44, 0
	v_max_i32_e32 v1, v15, v16
	s_cselect_b64 vcc, -1, 0
	v_cmp_gt_i32_e64 s[0:1], s43, v1
	v_cndmask_b32_e32 v1, v15, v16, vcc
	s_mul_i32 s33, s33, s43
	v_cndmask_b32_e32 v2, v16, v15, vcc
	v_add_u32_e32 v5, s33, v1
	v_mov_b32_e32 v1, 0
	s_and_saveexec_b64 s[2:3], s[0:1]
	s_cbranch_execz .LBB51_70
; %bb.69:
	v_mad_u64_u32 v[0:1], s[4:5], v5, s43, v[2:3]
	v_ashrrev_i32_e32 v1, 31, v0
	v_lshlrev_b64 v[0:1], 3, v[0:1]
	v_mov_b32_e32 v4, s25
	v_add_co_u32_e32 v0, vcc, s24, v0
	v_addc_co_u32_e32 v1, vcc, v4, v1, vcc
	global_load_dwordx2 v[0:1], v[0:1], off
.LBB51_70:
	s_or_b64 exec, exec, s[2:3]
	s_movk_i32 s4, 0x48
	v_mad_u32_u24 v6, v16, s4, v18
	s_movk_i32 s20, 0x480
	s_cmp_lt_i32 s43, 1
	s_waitcnt vmcnt(0)
	ds_write_b64 v6, v[0:1] offset:1152
	s_waitcnt lgkmcnt(0)
	s_cbranch_scc1 .LBB51_87
; %bb.71:
	v_or_b32_e32 v0, v15, v16
	v_cmp_ne_u32_e64 s[2:3], 0, v0
	v_mov_b32_e32 v0, 0x480
	v_mad_u32_u24 v7, v16, s4, v0
	v_mul_u32_u24_e32 v1, 0x48, v16
	s_movk_i32 s5, 0x6c0
	s_mov_b32 s21, 0
	s_add_i32 s22, s16, s17
	v_add_u32_e32 v8, v7, v17
	v_add3_u32 v9, v1, v17, s5
	v_mad_u32_u24 v10, v15, s4, v0
	s_mov_b32 s23, 0xf800000
	v_mov_b32_e32 v11, 0x260
	v_mov_b32_e32 v1, 0
	s_branch .LBB51_73
.LBB51_72:                              ;   in Loop: Header=BB51_73 Depth=1
	s_or_b64 exec, exec, s[4:5]
	s_add_i32 s21, s21, 1
	s_addk_i32 s20, 0x50
	v_add_u32_e32 v7, 8, v7
	s_cmp_eq_u32 s43, s21
	v_add_u32_e32 v10, 8, v10
	s_waitcnt lgkmcnt(0)
	s_cbranch_scc1 .LBB51_87
.LBB51_73:                              ; =>This Inner Loop Header: Depth=1
	v_cmp_eq_u32_e32 vcc, s21, v16
	s_and_saveexec_b64 s[6:7], vcc
	s_cbranch_execz .LBB51_81
; %bb.74:                               ;   in Loop: Header=BB51_73 Depth=1
	ds_read_b64 v[12:13], v8
	ds_read_b64 v[18:19], v9
	s_waitcnt lgkmcnt(0)
	v_sub_f32_e32 v0, v12, v18
	v_sub_f32_e32 v13, v13, v19
	v_cmp_gt_f32_e32 vcc, 0, v0
	v_cndmask_b32_e64 v0, v0, -v0, vcc
	v_cmp_gt_f32_e32 vcc, 0, v13
	v_cndmask_b32_e64 v4, v13, -v13, vcc
	v_cmp_ngt_f32_e32 vcc, v0, v4
                                        ; implicit-def: $vgpr12
	s_and_saveexec_b64 s[4:5], vcc
	s_xor_b64 s[8:9], exec, s[4:5]
	s_cbranch_execz .LBB51_78
; %bb.75:                               ;   in Loop: Header=BB51_73 Depth=1
	v_cmp_neq_f32_e32 vcc, 0, v13
	v_mov_b32_e32 v12, 0
	s_and_saveexec_b64 s[12:13], vcc
	s_cbranch_execz .LBB51_77
; %bb.76:                               ;   in Loop: Header=BB51_73 Depth=1
	v_div_scale_f32 v12, s[4:5], v4, v4, v0
	v_rcp_f32_e32 v13, v12
	v_div_scale_f32 v14, vcc, v0, v4, v0
	v_fma_f32 v17, -v12, v13, 1.0
	v_fmac_f32_e32 v13, v17, v13
	v_mul_f32_e32 v17, v14, v13
	v_fma_f32 v18, -v12, v17, v14
	v_fmac_f32_e32 v17, v18, v13
	v_fma_f32 v12, -v12, v17, v14
	v_div_fmas_f32 v12, v12, v13, v17
	v_div_fixup_f32 v0, v12, v4, v0
	v_fma_f32 v0, v0, v0, 1.0
	v_mul_f32_e32 v12, 0x4f800000, v0
	v_cmp_gt_f32_e32 vcc, s23, v0
	v_cndmask_b32_e32 v0, v0, v12, vcc
	v_sqrt_f32_e32 v12, v0
	v_add_u32_e32 v13, -1, v12
	v_fma_f32 v14, -v13, v12, v0
	v_cmp_ge_f32_e64 s[4:5], 0, v14
	v_add_u32_e32 v14, 1, v12
	v_cndmask_b32_e64 v13, v12, v13, s[4:5]
	v_fma_f32 v12, -v14, v12, v0
	v_cmp_lt_f32_e64 s[4:5], 0, v12
	v_cndmask_b32_e64 v12, v13, v14, s[4:5]
	v_mul_f32_e32 v13, 0x37800000, v12
	v_cndmask_b32_e32 v12, v12, v13, vcc
	v_cmp_class_f32_e32 vcc, v0, v11
	v_cndmask_b32_e32 v0, v12, v0, vcc
	v_mul_f32_e32 v12, v4, v0
.LBB51_77:                              ;   in Loop: Header=BB51_73 Depth=1
	s_or_b64 exec, exec, s[12:13]
                                        ; implicit-def: $vgpr0
                                        ; implicit-def: $vgpr4
.LBB51_78:                              ;   in Loop: Header=BB51_73 Depth=1
	s_andn2_saveexec_b64 s[8:9], s[8:9]
	s_cbranch_execz .LBB51_80
; %bb.79:                               ;   in Loop: Header=BB51_73 Depth=1
	v_div_scale_f32 v12, s[4:5], v0, v0, v4
	v_rcp_f32_e32 v13, v12
	v_div_scale_f32 v14, vcc, v4, v0, v4
	v_fma_f32 v17, -v12, v13, 1.0
	v_fmac_f32_e32 v13, v17, v13
	v_mul_f32_e32 v17, v14, v13
	v_fma_f32 v18, -v12, v17, v14
	v_fmac_f32_e32 v17, v18, v13
	v_fma_f32 v12, -v12, v17, v14
	v_div_fmas_f32 v12, v12, v13, v17
	v_div_fixup_f32 v4, v12, v0, v4
	v_fma_f32 v4, v4, v4, 1.0
	v_mul_f32_e32 v12, 0x4f800000, v4
	v_cmp_gt_f32_e32 vcc, s23, v4
	v_cndmask_b32_e32 v4, v4, v12, vcc
	v_sqrt_f32_e32 v12, v4
	v_add_u32_e32 v13, -1, v12
	v_fma_f32 v14, -v13, v12, v4
	v_cmp_ge_f32_e64 s[4:5], 0, v14
	v_add_u32_e32 v14, 1, v12
	v_cndmask_b32_e64 v13, v12, v13, s[4:5]
	v_fma_f32 v12, -v14, v12, v4
	v_cmp_lt_f32_e64 s[4:5], 0, v12
	v_cndmask_b32_e64 v12, v13, v14, s[4:5]
	v_mul_f32_e32 v13, 0x37800000, v12
	v_cndmask_b32_e32 v12, v12, v13, vcc
	v_cmp_class_f32_e32 vcc, v4, v11
	v_cndmask_b32_e32 v4, v12, v4, vcc
	v_mul_f32_e32 v12, v0, v4
.LBB51_80:                              ;   in Loop: Header=BB51_73 Depth=1
	s_or_b64 exec, exec, s[8:9]
	v_mul_f32_e32 v0, 0x4f800000, v12
	v_cmp_gt_f32_e32 vcc, s23, v12
	v_cndmask_b32_e32 v0, v12, v0, vcc
	v_sqrt_f32_e32 v4, v0
	v_add_u32_e32 v12, -1, v4
	v_fma_f32 v14, -v12, v4, v0
	v_add_u32_e32 v13, 1, v4
	v_cmp_ge_f32_e64 s[4:5], 0, v14
	v_cndmask_b32_e64 v12, v4, v12, s[4:5]
	v_fma_f32 v4, -v13, v4, v0
	v_cmp_lt_f32_e64 s[4:5], 0, v4
	v_cndmask_b32_e64 v4, v12, v13, s[4:5]
	v_mul_f32_e32 v12, 0x37800000, v4
	v_cndmask_b32_e32 v4, v4, v12, vcc
	v_cmp_class_f32_e32 vcc, v0, v11
	v_cndmask_b32_e32 v0, v4, v0, vcc
	ds_write_b64 v8, v[0:1]
.LBB51_81:                              ;   in Loop: Header=BB51_73 Depth=1
	s_or_b64 exec, exec, s[6:7]
	v_mov_b32_e32 v0, s20
	s_waitcnt lgkmcnt(0)
	ds_read_b64 v[12:13], v0
	s_waitcnt lgkmcnt(0)
	v_cmp_neq_f32_e32 vcc, 0, v12
	v_cmp_neq_f32_e64 s[4:5], 0, v13
	s_or_b64 vcc, vcc, s[4:5]
	s_or_b64 s[4:5], vcc, s[2:3]
	v_cndmask_b32_e32 v0, 0, v13, vcc
	s_xor_b64 s[6:7], s[4:5], -1
	v_cndmask_b32_e32 v4, 1.0, v12, vcc
	s_and_saveexec_b64 s[4:5], s[6:7]
	s_cbranch_execz .LBB51_85
; %bb.82:                               ;   in Loop: Header=BB51_73 Depth=1
	v_mbcnt_lo_u32_b32 v0, exec_lo, 0
	v_mbcnt_hi_u32_b32 v0, exec_hi, v0
	v_cmp_eq_u32_e32 vcc, 0, v0
	s_and_saveexec_b64 s[6:7], vcc
	s_cbranch_execz .LBB51_84
; %bb.83:                               ;   in Loop: Header=BB51_73 Depth=1
	v_mov_b32_e32 v0, s22
	global_atomic_smin v1, v0, s[18:19]
.LBB51_84:                              ;   in Loop: Header=BB51_73 Depth=1
	s_or_b64 exec, exec, s[6:7]
	v_mov_b32_e32 v0, 0
	v_mov_b32_e32 v4, 1.0
.LBB51_85:                              ;   in Loop: Header=BB51_73 Depth=1
	s_or_b64 exec, exec, s[4:5]
	v_cmp_lt_u32_e32 vcc, s21, v16
	s_and_saveexec_b64 s[4:5], vcc
	s_cbranch_execz .LBB51_72
; %bb.86:                               ;   in Loop: Header=BB51_73 Depth=1
	v_mul_f32_e32 v12, v0, v0
	v_fmac_f32_e32 v12, v4, v4
	v_div_scale_f32 v13, s[6:7], v12, v12, 1.0
	v_rcp_f32_e32 v14, v13
	ds_read2_b64 v[18:21], v7 offset1:72
	v_fma_f32 v17, -v13, v14, 1.0
	v_fmac_f32_e32 v14, v17, v14
	v_div_scale_f32 v17, vcc, 1.0, v12, 1.0
	v_mul_f32_e32 v22, v17, v14
	v_fma_f32 v23, -v13, v22, v17
	v_fmac_f32_e32 v22, v23, v14
	v_fma_f32 v13, -v13, v22, v17
	s_waitcnt lgkmcnt(0)
	v_pk_add_f32 v[18:19], v[18:19], v[20:21] op_sel:[1,1] op_sel_hi:[0,0] neg_lo:[0,1] neg_hi:[0,1]
	v_div_fmas_f32 v13, v13, v14, v22
	v_pk_mul_f32 v[20:21], v[0:1], v[18:19] op_sel:[0,1] op_sel_hi:[0,0] neg_lo:[0,1]
	v_div_fixup_f32 v12, v13, v12, 1.0
	v_pk_fma_f32 v[18:19], v[18:19], v[4:5], v[20:21] op_sel_hi:[1,0,1]
	v_pk_mul_f32 v[12:13], v[12:13], v[18:19] op_sel_hi:[0,1]
	v_mov_b32_e32 v18, v13
	v_mov_b32_e32 v19, v12
	ds_write_b64 v7, v[18:19]
	s_waitcnt lgkmcnt(0)
	ds_read_b64 v[18:19], v10
	ds_read_b64 v[20:21], v3
	s_waitcnt lgkmcnt(0)
	v_pk_fma_f32 v[20:21], v[12:13], v[18:19], v[20:21] op_sel:[1,0,0] op_sel_hi:[0,0,1]
	v_pk_fma_f32 v[12:13], v[12:13], v[18:19], v[20:21] op_sel:[0,1,0] neg_hi:[0,1,0]
	ds_write_b64 v3, v[12:13]
	s_branch .LBB51_72
.LBB51_87:
	s_and_saveexec_b64 s[2:3], s[0:1]
	s_cbranch_execz .LBB51_89
; %bb.88:
	v_add_u32_e32 v0, 0x480, v6
	ds_read_b64 v[0:1], v0
	v_mad_u64_u32 v[2:3], s[0:1], v5, s43, v[2:3]
	v_ashrrev_i32_e32 v3, 31, v2
	v_lshlrev_b64 v[2:3], 3, v[2:3]
	v_mov_b32_e32 v4, s25
	v_add_co_u32_e32 v2, vcc, s24, v2
	v_addc_co_u32_e32 v3, vcc, v4, v3, vcc
	s_waitcnt lgkmcnt(0)
	global_store_dwordx2 v[2:3], v[0:1], off
.LBB51_89:
	s_or_b64 exec, exec, s[2:3]
	v_or_b32_e32 v0, v15, v16
	v_cmp_eq_u32_e64 s[0:1], 0, v0
.LBB51_90:
	s_and_saveexec_b64 s[2:3], s[0:1]
	s_cbranch_execnz .LBB51_98
.LBB51_91:
	s_endpgm
.LBB51_92:
	s_mov_b64 s[0:1], 0
	s_cbranch_execz .LBB51_90
; %bb.93:
	v_or_b32_e32 v0, v15, v16
	v_cmp_eq_u32_e32 vcc, 0, v0
	s_and_saveexec_b64 s[2:3], vcc
	s_cbranch_execz .LBB51_97
; %bb.94:
	v_mbcnt_lo_u32_b32 v0, exec_lo, 0
	v_mbcnt_hi_u32_b32 v0, exec_hi, v0
	v_cmp_eq_u32_e32 vcc, 0, v0
	s_and_saveexec_b64 s[4:5], vcc
	s_cbranch_execz .LBB51_96
; %bb.95:
	s_add_i32 s6, s16, s17
	v_mov_b32_e32 v0, 0
	v_mov_b32_e32 v1, s6
	global_atomic_smin v0, v1, s[18:19]
.LBB51_96:
	s_or_b64 exec, exec, s[4:5]
	s_or_b64 s[0:1], s[0:1], exec
.LBB51_97:
	s_or_b64 exec, exec, s[2:3]
	s_and_saveexec_b64 s[2:3], s[0:1]
	s_cbranch_execz .LBB51_91
.LBB51_98:
	s_add_u32 s0, s14, s10
	s_addc_u32 s1, s15, s11
	v_mov_b32_e32 v0, 0
	v_mov_b32_e32 v1, 1
	s_waitcnt vmcnt(0)
	global_store_dword v0, v1, s[0:1]
	s_endpgm
	.section	.rodata,"a",@progbits
	.p2align	6, 0x0
	.amdhsa_kernel _ZN9rocsparseL17bsric0_2_8_kernelILi64ELi64ELi8E21rocsparse_complex_numIfEEEv20rocsparse_direction_iiPKiS5_PT2_S5_PiS5_S8_21rocsparse_index_base_
		.amdhsa_group_segment_fixed_size 3072
		.amdhsa_private_segment_fixed_size 0
		.amdhsa_kernarg_size 76
		.amdhsa_user_sgpr_count 6
		.amdhsa_user_sgpr_private_segment_buffer 1
		.amdhsa_user_sgpr_dispatch_ptr 0
		.amdhsa_user_sgpr_queue_ptr 0
		.amdhsa_user_sgpr_kernarg_segment_ptr 1
		.amdhsa_user_sgpr_dispatch_id 0
		.amdhsa_user_sgpr_flat_scratch_init 0
		.amdhsa_user_sgpr_kernarg_preload_length 0
		.amdhsa_user_sgpr_kernarg_preload_offset 0
		.amdhsa_user_sgpr_private_segment_size 0
		.amdhsa_uses_dynamic_stack 0
		.amdhsa_system_sgpr_private_segment_wavefront_offset 0
		.amdhsa_system_sgpr_workgroup_id_x 1
		.amdhsa_system_sgpr_workgroup_id_y 0
		.amdhsa_system_sgpr_workgroup_id_z 0
		.amdhsa_system_sgpr_workgroup_info 0
		.amdhsa_system_vgpr_workitem_id 1
		.amdhsa_next_free_vgpr 72
		.amdhsa_next_free_sgpr 52
		.amdhsa_accum_offset 72
		.amdhsa_reserve_vcc 1
		.amdhsa_reserve_flat_scratch 0
		.amdhsa_float_round_mode_32 0
		.amdhsa_float_round_mode_16_64 0
		.amdhsa_float_denorm_mode_32 3
		.amdhsa_float_denorm_mode_16_64 3
		.amdhsa_dx10_clamp 1
		.amdhsa_ieee_mode 1
		.amdhsa_fp16_overflow 0
		.amdhsa_tg_split 0
		.amdhsa_exception_fp_ieee_invalid_op 0
		.amdhsa_exception_fp_denorm_src 0
		.amdhsa_exception_fp_ieee_div_zero 0
		.amdhsa_exception_fp_ieee_overflow 0
		.amdhsa_exception_fp_ieee_underflow 0
		.amdhsa_exception_fp_ieee_inexact 0
		.amdhsa_exception_int_div_zero 0
	.end_amdhsa_kernel
	.section	.text._ZN9rocsparseL17bsric0_2_8_kernelILi64ELi64ELi8E21rocsparse_complex_numIfEEEv20rocsparse_direction_iiPKiS5_PT2_S5_PiS5_S8_21rocsparse_index_base_,"axG",@progbits,_ZN9rocsparseL17bsric0_2_8_kernelILi64ELi64ELi8E21rocsparse_complex_numIfEEEv20rocsparse_direction_iiPKiS5_PT2_S5_PiS5_S8_21rocsparse_index_base_,comdat
.Lfunc_end51:
	.size	_ZN9rocsparseL17bsric0_2_8_kernelILi64ELi64ELi8E21rocsparse_complex_numIfEEEv20rocsparse_direction_iiPKiS5_PT2_S5_PiS5_S8_21rocsparse_index_base_, .Lfunc_end51-_ZN9rocsparseL17bsric0_2_8_kernelILi64ELi64ELi8E21rocsparse_complex_numIfEEEv20rocsparse_direction_iiPKiS5_PT2_S5_PiS5_S8_21rocsparse_index_base_
                                        ; -- End function
	.section	.AMDGPU.csdata,"",@progbits
; Kernel info:
; codeLenInByte = 4864
; NumSgprs: 56
; NumVgprs: 72
; NumAgprs: 0
; TotalNumVgprs: 72
; ScratchSize: 0
; MemoryBound: 0
; FloatMode: 240
; IeeeMode: 1
; LDSByteSize: 3072 bytes/workgroup (compile time only)
; SGPRBlocks: 6
; VGPRBlocks: 8
; NumSGPRsForWavesPerEU: 56
; NumVGPRsForWavesPerEU: 72
; AccumOffset: 72
; Occupancy: 6
; WaveLimiterHint : 1
; COMPUTE_PGM_RSRC2:SCRATCH_EN: 0
; COMPUTE_PGM_RSRC2:USER_SGPR: 6
; COMPUTE_PGM_RSRC2:TRAP_HANDLER: 0
; COMPUTE_PGM_RSRC2:TGID_X_EN: 1
; COMPUTE_PGM_RSRC2:TGID_Y_EN: 0
; COMPUTE_PGM_RSRC2:TGID_Z_EN: 0
; COMPUTE_PGM_RSRC2:TIDIG_COMP_CNT: 1
; COMPUTE_PGM_RSRC3_GFX90A:ACCUM_OFFSET: 17
; COMPUTE_PGM_RSRC3_GFX90A:TG_SPLIT: 0
	.section	.text._ZN9rocsparseL18bsric0_9_16_kernelILi64ELi64ELi16E21rocsparse_complex_numIfEEEv20rocsparse_direction_iiPKiS5_PT2_S5_PiS5_S8_21rocsparse_index_base_,"axG",@progbits,_ZN9rocsparseL18bsric0_9_16_kernelILi64ELi64ELi16E21rocsparse_complex_numIfEEEv20rocsparse_direction_iiPKiS5_PT2_S5_PiS5_S8_21rocsparse_index_base_,comdat
	.globl	_ZN9rocsparseL18bsric0_9_16_kernelILi64ELi64ELi16E21rocsparse_complex_numIfEEEv20rocsparse_direction_iiPKiS5_PT2_S5_PiS5_S8_21rocsparse_index_base_ ; -- Begin function _ZN9rocsparseL18bsric0_9_16_kernelILi64ELi64ELi16E21rocsparse_complex_numIfEEEv20rocsparse_direction_iiPKiS5_PT2_S5_PiS5_S8_21rocsparse_index_base_
	.p2align	8
	.type	_ZN9rocsparseL18bsric0_9_16_kernelILi64ELi64ELi16E21rocsparse_complex_numIfEEEv20rocsparse_direction_iiPKiS5_PT2_S5_PiS5_S8_21rocsparse_index_base_,@function
_ZN9rocsparseL18bsric0_9_16_kernelILi64ELi64ELi16E21rocsparse_complex_numIfEEEv20rocsparse_direction_iiPKiS5_PT2_S5_PiS5_S8_21rocsparse_index_base_: ; @_ZN9rocsparseL18bsric0_9_16_kernelILi64ELi64ELi16E21rocsparse_complex_numIfEEEv20rocsparse_direction_iiPKiS5_PT2_S5_PiS5_S8_21rocsparse_index_base_
; %bb.0:
	s_load_dwordx8 s[16:23], s[4:5], 0x28
	s_mov_b32 s7, 0
	s_lshl_b64 s[0:1], s[6:7], 2
	v_and_b32_e32 v1, 0x3ff, v0
	v_bfe_u32 v0, v0, 10, 10
	s_waitcnt lgkmcnt(0)
	s_add_u32 s0, s20, s0
	s_addc_u32 s1, s21, s1
	s_load_dword s20, s[0:1], 0x0
	s_waitcnt lgkmcnt(0)
	s_ashr_i32 s21, s20, 31
	s_lshl_b64 s[14:15], s[20:21], 2
	s_add_u32 s0, s16, s14
	s_addc_u32 s1, s17, s15
	s_load_dword s33, s[0:1], 0x0
	s_load_dword s21, s[4:5], 0x48
	s_waitcnt lgkmcnt(0)
	s_cmp_lg_u32 s33, -1
	s_cbranch_scc0 .LBB52_197
; %bb.1:
	s_load_dwordx4 s[24:27], s[4:5], 0x10
	v_lshlrev_b32_e32 v3, 2, v0
	v_add_u32_e32 v4, v3, v1
	s_waitcnt lgkmcnt(0)
	s_add_u32 s0, s24, s14
	s_addc_u32 s1, s25, s15
	s_load_dword s28, s[0:1], 0x0
	s_waitcnt lgkmcnt(0)
	s_sub_i32 s56, s28, s21
	v_add_u32_e32 v2, s56, v4
	v_cmp_ge_i32_e32 vcc, s33, v2
	s_and_saveexec_b64 s[2:3], vcc
	s_cbranch_execz .LBB52_16
; %bb.2:
	v_add_u32_e32 v4, s28, v4
	v_subrev_u32_e32 v4, s21, v4
	v_add_u32_e32 v4, 64, v4
	s_add_i32 s0, s33, 1
	v_max_i32_e32 v4, s0, v4
	v_not_b32_e32 v5, v1
	v_add3_u32 v4, v4, s21, v5
	v_add_u32_e32 v3, s28, v3
	v_sub_u32_e32 v3, v4, v3
	s_movk_i32 s0, 0x640
	v_cmp_gt_u32_e32 vcc, s0, v3
	s_movk_i32 s0, 0x63f
	v_cmp_lt_u32_e64 s[0:1], s0, v3
	s_and_saveexec_b64 s[6:7], s[0:1]
	s_cbranch_execz .LBB52_13
; %bb.3:
	v_and_b32_e32 v4, 0xffffffc0, v3
	v_add_u32_e32 v4, v2, v4
	v_cmp_ge_i32_e64 s[0:1], v4, v2
	s_mov_b64 s[10:11], -1
	s_and_saveexec_b64 s[8:9], s[0:1]
	s_cbranch_execz .LBB52_12
; %bb.4:
	v_lshrrev_b32_e32 v14, 6, v3
	v_add_u32_e32 v4, -1, v14
	v_add_u32_e32 v3, 64, v2
	v_lshrrev_b32_e32 v5, 1, v4
	v_add_u32_e32 v15, 1, v5
	v_cmp_lt_u32_e64 s[0:1], 13, v4
	v_pk_mov_b32 v[4:5], v[2:3], v[2:3] op_sel:[0,1]
	s_and_saveexec_b64 s[10:11], s[0:1]
	s_cbranch_execz .LBB52_8
; %bb.5:
	v_and_b32_e32 v16, -8, v15
	s_mov_b64 s[12:13], 0
	v_mov_b32_e32 v17, s27
	v_pk_mov_b32 v[4:5], v[2:3], v[2:3] op_sel:[0,1]
.LBB52_6:                               ; =>This Inner Loop Header: Depth=1
	v_ashrrev_i32_e32 v21, 31, v4
	v_mov_b32_e32 v20, v4
	v_lshlrev_b64 v[20:21], 2, v[20:21]
	v_ashrrev_i32_e32 v19, 31, v5
	v_mov_b32_e32 v18, v5
	v_add_co_u32_e64 v20, s[0:1], s26, v20
	v_add_u32_e32 v6, 0x80, v4
	v_lshlrev_b64 v[18:19], 2, v[18:19]
	v_addc_co_u32_e64 v21, s[0:1], v17, v21, s[0:1]
	v_ashrrev_i32_e32 v7, 31, v6
	v_add_co_u32_e64 v18, s[0:1], s26, v18
	v_add_u32_e32 v8, 0x80, v5
	v_addc_co_u32_e64 v19, s[0:1], v17, v19, s[0:1]
	v_lshlrev_b64 v[42:43], 2, v[6:7]
	v_ashrrev_i32_e32 v9, 31, v8
	global_load_dword v3, v[20:21], off
	global_load_dword v7, v[18:19], off
	v_add_co_u32_e64 v18, s[0:1], s26, v42
	v_add_u32_e32 v10, 0x100, v4
	v_lshlrev_b64 v[44:45], 2, v[8:9]
	v_addc_co_u32_e64 v19, s[0:1], v17, v43, s[0:1]
	v_ashrrev_i32_e32 v11, 31, v10
	v_add_co_u32_e64 v20, s[0:1], s26, v44
	v_add_u32_e32 v12, 0x100, v5
	v_lshlrev_b64 v[46:47], 2, v[10:11]
	v_addc_co_u32_e64 v21, s[0:1], v17, v45, s[0:1]
	v_ashrrev_i32_e32 v13, 31, v12
	;; [unrolled: 5-line block ×12, first 2 shown]
	v_add_co_u32_e64 v62, s[0:1], s26, v66
	v_lshlrev_b64 v[68:69], 2, v[40:41]
	v_addc_co_u32_e64 v63, s[0:1], v17, v67, s[0:1]
	v_add_co_u32_e64 v64, s[0:1], s26, v68
	v_addc_co_u32_e64 v65, s[0:1], v17, v69, s[0:1]
	global_load_dword v9, v[20:21], off
	global_load_dword v11, v[18:19], off
	global_load_dword v13, v[44:45], off
	global_load_dword v23, v[42:43], off
	global_load_dword v25, v[48:49], off
	global_load_dword v27, v[46:47], off
	global_load_dword v29, v[52:53], off
	global_load_dword v31, v[50:51], off
	global_load_dword v33, v[56:57], off
	global_load_dword v35, v[54:55], off
	global_load_dword v37, v[60:61], off
	global_load_dword v39, v[58:59], off
	global_load_dword v41, v[64:65], off
	global_load_dword v66, v[62:63], off
	v_subrev_u32_e32 v19, s56, v4
	v_add_u32_e32 v16, -8, v16
	v_subrev_u32_e32 v18, s56, v5
	v_lshlrev_b32_e32 v19, 2, v19
	v_subrev_u32_e32 v6, s56, v6
	v_cmp_eq_u32_e64 s[0:1], 0, v16
	s_waitcnt vmcnt(14)
	v_subrev_u32_e32 v7, s21, v7
	v_subrev_u32_e32 v3, s21, v3
	v_add_u32_e32 v5, 0x400, v5
	v_add_u32_e32 v4, 0x400, v4
	v_lshlrev_b32_e32 v18, 2, v18
	v_subrev_u32_e32 v8, s56, v8
	v_subrev_u32_e32 v12, s56, v12
	;; [unrolled: 1-line block ×13, first 2 shown]
	v_lshlrev_b32_e32 v6, 2, v6
	s_or_b64 s[12:13], s[0:1], s[12:13]
	ds_write_b32 v19, v3 offset:9216
	ds_write_b32 v18, v7 offset:9216
	v_lshlrev_b32_e32 v8, 2, v8
	v_lshlrev_b32_e32 v10, 2, v10
	;; [unrolled: 1-line block ×13, first 2 shown]
	s_waitcnt vmcnt(13)
	v_subrev_u32_e32 v3, s21, v9
	s_waitcnt vmcnt(12)
	v_subrev_u32_e32 v7, s21, v11
	s_waitcnt vmcnt(11)
	v_subrev_u32_e32 v9, s21, v13
	s_waitcnt vmcnt(10)
	v_subrev_u32_e32 v11, s21, v23
	s_waitcnt vmcnt(9)
	v_subrev_u32_e32 v13, s21, v25
	s_waitcnt vmcnt(8)
	v_subrev_u32_e32 v18, s21, v27
	s_waitcnt vmcnt(7)
	v_subrev_u32_e32 v19, s21, v29
	s_waitcnt vmcnt(6)
	v_subrev_u32_e32 v23, s21, v31
	s_waitcnt vmcnt(5)
	v_subrev_u32_e32 v25, s21, v33
	s_waitcnt vmcnt(4)
	v_subrev_u32_e32 v27, s21, v35
	s_waitcnt vmcnt(3)
	v_subrev_u32_e32 v29, s21, v37
	s_waitcnt vmcnt(2)
	v_subrev_u32_e32 v31, s21, v39
	s_waitcnt vmcnt(1)
	v_subrev_u32_e32 v33, s21, v41
	s_waitcnt vmcnt(0)
	v_subrev_u32_e32 v35, s21, v66
	ds_write_b32 v6, v7 offset:9216
	ds_write_b32 v8, v3 offset:9216
	;; [unrolled: 1-line block ×14, first 2 shown]
	s_andn2_b64 exec, exec, s[12:13]
	s_cbranch_execnz .LBB52_6
; %bb.7:
	s_or_b64 exec, exec, s[12:13]
.LBB52_8:
	s_or_b64 exec, exec, s[10:11]
	v_and_b32_e32 v3, 7, v15
	v_cmp_ne_u32_e64 s[0:1], 0, v3
	s_and_saveexec_b64 s[10:11], s[0:1]
	s_cbranch_execz .LBB52_11
; %bb.9:
	s_mov_b64 s[12:13], 0
	v_mov_b32_e32 v6, s27
.LBB52_10:                              ; =>This Inner Loop Header: Depth=1
	v_ashrrev_i32_e32 v11, 31, v4
	v_mov_b32_e32 v10, v4
	v_lshlrev_b64 v[10:11], 2, v[10:11]
	v_ashrrev_i32_e32 v9, 31, v5
	v_mov_b32_e32 v8, v5
	v_add_co_u32_e64 v10, s[0:1], s26, v10
	v_lshlrev_b64 v[8:9], 2, v[8:9]
	v_addc_co_u32_e64 v11, s[0:1], v6, v11, s[0:1]
	v_add_co_u32_e64 v8, s[0:1], s26, v8
	v_addc_co_u32_e64 v9, s[0:1], v6, v9, s[0:1]
	global_load_dword v7, v[8:9], off
	global_load_dword v12, v[10:11], off
	v_add_u32_e32 v3, -1, v3
	v_subrev_u32_e32 v9, s56, v4
	v_cmp_eq_u32_e64 s[0:1], 0, v3
	v_subrev_u32_e32 v8, s56, v5
	v_add_u32_e32 v5, 0x80, v5
	v_add_u32_e32 v4, 0x80, v4
	v_lshlrev_b32_e32 v9, 2, v9
	s_or_b64 s[12:13], s[0:1], s[12:13]
	v_lshlrev_b32_e32 v8, 2, v8
	s_waitcnt vmcnt(1)
	v_subrev_u32_e32 v7, s21, v7
	s_waitcnt vmcnt(0)
	v_subrev_u32_e32 v10, s21, v12
	ds_write_b32 v9, v10 offset:9216
	ds_write_b32 v8, v7 offset:9216
	s_andn2_b64 exec, exec, s[12:13]
	s_cbranch_execnz .LBB52_10
.LBB52_11:
	s_or_b64 exec, exec, s[10:11]
	v_add_u32_e32 v3, 1, v14
	v_and_b32_e32 v4, 0x7fffffe, v3
	v_cmp_ne_u32_e64 s[0:1], v3, v4
	v_lshl_add_u32 v2, v4, 6, v2
	s_orn2_b64 s[10:11], s[0:1], exec
.LBB52_12:
	s_or_b64 exec, exec, s[8:9]
	s_andn2_b64 s[0:1], vcc, exec
	s_and_b64 s[8:9], s[10:11], exec
	s_or_b64 vcc, s[0:1], s[8:9]
.LBB52_13:
	s_or_b64 exec, exec, s[6:7]
	s_and_b64 exec, exec, vcc
	s_cbranch_execz .LBB52_16
; %bb.14:
	v_add_u32_e32 v3, s21, v2
	v_subrev_u32_e32 v3, s28, v3
	v_mov_b32_e32 v4, 0x2400
	v_lshl_add_u32 v4, v3, 2, v4
	s_mov_b64 s[0:1], 0
	v_mov_b32_e32 v5, s27
.LBB52_15:                              ; =>This Inner Loop Header: Depth=1
	v_ashrrev_i32_e32 v3, 31, v2
	v_lshlrev_b64 v[6:7], 2, v[2:3]
	v_add_co_u32_e32 v6, vcc, s26, v6
	v_addc_co_u32_e32 v7, vcc, v5, v7, vcc
	global_load_dword v3, v[6:7], off
	v_add_u32_e32 v2, 64, v2
	v_cmp_lt_i32_e32 vcc, s33, v2
	s_or_b64 s[0:1], vcc, s[0:1]
	s_waitcnt vmcnt(0)
	v_subrev_u32_e32 v3, s21, v3
	ds_write_b32 v4, v3
	v_add_u32_e32 v4, 0x100, v4
	s_andn2_b64 exec, exec, s[0:1]
	s_cbranch_execnz .LBB52_15
.LBB52_16:
	s_or_b64 exec, exec, s[2:3]
	s_load_dwordx2 s[28:29], s[4:5], 0x20
	v_cmp_gt_u32_e32 vcc, 16, v1
	v_lshlrev_b32_e32 v15, 3, v1
	s_and_saveexec_b64 s[0:1], vcc
	s_cbranch_execz .LBB52_19
; %bb.17:
	v_mul_u32_u24_e32 v2, 0x88, v0
	v_lshlrev_b32_e32 v3, 3, v1
	s_movk_i32 s2, 0x1980
	v_add3_u32 v5, v2, v3, s2
	v_mov_b32_e32 v2, 0
	v_add_u32_e32 v4, -4, v1
	s_mov_b64 s[2:3], 0
	v_mov_b32_e32 v3, v2
.LBB52_18:                              ; =>This Inner Loop Header: Depth=1
	v_add_u32_e32 v4, 4, v4
	v_cmp_lt_u32_e32 vcc, 11, v4
	ds_write_b64 v5, v[2:3]
	s_or_b64 s[2:3], vcc, s[2:3]
	v_add_u32_e32 v5, 32, v5
	s_andn2_b64 exec, exec, s[2:3]
	s_cbranch_execnz .LBB52_18
.LBB52_19:
	s_or_b64 exec, exec, s[0:1]
	s_load_dword s54, s[4:5], 0x8
	s_load_dword s55, s[4:5], 0x0
	s_cmp_ge_i32 s56, s33
	s_waitcnt lgkmcnt(0)
	v_cmp_gt_i32_e64 s[0:1], s54, v1
	v_xad_u32 v16, v1, -1, s54
	s_cbranch_scc1 .LBB52_140
; %bb.20:
	v_lshlrev_b32_e32 v18, 3, v1
	s_movk_i32 s58, 0x88
	v_or_b32_e32 v2, v1, v0
	v_mad_u32_u24 v19, v0, s58, v18
	v_cmp_ne_u32_e64 s[4:5], 0, v2
	v_lshrrev_b32_e32 v2, 2, v16
	v_add_u32_e32 v20, 0x1980, v19
	v_add_u32_e32 v4, 1, v2
	v_lshl_add_u32 v2, v2, 5, v20
	s_cmp_lg_u32 s55, 0
	v_add_u32_e32 v3, 0x1984, v19
	s_movk_i32 s6, 0x53
	v_or_b32_e32 v5, 4, v2
	s_cselect_b64 s[34:35], -1, 0
	s_cmp_gt_i32 s54, 0
	v_cmp_lt_u32_e32 vcc, s6, v16
	v_cmp_lt_u32_e64 s[6:7], v5, v3
	s_brev_b32 s8, -8
	v_cmp_lt_u32_e64 s[10:11], v2, v20
	v_cmp_lt_u32_e64 s[8:9], s8, v16
	s_cselect_b64 s[36:37], -1, 0
	s_or_b64 s[6:7], s[10:11], s[6:7]
	s_or_b64 s[6:7], s[6:7], s[8:9]
	s_xor_b64 s[12:13], s[6:7], -1
	s_and_b64 s[38:39], vcc, s[12:13]
	s_mul_i32 s12, s54, s56
	v_add_u32_e32 v3, s12, v0
	v_and_b32_e32 v21, 0x7ffffffe, v4
	v_mul_lo_u32 v25, s54, v3
	v_mov_b32_e32 v3, 0x1100
	v_lshl_add_u32 v22, v21, 2, v1
	v_and_b32_e32 v2, 3, v4
	v_mad_u32_u24 v26, v0, s58, v3
	v_mad_u32_u24 v28, v1, s58, v3
	v_mov_b32_e32 v3, 0x1980
	s_mov_b32 s30, 0
	v_cmp_gt_i32_e64 s[2:3], s54, v0
	s_mul_i32 s57, s54, s54
	v_mul_lo_u32 v17, v0, s54
	v_cmp_ne_u32_e64 s[6:7], v4, v21
	v_cmp_ne_u32_e64 s[8:9], 0, v2
	v_cmp_lt_u32_e64 s[10:11], 11, v16
	v_add_u32_e32 v23, 0x880, v19
	v_mul_lo_u32 v24, v1, s54
	s_lshl_b32 s59, s54, 2
	v_mul_u32_u24_e32 v27, 0x88, v1
	v_mad_u32_u24 v29, v0, s58, v3
	v_add_u32_e32 v30, 0x1100, v19
	v_lshlrev_b32_e32 v31, 3, v2
	v_mov_b32_e32 v2, 0
	v_mul_u32_u24_e32 v32, 0x88, v0
	v_mul_lo_u32 v33, v22, s58
	v_lshlrev_b32_e32 v34, 3, v22
	v_cndmask_b32_e64 v35, 0, 1, s[34:35]
	s_mov_b32 s40, s56
	s_branch .LBB52_22
.LBB52_21:                              ;   in Loop: Header=BB52_22 Depth=1
	s_or_b64 exec, exec, s[42:43]
	s_add_i32 s40, s40, 1
	s_cmp_ge_i32 s40, s33
	s_waitcnt vmcnt(0)
	buffer_wbinvl1_vol
	v_add_u32_e32 v25, s57, v25
	s_cselect_b64 s[12:13], -1, 0
	s_and_b64 vcc, exec, s[12:13]
	s_cbranch_vccnz .LBB52_140
.LBB52_22:                              ; =>This Loop Header: Depth=1
                                        ;     Child Loop BB52_26 Depth 2
                                        ;     Child Loop BB52_39 Depth 2
	;; [unrolled: 1-line block ×5, first 2 shown]
                                        ;       Child Loop BB52_71 Depth 3
                                        ;     Child Loop BB52_84 Depth 2
                                        ;       Child Loop BB52_90 Depth 3
                                        ;       Child Loop BB52_94 Depth 3
	;; [unrolled: 1-line block ×3, first 2 shown]
                                        ;     Child Loop BB52_106 Depth 2
                                        ;     Child Loop BB52_117 Depth 2
	s_ashr_i32 s41, s40, 31
	s_lshl_b64 s[12:13], s[40:41], 2
	s_add_u32 s12, s26, s12
	s_addc_u32 s13, s27, s13
	s_load_dword s60, s[12:13], 0x0
	s_waitcnt lgkmcnt(0)
	s_sub_i32 s42, s60, s21
	s_ashr_i32 s43, s42, 31
	s_lshl_b64 s[12:13], s[42:43], 2
	s_add_u32 s44, s16, s12
	s_addc_u32 s45, s17, s13
	s_load_dword s31, s[44:45], 0x0
	s_waitcnt lgkmcnt(0)
	s_cmp_eq_u32 s31, -1
	s_cbranch_scc1 .LBB52_111
; %bb.23:                               ;   in Loop: Header=BB52_22 Depth=1
	s_add_u32 s44, s24, s12
	s_addc_u32 s45, s25, s13
	s_load_dword s43, s[44:45], 0x0
	s_mul_i32 s41, s40, s54
	s_and_saveexec_b64 s[44:45], s[0:1]
	s_cbranch_execz .LBB52_36
; %bb.24:                               ;   in Loop: Header=BB52_22 Depth=1
	s_mov_b64 s[46:47], 0
	v_mov_b32_e32 v8, v23
	v_mov_b32_e32 v9, v1
	s_branch .LBB52_26
.LBB52_25:                              ;   in Loop: Header=BB52_26 Depth=2
	s_or_b64 exec, exec, s[50:51]
	v_add_u32_e32 v9, 4, v9
	v_mov_b32_e32 v3, v2
	v_cmp_le_i32_e32 vcc, s54, v9
	s_waitcnt vmcnt(0)
	ds_write_b64 v8, v[6:7] offset:2176
	ds_write_b64 v8, v[2:3]
	s_or_b64 s[46:47], vcc, s[46:47]
	v_add_u32_e32 v8, 32, v8
	s_andn2_b64 exec, exec, s[46:47]
	s_cbranch_execz .LBB52_36
.LBB52_26:                              ;   Parent Loop BB52_22 Depth=1
                                        ; =>  This Inner Loop Header: Depth=2
	s_and_b64 vcc, exec, s[34:35]
	s_cbranch_vccz .LBB52_31
; %bb.27:                               ;   in Loop: Header=BB52_26 Depth=2
	s_mov_b64 s[50:51], 0
	s_mov_b64 s[48:49], 0
                                        ; implicit-def: $vgpr4
	s_and_saveexec_b64 s[52:53], s[2:3]
	s_xor_b64 s[52:53], exec, s[52:53]
; %bb.28:                               ;   in Loop: Header=BB52_26 Depth=2
	v_add_u32_e32 v3, s41, v9
	s_mov_b64 s[48:49], exec
	v_mad_u64_u32 v[4:5], s[62:63], v3, s54, v[0:1]
; %bb.29:                               ;   in Loop: Header=BB52_26 Depth=2
	s_or_b64 exec, exec, s[52:53]
	s_mov_b32 s52, 0
	s_and_b64 vcc, exec, s[50:51]
	s_cbranch_vccnz .LBB52_32
.LBB52_30:                              ;   in Loop: Header=BB52_26 Depth=2
	v_mov_b32_e32 v6, s52
	v_mov_b32_e32 v7, s52
	s_and_saveexec_b64 s[50:51], s[48:49]
	s_cbranch_execz .LBB52_25
	s_branch .LBB52_35
.LBB52_31:                              ;   in Loop: Header=BB52_26 Depth=2
	s_mov_b64 s[48:49], 0
                                        ; implicit-def: $vgpr4
                                        ; implicit-def: $sgpr52
	s_cbranch_execz .LBB52_30
.LBB52_32:                              ;   in Loop: Header=BB52_26 Depth=2
                                        ; implicit-def: $vgpr4
	s_and_saveexec_b64 s[50:51], s[2:3]
; %bb.33:                               ;   in Loop: Header=BB52_26 Depth=2
	v_add_u32_e32 v4, v25, v9
	s_or_b64 s[48:49], s[48:49], exec
; %bb.34:                               ;   in Loop: Header=BB52_26 Depth=2
	s_or_b64 exec, exec, s[50:51]
	s_mov_b32 s52, 0
	v_mov_b32_e32 v6, s52
	v_mov_b32_e32 v7, s52
	s_and_saveexec_b64 s[50:51], s[48:49]
	s_cbranch_execz .LBB52_25
.LBB52_35:                              ;   in Loop: Header=BB52_26 Depth=2
	v_ashrrev_i32_e32 v5, 31, v4
	v_lshlrev_b64 v[4:5], 3, v[4:5]
	v_mov_b32_e32 v3, s29
	v_add_co_u32_e32 v4, vcc, s28, v4
	v_addc_co_u32_e32 v5, vcc, v3, v5, vcc
	global_load_dwordx2 v[6:7], v[4:5], off
	s_branch .LBB52_25
.LBB52_36:                              ;   in Loop: Header=BB52_22 Depth=1
	s_or_b64 exec, exec, s[44:45]
; %bb.37:                               ;   in Loop: Header=BB52_22 Depth=1
	ds_read_b32 v3, v2 offset:9216
	s_waitcnt lgkmcnt(0)
	s_sub_i32 s44, s43, s21
	s_cmp_le_i32 s44, s31
	s_cselect_b64 s[46:47], -1, 0
	s_mov_b32 s50, 0
	v_cmp_ge_i32_e32 vcc, s42, v3
	s_and_b64 s[46:47], s[46:47], vcc
	s_andn2_b64 vcc, exec, s[46:47]
	s_cbranch_vccnz .LBB52_49
; %bb.38:                               ;   in Loop: Header=BB52_22 Depth=1
	s_mov_b32 s43, 0
	s_mov_b32 s48, 0
.LBB52_39:                              ;   Parent Loop BB52_22 Depth=1
                                        ; =>  This Inner Loop Header: Depth=2
	s_ashr_i32 s45, s44, 31
	s_lshl_b64 s[46:47], s[44:45], 2
	s_add_u32 s46, s26, s46
	s_addc_u32 s47, s27, s47
	s_load_dword s45, s[46:47], 0x0
	s_lshl_b32 s46, s48, 2
	v_mov_b32_e32 v3, s46
	ds_read_b32 v3, v3 offset:9216
	s_mov_b64 s[46:47], -1
	s_waitcnt lgkmcnt(0)
	s_sub_i32 s52, s45, s21
                                        ; implicit-def: $sgpr50
                                        ; implicit-def: $sgpr51
                                        ; implicit-def: $sgpr49
	v_cmp_ge_i32_e32 vcc, s52, v3
	v_readfirstlane_b32 s45, v3
	s_cbranch_vccz .LBB52_45
; %bb.40:                               ;   in Loop: Header=BB52_39 Depth=2
	s_cmp_le_i32 s52, s45
                                        ; implicit-def: $sgpr50
                                        ; implicit-def: $sgpr51
                                        ; implicit-def: $sgpr49
	s_cbranch_scc0 .LBB52_42
; %bb.41:                               ;   in Loop: Header=BB52_39 Depth=2
	s_add_i32 s46, s48, s56
	s_mul_i32 s46, s46, s57
	s_lshl_b32 s47, s43, 2
	v_mov_b32_e32 v4, s46
	s_mul_i32 s46, s44, s57
	v_mov_b32_e32 v3, s47
	v_mov_b32_e32 v5, s46
	ds_write2st64_b32 v3, v5, v4 offset0:34 offset1:35
	s_add_i32 s49, s48, 1
	s_add_i32 s51, s44, 1
	;; [unrolled: 1-line block ×3, first 2 shown]
	s_mov_b64 s[46:47], 0
.LBB52_42:                              ;   in Loop: Header=BB52_39 Depth=2
	s_andn2_b64 vcc, exec, s[46:47]
	s_cbranch_vccnz .LBB52_44
; %bb.43:                               ;   in Loop: Header=BB52_39 Depth=2
	s_add_i32 s49, s48, 1
	s_mov_b32 s50, s43
	s_mov_b32 s51, s44
.LBB52_44:                              ;   in Loop: Header=BB52_39 Depth=2
	s_mov_b64 s[46:47], 0
.LBB52_45:                              ;   in Loop: Header=BB52_39 Depth=2
	s_andn2_b64 vcc, exec, s[46:47]
	s_cbranch_vccnz .LBB52_47
; %bb.46:                               ;   in Loop: Header=BB52_39 Depth=2
	s_add_i32 s51, s44, 1
	s_mov_b32 s49, s48
	s_mov_b32 s50, s43
.LBB52_47:                              ;   in Loop: Header=BB52_39 Depth=2
	s_cmp_le_i32 s51, s31
	s_cselect_b64 s[46:47], -1, 0
	s_cmp_le_i32 s45, s42
	s_cselect_b64 s[44:45], -1, 0
	s_and_b64 s[44:45], s[46:47], s[44:45]
	s_and_b64 vcc, exec, s[44:45]
	s_cbranch_vccz .LBB52_49
; %bb.48:                               ;   in Loop: Header=BB52_39 Depth=2
	s_mov_b32 s43, s50
	s_mov_b32 s44, s51
	;; [unrolled: 1-line block ×3, first 2 shown]
	s_branch .LBB52_39
.LBB52_49:                              ;   in Loop: Header=BB52_22 Depth=1
	s_add_u32 s12, s18, s12
	s_addc_u32 s13, s19, s13
	s_waitcnt lgkmcnt(0)
.LBB52_50:                              ;   Parent Loop BB52_22 Depth=1
                                        ; =>  This Inner Loop Header: Depth=2
	global_load_dword v3, v2, s[12:13] glc
	s_waitcnt vmcnt(0)
	v_cmp_eq_u32_e32 vcc, 0, v3
	s_cbranch_vccnz .LBB52_50
; %bb.51:                               ;   in Loop: Header=BB52_22 Depth=1
	buffer_wbinvl1_vol
	s_and_saveexec_b64 s[12:13], s[0:1]
	s_cbranch_execz .LBB52_64
; %bb.52:                               ;   in Loop: Header=BB52_22 Depth=1
	s_mul_i32 s31, s31, s54
	v_add_u32_e32 v3, s31, v0
	v_mul_lo_u32 v3, v3, s54
	s_mov_b64 s[42:43], 0
	v_mov_b32_e32 v8, v19
	v_mov_b32_e32 v9, v1
	s_branch .LBB52_54
.LBB52_53:                              ;   in Loop: Header=BB52_54 Depth=2
	s_or_b64 exec, exec, s[46:47]
	v_add_u32_e32 v9, 4, v9
	v_cmp_le_i32_e32 vcc, s54, v9
	s_waitcnt vmcnt(0)
	ds_write_b64 v8, v[6:7]
	s_or_b64 s[42:43], vcc, s[42:43]
	v_add_u32_e32 v8, 32, v8
	s_andn2_b64 exec, exec, s[42:43]
	s_cbranch_execz .LBB52_64
.LBB52_54:                              ;   Parent Loop BB52_22 Depth=1
                                        ; =>  This Inner Loop Header: Depth=2
	s_and_b64 vcc, exec, s[34:35]
	s_cbranch_vccz .LBB52_59
; %bb.55:                               ;   in Loop: Header=BB52_54 Depth=2
	s_mov_b64 s[46:47], 0
	s_mov_b64 s[44:45], 0
                                        ; implicit-def: $vgpr4
	s_and_saveexec_b64 s[48:49], s[2:3]
	s_xor_b64 s[48:49], exec, s[48:49]
; %bb.56:                               ;   in Loop: Header=BB52_54 Depth=2
	v_add_u32_e32 v4, s31, v9
	s_mov_b64 s[44:45], exec
	v_mad_u64_u32 v[4:5], s[52:53], v4, s54, v[0:1]
; %bb.57:                               ;   in Loop: Header=BB52_54 Depth=2
	s_or_b64 exec, exec, s[48:49]
	s_mov_b32 s48, 0
	s_and_b64 vcc, exec, s[46:47]
	s_cbranch_vccnz .LBB52_60
.LBB52_58:                              ;   in Loop: Header=BB52_54 Depth=2
	v_mov_b32_e32 v6, s48
	v_mov_b32_e32 v7, s48
	s_and_saveexec_b64 s[46:47], s[44:45]
	s_cbranch_execz .LBB52_53
	s_branch .LBB52_63
.LBB52_59:                              ;   in Loop: Header=BB52_54 Depth=2
	s_mov_b64 s[44:45], 0
                                        ; implicit-def: $vgpr4
                                        ; implicit-def: $sgpr48
	s_cbranch_execz .LBB52_58
.LBB52_60:                              ;   in Loop: Header=BB52_54 Depth=2
                                        ; implicit-def: $vgpr4
	s_and_saveexec_b64 s[46:47], s[2:3]
; %bb.61:                               ;   in Loop: Header=BB52_54 Depth=2
	v_add_u32_e32 v4, v3, v9
	s_or_b64 s[44:45], s[44:45], exec
; %bb.62:                               ;   in Loop: Header=BB52_54 Depth=2
	s_or_b64 exec, exec, s[46:47]
	s_mov_b32 s48, 0
	v_mov_b32_e32 v6, s48
	v_mov_b32_e32 v7, s48
	s_and_saveexec_b64 s[46:47], s[44:45]
	s_cbranch_execz .LBB52_53
.LBB52_63:                              ;   in Loop: Header=BB52_54 Depth=2
	v_ashrrev_i32_e32 v5, 31, v4
	v_lshlrev_b64 v[4:5], 3, v[4:5]
	v_mov_b32_e32 v6, s29
	v_add_co_u32_e32 v4, vcc, s28, v4
	v_addc_co_u32_e32 v5, vcc, v6, v5, vcc
	global_load_dwordx2 v[6:7], v[4:5], off
	s_branch .LBB52_53
.LBB52_64:                              ;   in Loop: Header=BB52_22 Depth=1
	s_or_b64 exec, exec, s[12:13]
; %bb.65:                               ;   in Loop: Header=BB52_22 Depth=1
	s_cmp_lt_i32 s50, 2
	s_cbranch_scc1 .LBB52_81
; %bb.66:                               ;   in Loop: Header=BB52_22 Depth=1
	s_add_i32 s46, s50, -2
	s_mov_b32 s47, 0
	s_branch .LBB52_68
.LBB52_67:                              ;   in Loop: Header=BB52_68 Depth=2
	s_or_b64 exec, exec, s[12:13]
	s_add_i32 s12, s47, 1
	s_cmp_eq_u32 s47, s46
	s_mov_b32 s47, s12
	s_cbranch_scc1 .LBB52_81
.LBB52_68:                              ;   Parent Loop BB52_22 Depth=1
                                        ; =>  This Loop Header: Depth=2
                                        ;       Child Loop BB52_71 Depth 3
	s_and_saveexec_b64 s[12:13], s[0:1]
	s_cbranch_execz .LBB52_67
; %bb.69:                               ;   in Loop: Header=BB52_68 Depth=2
	s_lshl_b32 s31, s47, 2
	v_mov_b32_e32 v3, s31
	ds_read2st64_b32 v[4:5], v3 offset0:34 offset1:35
	s_mov_b64 s[42:43], 0
	v_mov_b32_e32 v39, v1
	s_waitcnt lgkmcnt(0)
	v_add_u32_e32 v3, v5, v17
	v_add_u32_e32 v36, v0, v5
	;; [unrolled: 1-line block ×4, first 2 shown]
	s_branch .LBB52_71
.LBB52_70:                              ;   in Loop: Header=BB52_71 Depth=3
	v_lshlrev_b32_e32 v4, 3, v39
	v_mad_u32_u24 v6, v0, s58, v4
	ds_read_b64 v[4:5], v6 offset:2176
	v_add_u32_e32 v39, 4, v39
	v_cmp_le_i32_e32 vcc, s54, v39
	v_add_u32_e32 v37, 4, v37
	s_or_b64 s[42:43], vcc, s[42:43]
	s_waitcnt lgkmcnt(0)
	v_pk_add_f32 v[4:5], v[10:11], v[4:5]
	v_add_u32_e32 v38, s59, v38
	ds_write_b64 v6, v[4:5] offset:2176
	s_andn2_b64 exec, exec, s[42:43]
	s_cbranch_execz .LBB52_67
.LBB52_71:                              ;   Parent Loop BB52_22 Depth=1
                                        ;     Parent Loop BB52_68 Depth=2
                                        ; =>    This Inner Loop Header: Depth=3
	s_mov_b32 s31, s30
	s_mov_b32 s48, 0
	v_pk_mov_b32 v[8:9], s[30:31], s[30:31] op_sel:[0,1]
	v_mov_b32_e32 v4, v37
	v_mov_b32_e32 v6, v36
	s_and_b64 vcc, exec, s[34:35]
	s_cbranch_vccz .LBB52_75
.LBB52_72:                              ;   in Loop: Header=BB52_71 Depth=3
	v_ashrrev_i32_e32 v5, 31, v4
	v_lshlrev_b64 v[10:11], 3, v[4:5]
	v_mov_b32_e32 v5, s29
	v_add_co_u32_e32 v10, vcc, s28, v10
	v_addc_co_u32_e32 v11, vcc, v5, v11, vcc
	global_load_dwordx2 v[10:11], v[10:11], off
	v_mov_b32_e32 v12, 0
	v_mov_b32_e32 v14, 0
	s_and_saveexec_b64 s[44:45], s[2:3]
	s_cbranch_execz .LBB52_74
; %bb.73:                               ;   in Loop: Header=BB52_71 Depth=3
	v_ashrrev_i32_e32 v7, 31, v6
	v_lshlrev_b64 v[12:13], 3, v[6:7]
	v_mov_b32_e32 v5, s29
	v_add_co_u32_e32 v12, vcc, s28, v12
	v_addc_co_u32_e32 v13, vcc, v5, v13, vcc
	global_load_dwordx2 v[12:13], v[12:13], off
	s_waitcnt vmcnt(0)
	v_mov_b32_e32 v14, v13
.LBB52_74:                              ;   in Loop: Header=BB52_71 Depth=3
	s_or_b64 exec, exec, s[44:45]
	s_waitcnt vmcnt(0)
	v_pk_fma_f32 v[12:13], v[10:11], v[12:13], v[8:9] op_sel_hi:[1,0,1]
	v_pk_fma_f32 v[10:11], v[10:11], v[14:15], v[12:13] op_sel:[1,0,0] op_sel_hi:[0,0,1] neg_hi:[0,1,0]
	s_branch .LBB52_79
.LBB52_75:                              ;   in Loop: Header=BB52_71 Depth=3
                                        ; implicit-def: $vgpr10_vgpr11
	s_cbranch_execz .LBB52_79
; %bb.76:                               ;   in Loop: Header=BB52_71 Depth=3
	v_add_u32_e32 v10, s48, v38
	v_ashrrev_i32_e32 v11, 31, v10
	v_lshlrev_b64 v[10:11], 3, v[10:11]
	v_mov_b32_e32 v5, s29
	v_add_co_u32_e32 v10, vcc, s28, v10
	v_addc_co_u32_e32 v11, vcc, v5, v11, vcc
	global_load_dwordx2 v[10:11], v[10:11], off
	v_mov_b32_e32 v12, 0
	v_mov_b32_e32 v14, 0
	s_and_saveexec_b64 s[44:45], s[2:3]
	s_cbranch_execz .LBB52_78
; %bb.77:                               ;   in Loop: Header=BB52_71 Depth=3
	v_add_u32_e32 v12, s48, v3
	v_ashrrev_i32_e32 v13, 31, v12
	v_lshlrev_b64 v[12:13], 3, v[12:13]
	v_mov_b32_e32 v5, s29
	v_add_co_u32_e32 v12, vcc, s28, v12
	v_addc_co_u32_e32 v13, vcc, v5, v13, vcc
	global_load_dwordx2 v[12:13], v[12:13], off
	s_waitcnt vmcnt(0)
	v_mov_b32_e32 v14, v13
.LBB52_78:                              ;   in Loop: Header=BB52_71 Depth=3
	s_or_b64 exec, exec, s[44:45]
	s_waitcnt vmcnt(0)
	v_pk_fma_f32 v[8:9], v[10:11], v[12:13], v[8:9] op_sel_hi:[1,0,1]
	v_pk_fma_f32 v[10:11], v[10:11], v[14:15], v[8:9] op_sel:[1,0,0] op_sel_hi:[0,0,1] neg_hi:[0,1,0]
.LBB52_79:                              ;   in Loop: Header=BB52_71 Depth=3
	s_add_i32 s48, s48, 1
	v_add_u32_e32 v6, s54, v6
	s_cmp_eq_u32 s54, s48
	v_add_u32_e32 v4, s54, v4
	s_cbranch_scc1 .LBB52_70
; %bb.80:                               ;   in Loop: Header=BB52_71 Depth=3
	v_pk_mov_b32 v[8:9], v[10:11], v[10:11] op_sel:[0,1]
	s_and_b64 vcc, exec, s[34:35]
	s_cbranch_vccnz .LBB52_72
	s_branch .LBB52_75
.LBB52_81:                              ;   in Loop: Header=BB52_22 Depth=1
	s_andn2_b64 vcc, exec, s[36:37]
	s_waitcnt lgkmcnt(0)
	s_cbranch_vccnz .LBB52_101
; %bb.82:                               ;   in Loop: Header=BB52_22 Depth=1
	s_mov_b32 s31, 0
	s_mov_b32 s48, 0
	s_movk_i32 s49, 0x1100
	v_mov_b32_e32 v3, v28
	s_branch .LBB52_84
.LBB52_83:                              ;   in Loop: Header=BB52_84 Depth=2
	s_or_b64 exec, exec, s[12:13]
	s_add_i32 s48, s48, 1
	s_addk_i32 s31, 0x88
	s_add_i32 s49, s49, 8
	s_cmp_eq_u32 s48, s54
	v_add_u32_e32 v3, 8, v3
	s_waitcnt lgkmcnt(0)
	s_cbranch_scc1 .LBB52_101
.LBB52_84:                              ;   Parent Loop BB52_22 Depth=1
                                        ; =>  This Loop Header: Depth=2
                                        ;       Child Loop BB52_90 Depth 3
                                        ;       Child Loop BB52_94 Depth 3
	;; [unrolled: 1-line block ×3, first 2 shown]
	s_lshl_b32 s12, s48, 3
	s_mul_i32 s13, s48, 0x88
	s_add_i32 s13, s12, s13
	v_mov_b32_e32 v4, s13
	ds_read_b64 v[8:9], v4
	v_mov_b32_e32 v4, s12
	v_mad_u32_u24 v7, v0, s58, v4
	ds_read_b64 v[4:5], v7 offset:4352
	s_waitcnt lgkmcnt(1)
	v_cmp_neq_f32_e32 vcc, 0, v8
	v_cmp_neq_f32_e64 s[12:13], 0, v9
	s_or_b64 vcc, vcc, s[12:13]
	s_or_b64 s[12:13], vcc, s[4:5]
	v_cndmask_b32_e32 v6, 1.0, v8, vcc
	s_xor_b64 s[42:43], s[12:13], -1
	v_cndmask_b32_e32 v8, 0, v9, vcc
	s_and_saveexec_b64 s[12:13], s[42:43]
	s_cbranch_execz .LBB52_88
; %bb.85:                               ;   in Loop: Header=BB52_84 Depth=2
	v_mbcnt_lo_u32_b32 v6, exec_lo, 0
	v_mbcnt_hi_u32_b32 v6, exec_hi, v6
	v_cmp_eq_u32_e32 vcc, 0, v6
	s_and_saveexec_b64 s[42:43], vcc
	s_cbranch_execz .LBB52_87
; %bb.86:                               ;   in Loop: Header=BB52_84 Depth=2
	v_mov_b32_e32 v6, s60
	global_atomic_smin v2, v6, s[22:23]
.LBB52_87:                              ;   in Loop: Header=BB52_84 Depth=2
	s_or_b64 exec, exec, s[42:43]
	v_mov_b32_e32 v6, 1.0
	v_mov_b32_e32 v8, 0
.LBB52_88:                              ;   in Loop: Header=BB52_84 Depth=2
	s_or_b64 exec, exec, s[12:13]
	v_lshl_add_u32 v9, s48, 3, v32
	ds_read_b64 v[12:13], v9 offset:2176
	s_cmp_eq_u32 s48, 0
	s_waitcnt lgkmcnt(0)
	v_mov_b32_e32 v10, v13
	v_mov_b32_e32 v11, v12
	s_cbranch_scc1 .LBB52_91
; %bb.89:                               ;   in Loop: Header=BB52_84 Depth=2
	s_mov_b32 s12, 0
	v_mov_b32_e32 v9, v26
	s_mov_b32 s13, s31
.LBB52_90:                              ;   Parent Loop BB52_22 Depth=1
                                        ;     Parent Loop BB52_84 Depth=2
                                        ; =>    This Inner Loop Header: Depth=3
	v_mov_b32_e32 v14, s13
	ds_read_b64 v[12:13], v9
	ds_read_b64 v[36:37], v14
	s_add_i32 s12, s12, 1
	s_add_i32 s13, s13, 8
	v_add_u32_e32 v9, 8, v9
	s_cmp_ge_u32 s12, s48
	s_waitcnt lgkmcnt(0)
	v_pk_fma_f32 v[10:11], v[36:37], v[12:13], v[10:11] op_sel:[1,0,0] op_sel_hi:[0,0,1]
	v_pk_fma_f32 v[10:11], v[36:37], v[12:13], v[10:11] op_sel:[0,1,0] neg_lo:[0,1,0]
	s_cbranch_scc0 .LBB52_90
.LBB52_91:                              ;   in Loop: Header=BB52_84 Depth=2
	v_mul_f32_e32 v9, v8, v8
	v_fmac_f32_e32 v9, v6, v6
	v_div_scale_f32 v12, s[12:13], v9, v9, 1.0
	v_rcp_f32_e32 v13, v12
	v_div_scale_f32 v14, vcc, 1.0, v9, 1.0
	v_add_u32_e32 v7, 0x1100, v7
	v_fma_f32 v36, -v12, v13, 1.0
	v_fmac_f32_e32 v13, v36, v13
	v_mul_f32_e32 v36, v14, v13
	v_fma_f32 v37, -v12, v36, v14
	v_fmac_f32_e32 v36, v37, v13
	v_fma_f32 v12, -v12, v36, v14
	v_div_fmas_f32 v12, v12, v13, v36
	v_mov_b32_e32 v36, v5
	v_mov_b32_e32 v37, v4
	v_pk_add_f32 v[4:5], v[36:37], v[10:11] neg_lo:[0,1] neg_hi:[0,1]
	v_div_fixup_f32 v12, v12, v9, 1.0
	v_pk_mul_f32 v[8:9], v[8:9], v[4:5] op_sel:[0,1] op_sel_hi:[0,0] neg_lo:[0,1]
	v_pk_fma_f32 v[4:5], v[4:5], v[6:7], v[8:9] op_sel_hi:[1,0,1]
	v_pk_mul_f32 v[4:5], v[12:13], v[4:5] op_sel_hi:[0,1]
	v_mov_b32_e32 v8, v5
	v_mov_b32_e32 v9, v4
	ds_write_b64 v7, v[8:9]
	s_waitcnt lgkmcnt(0)
	s_and_saveexec_b64 s[12:13], s[0:1]
	s_cbranch_execz .LBB52_83
; %bb.92:                               ;   in Loop: Header=BB52_84 Depth=2
	s_mov_b64 s[44:45], -1
	v_mov_b32_e32 v8, v1
	v_mov_b32_e32 v9, v27
	;; [unrolled: 1-line block ×3, first 2 shown]
	s_and_saveexec_b64 s[42:43], s[38:39]
	s_cbranch_execz .LBB52_98
; %bb.93:                               ;   in Loop: Header=BB52_84 Depth=2
	v_mov_b32_e32 v6, v5
	v_mov_b32_e32 v7, v5
	;; [unrolled: 1-line block ×4, first 2 shown]
	s_mov_b64 s[44:45], 0
	v_mov_b32_e32 v10, v21
	v_mov_b32_e32 v11, v20
	;; [unrolled: 1-line block ×3, first 2 shown]
.LBB52_94:                              ;   Parent Loop BB52_22 Depth=1
                                        ;     Parent Loop BB52_84 Depth=2
                                        ; =>    This Inner Loop Header: Depth=3
	ds_read2_b64 v[36:39], v12 offset1:68
	ds_read2_b64 v[40:43], v11 offset1:4
	v_add_u32_e32 v10, -2, v10
	v_cmp_eq_u32_e32 vcc, 0, v10
	v_add_u32_e32 v12, 0x440, v12
	s_waitcnt lgkmcnt(1)
	v_mov_b32_e32 v44, v36
	v_mov_b32_e32 v45, v38
	;; [unrolled: 1-line block ×3, first 2 shown]
	s_waitcnt lgkmcnt(0)
	v_mov_b32_e32 v36, v40
	v_mov_b32_e32 v37, v42
	;; [unrolled: 1-line block ×3, first 2 shown]
	v_pk_fma_f32 v[36:37], v[6:7], v[44:45], v[36:37]
	v_pk_fma_f32 v[40:41], v[8:9], v[44:45], v[42:43]
	;; [unrolled: 1-line block ×3, first 2 shown]
	v_pk_fma_f32 v[38:39], v[6:7], v[38:39], v[40:41] neg_lo:[0,1,0] neg_hi:[0,1,0]
	v_mov_b32_e32 v40, v36
	v_mov_b32_e32 v41, v38
	;; [unrolled: 1-line block ×3, first 2 shown]
	ds_write2_b64 v11, v[40:41], v[38:39] offset1:4
	s_or_b64 s[44:45], vcc, s[44:45]
	v_add_u32_e32 v11, 64, v11
	s_andn2_b64 exec, exec, s[44:45]
	s_cbranch_execnz .LBB52_94
; %bb.95:                               ;   in Loop: Header=BB52_84 Depth=2
	s_or_b64 exec, exec, s[44:45]
	s_mov_b64 s[44:45], 0
	s_and_saveexec_b64 s[46:47], s[6:7]
	s_xor_b64 s[46:47], exec, s[46:47]
; %bb.96:                               ;   in Loop: Header=BB52_84 Depth=2
	s_mov_b64 s[44:45], exec
; %bb.97:                               ;   in Loop: Header=BB52_84 Depth=2
	s_or_b64 exec, exec, s[46:47]
	s_orn2_b64 s[44:45], s[44:45], exec
	v_mov_b32_e32 v8, v22
	v_mov_b32_e32 v9, v33
	;; [unrolled: 1-line block ×3, first 2 shown]
.LBB52_98:                              ;   in Loop: Header=BB52_84 Depth=2
	s_or_b64 exec, exec, s[42:43]
	s_and_b64 exec, exec, s[44:45]
	s_cbranch_execz .LBB52_83
; %bb.99:                               ;   in Loop: Header=BB52_84 Depth=2
	v_mov_b32_e32 v6, v5
	v_mov_b32_e32 v7, v4
	v_add_u32_e32 v10, v29, v10
	s_mov_b64 s[42:43], 0
	s_mov_b32 s44, s49
.LBB52_100:                             ;   Parent Loop BB52_22 Depth=1
                                        ;     Parent Loop BB52_84 Depth=2
                                        ; =>    This Inner Loop Header: Depth=3
	v_add_u32_e32 v11, s44, v9
	ds_read_b64 v[12:13], v10
	ds_read_b64 v[36:37], v11
	v_add_u32_e32 v8, 4, v8
	s_addk_i32 s44, 0x220
	v_cmp_le_i32_e32 vcc, s54, v8
	s_or_b64 s[42:43], vcc, s[42:43]
	s_waitcnt lgkmcnt(0)
	v_pk_fma_f32 v[12:13], v[6:7], v[36:37], v[12:13] op_sel_hi:[1,0,1]
	v_pk_fma_f32 v[12:13], v[4:5], v[36:37], v[12:13] op_sel:[0,1,0] neg_hi:[0,1,0]
	ds_write_b64 v10, v[12:13]
	v_add_u32_e32 v10, 32, v10
	s_andn2_b64 exec, exec, s[42:43]
	s_cbranch_execnz .LBB52_100
	s_branch .LBB52_83
.LBB52_101:                             ;   in Loop: Header=BB52_22 Depth=1
	s_and_saveexec_b64 s[42:43], s[0:1]
	s_cbranch_execz .LBB52_21
; %bb.102:                              ;   in Loop: Header=BB52_22 Depth=1
	v_mov_b32_e32 v3, v1
	s_and_saveexec_b64 s[12:13], s[8:9]
	s_cbranch_execz .LBB52_113
; %bb.103:                              ;   in Loop: Header=BB52_22 Depth=1
	s_mov_b64 s[44:45], 0
	v_mov_b32_e32 v6, v31
	v_mov_b32_e32 v7, v30
	;; [unrolled: 1-line block ×3, first 2 shown]
	s_branch .LBB52_106
.LBB52_104:                             ;   in Loop: Header=BB52_106 Depth=2
	ds_read_b64 v[8:9], v7
	v_ashrrev_i32_e32 v5, 31, v4
	v_lshlrev_b64 v[4:5], 3, v[4:5]
	v_mov_b32_e32 v10, s29
	v_add_co_u32_e32 v4, vcc, s28, v4
	v_addc_co_u32_e32 v5, vcc, v10, v5, vcc
	s_waitcnt lgkmcnt(0)
	global_store_dwordx2 v[4:5], v[8:9], off
.LBB52_105:                             ;   in Loop: Header=BB52_106 Depth=2
	s_or_b64 exec, exec, s[46:47]
	v_add_u32_e32 v6, -8, v6
	v_cmp_eq_u32_e32 vcc, 0, v6
	v_add_u32_e32 v3, 4, v3
	s_or_b64 s[44:45], vcc, s[44:45]
	v_add_u32_e32 v7, 32, v7
	s_andn2_b64 exec, exec, s[44:45]
	s_cbranch_execz .LBB52_112
.LBB52_106:                             ;   Parent Loop BB52_22 Depth=1
                                        ; =>  This Inner Loop Header: Depth=2
	s_and_saveexec_b64 s[46:47], s[2:3]
	s_cbranch_execz .LBB52_105
; %bb.107:                              ;   in Loop: Header=BB52_106 Depth=2
	s_andn2_b64 vcc, exec, s[34:35]
	s_cbranch_vccnz .LBB52_109
; %bb.108:                              ;   in Loop: Header=BB52_106 Depth=2
	v_add_u32_e32 v4, s41, v3
	v_mad_u64_u32 v[4:5], s[48:49], v4, s54, v[0:1]
	s_cbranch_execnz .LBB52_104
	s_branch .LBB52_110
.LBB52_109:                             ;   in Loop: Header=BB52_106 Depth=2
                                        ; implicit-def: $vgpr4
.LBB52_110:                             ;   in Loop: Header=BB52_106 Depth=2
	v_add_u32_e32 v4, v25, v3
	s_branch .LBB52_104
.LBB52_111:                             ;   in Loop: Header=BB52_22 Depth=1
                                        ; implicit-def: $sgpr40
                                        ; implicit-def: $vgpr25
	s_cbranch_execz .LBB52_22
	s_branch .LBB52_140
.LBB52_112:                             ;   in Loop: Header=BB52_22 Depth=1
	s_or_b64 exec, exec, s[44:45]
.LBB52_113:                             ;   in Loop: Header=BB52_22 Depth=1
	s_or_b64 exec, exec, s[12:13]
	s_and_b64 exec, exec, s[10:11]
	s_cbranch_execz .LBB52_21
; %bb.114:                              ;   in Loop: Header=BB52_22 Depth=1
	v_lshl_add_u32 v6, v3, 3, v26
	s_mov_b64 s[44:45], 0
	s_branch .LBB52_117
.LBB52_115:                             ;   in Loop: Header=BB52_117 Depth=2
	ds_read_b64 v[8:9], v6 offset:96
	v_ashrrev_i32_e32 v5, 31, v4
	v_lshlrev_b64 v[4:5], 3, v[4:5]
	v_mov_b32_e32 v7, s29
	v_add_co_u32_e32 v4, vcc, s28, v4
	v_addc_co_u32_e32 v5, vcc, v7, v5, vcc
	s_waitcnt lgkmcnt(0)
	global_store_dwordx2 v[4:5], v[8:9], off
.LBB52_116:                             ;   in Loop: Header=BB52_117 Depth=2
	s_or_b64 exec, exec, s[46:47]
	v_add_u32_e32 v3, 16, v3
	v_cmp_le_i32_e32 vcc, s54, v3
	s_or_b64 s[44:45], vcc, s[44:45]
	v_add_u32_e32 v6, 0x80, v6
	s_andn2_b64 exec, exec, s[44:45]
	s_cbranch_execz .LBB52_21
.LBB52_117:                             ;   Parent Loop BB52_22 Depth=1
                                        ; =>  This Inner Loop Header: Depth=2
	s_and_saveexec_b64 s[12:13], s[2:3]
	s_cbranch_execnz .LBB52_121
; %bb.118:                              ;   in Loop: Header=BB52_117 Depth=2
	s_or_b64 exec, exec, s[12:13]
	v_cmp_ne_u32_e64 s[12:13], 1, v35
	s_and_saveexec_b64 s[46:47], s[2:3]
	s_cbranch_execnz .LBB52_125
.LBB52_119:                             ;   in Loop: Header=BB52_117 Depth=2
	s_or_b64 exec, exec, s[46:47]
	s_and_saveexec_b64 s[46:47], s[2:3]
	s_cbranch_execnz .LBB52_129
.LBB52_120:                             ;   in Loop: Header=BB52_117 Depth=2
	s_or_b64 exec, exec, s[46:47]
	s_and_saveexec_b64 s[46:47], s[2:3]
	s_cbranch_execz .LBB52_116
	s_branch .LBB52_133
.LBB52_121:                             ;   in Loop: Header=BB52_117 Depth=2
	s_and_b64 vcc, exec, s[34:35]
	s_cbranch_vccz .LBB52_135
; %bb.122:                              ;   in Loop: Header=BB52_117 Depth=2
	v_add_u32_e32 v4, s41, v3
	v_mad_u64_u32 v[4:5], s[46:47], v4, s54, v[0:1]
	s_cbranch_execnz .LBB52_124
.LBB52_123:                             ;   in Loop: Header=BB52_117 Depth=2
	v_add_u32_e32 v4, v25, v3
.LBB52_124:                             ;   in Loop: Header=BB52_117 Depth=2
	ds_read_b64 v[8:9], v6
	v_ashrrev_i32_e32 v5, 31, v4
	v_lshlrev_b64 v[4:5], 3, v[4:5]
	v_mov_b32_e32 v7, s29
	v_add_co_u32_e32 v4, vcc, s28, v4
	v_addc_co_u32_e32 v5, vcc, v7, v5, vcc
	s_waitcnt lgkmcnt(0)
	global_store_dwordx2 v[4:5], v[8:9], off
	s_or_b64 exec, exec, s[12:13]
	v_cmp_ne_u32_e64 s[12:13], 1, v35
	s_and_saveexec_b64 s[46:47], s[2:3]
	s_cbranch_execz .LBB52_119
.LBB52_125:                             ;   in Loop: Header=BB52_117 Depth=2
	s_and_b64 vcc, exec, s[12:13]
	s_cbranch_vccnz .LBB52_136
; %bb.126:                              ;   in Loop: Header=BB52_117 Depth=2
	v_add3_u32 v4, v3, s41, 4
	v_mad_u64_u32 v[4:5], s[48:49], v4, s54, v[0:1]
	s_cbranch_execnz .LBB52_128
.LBB52_127:                             ;   in Loop: Header=BB52_117 Depth=2
	v_add3_u32 v4, v25, v3, 4
.LBB52_128:                             ;   in Loop: Header=BB52_117 Depth=2
	ds_read_b64 v[8:9], v6 offset:32
	v_ashrrev_i32_e32 v5, 31, v4
	v_lshlrev_b64 v[4:5], 3, v[4:5]
	v_mov_b32_e32 v7, s29
	v_add_co_u32_e32 v4, vcc, s28, v4
	v_addc_co_u32_e32 v5, vcc, v7, v5, vcc
	s_waitcnt lgkmcnt(0)
	global_store_dwordx2 v[4:5], v[8:9], off
	s_or_b64 exec, exec, s[46:47]
	s_and_saveexec_b64 s[46:47], s[2:3]
	s_cbranch_execz .LBB52_120
.LBB52_129:                             ;   in Loop: Header=BB52_117 Depth=2
	s_and_b64 vcc, exec, s[12:13]
	s_cbranch_vccnz .LBB52_137
; %bb.130:                              ;   in Loop: Header=BB52_117 Depth=2
	v_add3_u32 v4, v3, s41, 8
	v_mad_u64_u32 v[4:5], s[48:49], v4, s54, v[0:1]
	s_cbranch_execnz .LBB52_132
.LBB52_131:                             ;   in Loop: Header=BB52_117 Depth=2
	v_add3_u32 v4, v25, v3, 8
.LBB52_132:                             ;   in Loop: Header=BB52_117 Depth=2
	ds_read_b64 v[8:9], v6 offset:64
	v_ashrrev_i32_e32 v5, 31, v4
	v_lshlrev_b64 v[4:5], 3, v[4:5]
	v_mov_b32_e32 v7, s29
	v_add_co_u32_e32 v4, vcc, s28, v4
	v_addc_co_u32_e32 v5, vcc, v7, v5, vcc
	s_waitcnt lgkmcnt(0)
	global_store_dwordx2 v[4:5], v[8:9], off
	s_or_b64 exec, exec, s[46:47]
	s_and_saveexec_b64 s[46:47], s[2:3]
	s_cbranch_execz .LBB52_116
.LBB52_133:                             ;   in Loop: Header=BB52_117 Depth=2
	s_and_b64 vcc, exec, s[12:13]
	s_cbranch_vccnz .LBB52_138
; %bb.134:                              ;   in Loop: Header=BB52_117 Depth=2
	v_add3_u32 v4, v3, s41, 12
	v_mad_u64_u32 v[4:5], s[12:13], v4, s54, v[0:1]
	s_cbranch_execnz .LBB52_115
	s_branch .LBB52_139
.LBB52_135:                             ;   in Loop: Header=BB52_117 Depth=2
                                        ; implicit-def: $vgpr4
	s_branch .LBB52_123
.LBB52_136:                             ;   in Loop: Header=BB52_117 Depth=2
                                        ; implicit-def: $vgpr4
	s_branch .LBB52_127
.LBB52_137:                             ;   in Loop: Header=BB52_117 Depth=2
                                        ; implicit-def: $vgpr4
	s_branch .LBB52_131
.LBB52_138:                             ;   in Loop: Header=BB52_117 Depth=2
                                        ; implicit-def: $vgpr4
.LBB52_139:                             ;   in Loop: Header=BB52_117 Depth=2
	v_add3_u32 v4, v25, v3, 12
	s_branch .LBB52_115
.LBB52_140:
	v_cmp_gt_i32_e64 s[0:1], s54, v1
	s_and_saveexec_b64 s[4:5], s[0:1]
	s_cbranch_execz .LBB52_153
; %bb.141:
	s_mul_i32 s24, s33, s54
	v_add_u32_e32 v2, s24, v0
	s_cmp_lg_u32 s55, 0
	v_mul_lo_u32 v6, v2, s54
	v_mul_u32_u24_e32 v2, 0x88, v0
	v_lshlrev_b32_e32 v3, 3, v1
	s_movk_i32 s8, 0x1100
	s_cselect_b64 s[6:7], -1, 0
	v_cmp_gt_i32_e64 s[2:3], s54, v0
	v_add3_u32 v7, v2, v3, s8
	s_mov_b64 s[8:9], 0
	v_mov_b32_e32 v8, v1
	s_branch .LBB52_143
.LBB52_142:                             ;   in Loop: Header=BB52_143 Depth=1
	s_or_b64 exec, exec, s[12:13]
	v_add_u32_e32 v8, 4, v8
	v_cmp_le_i32_e32 vcc, s54, v8
	s_waitcnt vmcnt(0)
	ds_write_b64 v7, v[4:5]
	s_or_b64 s[8:9], vcc, s[8:9]
	v_add_u32_e32 v7, 32, v7
	s_andn2_b64 exec, exec, s[8:9]
	s_cbranch_execz .LBB52_153
.LBB52_143:                             ; =>This Inner Loop Header: Depth=1
	s_and_b64 vcc, exec, s[6:7]
	s_cbranch_vccz .LBB52_148
; %bb.144:                              ;   in Loop: Header=BB52_143 Depth=1
	s_mov_b64 s[12:13], 0
	s_mov_b64 s[10:11], 0
                                        ; implicit-def: $vgpr2
	s_and_saveexec_b64 s[16:17], s[2:3]
	s_xor_b64 s[16:17], exec, s[16:17]
; %bb.145:                              ;   in Loop: Header=BB52_143 Depth=1
	v_add_u32_e32 v2, s24, v8
	s_mov_b64 s[10:11], exec
	v_mad_u64_u32 v[2:3], s[26:27], v2, s54, v[0:1]
; %bb.146:                              ;   in Loop: Header=BB52_143 Depth=1
	s_or_b64 exec, exec, s[16:17]
	s_mov_b32 s16, 0
	s_and_b64 vcc, exec, s[12:13]
	s_cbranch_vccnz .LBB52_149
.LBB52_147:                             ;   in Loop: Header=BB52_143 Depth=1
	v_mov_b32_e32 v4, s16
	v_mov_b32_e32 v5, s16
	s_and_saveexec_b64 s[12:13], s[10:11]
	s_cbranch_execz .LBB52_142
	s_branch .LBB52_152
.LBB52_148:                             ;   in Loop: Header=BB52_143 Depth=1
	s_mov_b64 s[10:11], 0
                                        ; implicit-def: $vgpr2
                                        ; implicit-def: $sgpr16
	s_cbranch_execz .LBB52_147
.LBB52_149:                             ;   in Loop: Header=BB52_143 Depth=1
                                        ; implicit-def: $vgpr2
	s_and_saveexec_b64 s[12:13], s[2:3]
; %bb.150:                              ;   in Loop: Header=BB52_143 Depth=1
	v_add_u32_e32 v2, v6, v8
	s_or_b64 s[10:11], s[10:11], exec
; %bb.151:                              ;   in Loop: Header=BB52_143 Depth=1
	s_or_b64 exec, exec, s[12:13]
	s_mov_b32 s16, 0
	v_mov_b32_e32 v4, s16
	v_mov_b32_e32 v5, s16
	s_and_saveexec_b64 s[12:13], s[10:11]
	s_cbranch_execz .LBB52_142
.LBB52_152:                             ;   in Loop: Header=BB52_143 Depth=1
	v_ashrrev_i32_e32 v3, 31, v2
	v_lshlrev_b64 v[2:3], 3, v[2:3]
	v_mov_b32_e32 v4, s29
	v_add_co_u32_e32 v2, vcc, s28, v2
	v_addc_co_u32_e32 v3, vcc, v4, v3, vcc
	global_load_dwordx2 v[4:5], v[2:3], off
	s_branch .LBB52_142
.LBB52_153:
	s_or_b64 exec, exec, s[4:5]
; %bb.154:
	s_cmp_lt_i32 s54, 1
	s_waitcnt lgkmcnt(0)
	s_cbranch_scc1 .LBB52_185
; %bb.155:
	v_or_b32_e32 v2, v1, v0
	s_movk_i32 s34, 0x88
	v_mov_b32_e32 v3, 0x1980
	v_cmp_ne_u32_e64 s[2:3], 0, v2
	v_lshlrev_b32_e32 v2, 3, v0
	v_mul_u32_u24_e32 v10, 0x88, v0
	s_movk_i32 s35, 0x1100
	v_mad_u32_u24 v12, v0, s34, v3
	v_add3_u32 v11, v10, v2, s35
	v_add_u32_e32 v13, v12, v2
	v_lshrrev_b32_e32 v2, 2, v16
	v_add_u32_e32 v14, v12, v15
	v_add_u32_e32 v4, 1, v2
	v_add_u32_e32 v5, -1, v2
	v_lshl_add_u32 v2, v2, 5, v14
	v_or_b32_e32 v3, 4, v14
	s_movk_i32 s4, 0x53
	v_or_b32_e32 v7, 4, v2
	v_cmp_lt_u32_e32 vcc, s4, v16
	v_cmp_lt_u32_e64 s[4:5], v7, v3
	s_brev_b32 s6, -8
	v_cmp_lt_u32_e64 s[8:9], v2, v14
	v_lshrrev_b32_e32 v6, 1, v5
	v_cmp_lt_u32_e64 s[6:7], s6, v16
	s_or_b64 s[4:5], s[8:9], s[4:5]
	v_add_u32_e32 v6, 1, v6
	s_or_b64 s[4:5], s[4:5], s[6:7]
	v_and_b32_e32 v2, 0x7ffffffe, v4
	s_xor_b64 s[10:11], s[4:5], -1
	v_lshl_add_u32 v16, v2, 2, v1
	v_and_b32_e32 v17, 3, v6
	v_cmp_ne_u32_e64 s[8:9], v4, v2
	v_mov_b32_e32 v2, 0x1100
	s_mov_b32 s30, 0
	s_add_i32 s31, s20, s21
	v_cmp_lt_u32_e64 s[4:5], 5, v5
	v_and_b32_e32 v18, -4, v6
	v_cmp_ne_u32_e64 s[6:7], 0, v17
	s_and_b64 s[12:13], vcc, s[10:11]
	v_mul_u32_u24_e32 v19, 0x88, v1
	v_mad_u32_u24 v20, v1, s34, v2
	s_mov_b32 s36, 0xf800000
	v_mov_b32_e32 v21, 0x260
	v_mov_b32_e32 v3, 0
	s_movk_i32 s37, 0x220
	v_mul_lo_u32 v22, v16, s34
	v_lshlrev_b32_e32 v23, 3, v16
	s_branch .LBB52_157
.LBB52_156:                             ;   in Loop: Header=BB52_157 Depth=1
	s_or_b64 exec, exec, s[10:11]
	s_add_i32 s30, s30, 1
	s_add_i32 s35, s35, 8
	s_cmp_eq_u32 s30, s54
	v_add_u32_e32 v20, 8, v20
	s_waitcnt lgkmcnt(0)
	s_cbranch_scc1 .LBB52_185
.LBB52_157:                             ; =>This Loop Header: Depth=1
                                        ;     Child Loop BB52_174 Depth 2
                                        ;     Child Loop BB52_178 Depth 2
                                        ;     Child Loop BB52_184 Depth 2
	v_cmp_eq_u32_e32 vcc, s30, v0
	s_and_saveexec_b64 s[16:17], vcc
	s_cbranch_execz .LBB52_165
; %bb.158:                              ;   in Loop: Header=BB52_157 Depth=1
	ds_read_b64 v[4:5], v11
	ds_read_b64 v[6:7], v13
	s_waitcnt lgkmcnt(0)
	v_sub_f32_e32 v2, v4, v6
	v_sub_f32_e32 v6, v5, v7
	v_cmp_gt_f32_e32 vcc, 0, v2
	v_cndmask_b32_e64 v2, v2, -v2, vcc
	v_cmp_gt_f32_e32 vcc, 0, v6
	v_cndmask_b32_e64 v4, v6, -v6, vcc
	v_cmp_ngt_f32_e32 vcc, v2, v4
                                        ; implicit-def: $vgpr5
	s_and_saveexec_b64 s[10:11], vcc
	s_xor_b64 s[24:25], exec, s[10:11]
	s_cbranch_execz .LBB52_162
; %bb.159:                              ;   in Loop: Header=BB52_157 Depth=1
	v_cmp_neq_f32_e32 vcc, 0, v6
	v_mov_b32_e32 v5, 0
	s_and_saveexec_b64 s[26:27], vcc
	s_cbranch_execz .LBB52_161
; %bb.160:                              ;   in Loop: Header=BB52_157 Depth=1
	v_div_scale_f32 v5, s[10:11], v4, v4, v2
	v_rcp_f32_e32 v6, v5
	v_div_scale_f32 v7, vcc, v2, v4, v2
	v_fma_f32 v8, -v5, v6, 1.0
	v_fmac_f32_e32 v6, v8, v6
	v_mul_f32_e32 v8, v7, v6
	v_fma_f32 v9, -v5, v8, v7
	v_fmac_f32_e32 v8, v9, v6
	v_fma_f32 v5, -v5, v8, v7
	v_div_fmas_f32 v5, v5, v6, v8
	v_div_fixup_f32 v2, v5, v4, v2
	v_fma_f32 v2, v2, v2, 1.0
	v_mul_f32_e32 v5, 0x4f800000, v2
	v_cmp_gt_f32_e32 vcc, s36, v2
	v_cndmask_b32_e32 v2, v2, v5, vcc
	v_sqrt_f32_e32 v5, v2
	v_add_u32_e32 v6, -1, v5
	v_fma_f32 v7, -v6, v5, v2
	v_cmp_ge_f32_e64 s[10:11], 0, v7
	v_add_u32_e32 v7, 1, v5
	v_cndmask_b32_e64 v6, v5, v6, s[10:11]
	v_fma_f32 v5, -v7, v5, v2
	v_cmp_lt_f32_e64 s[10:11], 0, v5
	v_cndmask_b32_e64 v5, v6, v7, s[10:11]
	v_mul_f32_e32 v6, 0x37800000, v5
	v_cndmask_b32_e32 v5, v5, v6, vcc
	v_cmp_class_f32_e32 vcc, v2, v21
	v_cndmask_b32_e32 v2, v5, v2, vcc
	v_mul_f32_e32 v5, v4, v2
.LBB52_161:                             ;   in Loop: Header=BB52_157 Depth=1
	s_or_b64 exec, exec, s[26:27]
                                        ; implicit-def: $vgpr2
                                        ; implicit-def: $vgpr4
.LBB52_162:                             ;   in Loop: Header=BB52_157 Depth=1
	s_andn2_saveexec_b64 s[24:25], s[24:25]
	s_cbranch_execz .LBB52_164
; %bb.163:                              ;   in Loop: Header=BB52_157 Depth=1
	v_div_scale_f32 v5, s[10:11], v2, v2, v4
	v_rcp_f32_e32 v6, v5
	v_div_scale_f32 v7, vcc, v4, v2, v4
	v_fma_f32 v8, -v5, v6, 1.0
	v_fmac_f32_e32 v6, v8, v6
	v_mul_f32_e32 v8, v7, v6
	v_fma_f32 v9, -v5, v8, v7
	v_fmac_f32_e32 v8, v9, v6
	v_fma_f32 v5, -v5, v8, v7
	v_div_fmas_f32 v5, v5, v6, v8
	v_div_fixup_f32 v4, v5, v2, v4
	v_fma_f32 v4, v4, v4, 1.0
	v_mul_f32_e32 v5, 0x4f800000, v4
	v_cmp_gt_f32_e32 vcc, s36, v4
	v_cndmask_b32_e32 v4, v4, v5, vcc
	v_sqrt_f32_e32 v5, v4
	v_add_u32_e32 v6, -1, v5
	v_fma_f32 v7, -v6, v5, v4
	v_cmp_ge_f32_e64 s[10:11], 0, v7
	v_add_u32_e32 v7, 1, v5
	v_cndmask_b32_e64 v6, v5, v6, s[10:11]
	v_fma_f32 v5, -v7, v5, v4
	v_cmp_lt_f32_e64 s[10:11], 0, v5
	v_cndmask_b32_e64 v5, v6, v7, s[10:11]
	v_mul_f32_e32 v6, 0x37800000, v5
	v_cndmask_b32_e32 v5, v5, v6, vcc
	v_cmp_class_f32_e32 vcc, v4, v21
	v_cndmask_b32_e32 v4, v5, v4, vcc
	v_mul_f32_e32 v5, v2, v4
.LBB52_164:                             ;   in Loop: Header=BB52_157 Depth=1
	s_or_b64 exec, exec, s[24:25]
	v_mul_f32_e32 v2, 0x4f800000, v5
	v_cmp_gt_f32_e32 vcc, s36, v5
	v_cndmask_b32_e32 v2, v5, v2, vcc
	v_sqrt_f32_e32 v4, v2
	v_add_u32_e32 v5, -1, v4
	v_fma_f32 v7, -v5, v4, v2
	v_add_u32_e32 v6, 1, v4
	v_cmp_ge_f32_e64 s[10:11], 0, v7
	v_cndmask_b32_e64 v5, v4, v5, s[10:11]
	v_fma_f32 v4, -v6, v4, v2
	v_cmp_lt_f32_e64 s[10:11], 0, v4
	v_cndmask_b32_e64 v4, v5, v6, s[10:11]
	v_mul_f32_e32 v5, 0x37800000, v4
	v_cndmask_b32_e32 v4, v4, v5, vcc
	v_cmp_class_f32_e32 vcc, v2, v21
	v_cndmask_b32_e32 v2, v4, v2, vcc
	ds_write_b64 v11, v[2:3]
.LBB52_165:                             ;   in Loop: Header=BB52_157 Depth=1
	s_or_b64 exec, exec, s[16:17]
	s_lshl_b32 s10, s30, 3
	s_mul_i32 s11, s30, 0x88
	s_add_i32 s11, s11, s10
	v_mov_b32_e32 v2, s11
	s_waitcnt lgkmcnt(0)
	ds_read_b64 v[8:9], v2 offset:4352
	v_mov_b32_e32 v2, s10
	v_mad_u32_u24 v7, v0, s34, v2
	ds_read_b64 v[4:5], v7 offset:4352
	s_waitcnt lgkmcnt(1)
	v_cmp_neq_f32_e32 vcc, 0, v8
	v_cmp_neq_f32_e64 s[10:11], 0, v9
	s_or_b64 vcc, vcc, s[10:11]
	s_or_b64 s[10:11], vcc, s[2:3]
	v_cndmask_b32_e32 v2, 0, v9, vcc
	s_xor_b64 s[16:17], s[10:11], -1
	v_cndmask_b32_e32 v6, 1.0, v8, vcc
	s_and_saveexec_b64 s[10:11], s[16:17]
	s_cbranch_execz .LBB52_169
; %bb.166:                              ;   in Loop: Header=BB52_157 Depth=1
	v_mbcnt_lo_u32_b32 v2, exec_lo, 0
	v_mbcnt_hi_u32_b32 v2, exec_hi, v2
	v_cmp_eq_u32_e32 vcc, 0, v2
	s_and_saveexec_b64 s[16:17], vcc
	s_cbranch_execz .LBB52_168
; %bb.167:                              ;   in Loop: Header=BB52_157 Depth=1
	v_mov_b32_e32 v2, s31
	global_atomic_smin v3, v2, s[22:23]
.LBB52_168:                             ;   in Loop: Header=BB52_157 Depth=1
	s_or_b64 exec, exec, s[16:17]
	v_mov_b32_e32 v2, 0
	v_mov_b32_e32 v6, 1.0
.LBB52_169:                             ;   in Loop: Header=BB52_157 Depth=1
	s_or_b64 exec, exec, s[10:11]
	v_cmp_lt_u32_e32 vcc, s30, v0
	s_and_saveexec_b64 s[10:11], vcc
	s_cbranch_execz .LBB52_156
; %bb.170:                              ;   in Loop: Header=BB52_157 Depth=1
	v_mul_f32_e32 v24, v2, v2
	v_fmac_f32_e32 v24, v6, v6
	v_div_scale_f32 v8, s[16:17], v24, v24, 1.0
	v_rcp_f32_e32 v25, v8
	v_add_u32_e32 v28, 0x1100, v7
	v_lshl_add_u32 v7, s30, 3, v10
	v_fma_f32 v9, -v8, v25, 1.0
	v_fmac_f32_e32 v25, v9, v25
	v_div_scale_f32 v9, vcc, 1.0, v24, 1.0
	v_mul_f32_e32 v26, v9, v25
	v_fma_f32 v27, -v8, v26, v9
	v_fmac_f32_e32 v26, v27, v25
	v_fma_f32 v27, -v8, v26, v9
	ds_read_b64 v[8:9], v7 offset:6528
	v_div_fmas_f32 v7, v27, v25, v26
	s_waitcnt lgkmcnt(1)
	v_mov_b32_e32 v26, v5
	v_mov_b32_e32 v27, v4
	v_div_fixup_f32 v24, v7, v24, 1.0
	s_waitcnt lgkmcnt(0)
	v_pk_add_f32 v[4:5], v[26:27], v[8:9] op_sel:[0,1] op_sel_hi:[1,0] neg_lo:[0,1] neg_hi:[0,1]
	v_pk_mul_f32 v[8:9], v[2:3], v[4:5] op_sel:[0,1] op_sel_hi:[0,0] neg_lo:[0,1]
	v_pk_fma_f32 v[4:5], v[4:5], v[6:7], v[8:9] op_sel_hi:[1,0,1]
	v_pk_mul_f32 v[4:5], v[24:25], v[4:5] op_sel_hi:[0,1]
	v_mov_b32_e32 v6, v5
	v_mov_b32_e32 v7, v4
	ds_write_b64 v28, v[6:7]
	s_waitcnt lgkmcnt(0)
	s_and_b64 exec, exec, s[0:1]
	s_cbranch_execz .LBB52_156
; %bb.171:                              ;   in Loop: Header=BB52_157 Depth=1
	s_mov_b64 s[24:25], -1
	v_mov_b32_e32 v2, v1
	v_mov_b32_e32 v8, v19
	;; [unrolled: 1-line block ×3, first 2 shown]
	s_and_saveexec_b64 s[16:17], s[12:13]
	s_cbranch_execz .LBB52_182
; %bb.172:                              ;   in Loop: Header=BB52_157 Depth=1
	v_mov_b32_e32 v6, v5
	v_mov_b32_e32 v7, v5
	;; [unrolled: 1-line block ×5, first 2 shown]
	s_and_saveexec_b64 s[24:25], s[4:5]
	s_cbranch_execz .LBB52_176
; %bb.173:                              ;   in Loop: Header=BB52_157 Depth=1
	s_mov_b32 s38, 0
	s_mov_b64 s[26:27], 0
	v_mov_b32_e32 v2, v18
	v_mov_b32_e32 v24, v14
	;; [unrolled: 1-line block ×3, first 2 shown]
.LBB52_174:                             ;   Parent Loop BB52_157 Depth=1
                                        ; =>  This Inner Loop Header: Depth=2
	ds_read2_b64 v[26:29], v25 offset1:68
	ds_read2_b64 v[30:33], v24 offset1:4
	v_add_u32_e32 v38, 0x800, v25
	v_add_u32_e32 v2, -4, v2
	s_add_i32 s38, s38, 8
	s_waitcnt lgkmcnt(1)
	v_mov_b32_e32 v34, v26
	v_mov_b32_e32 v35, v28
	;; [unrolled: 1-line block ×3, first 2 shown]
	s_waitcnt lgkmcnt(0)
	v_mov_b32_e32 v26, v30
	v_mov_b32_e32 v27, v32
	;; [unrolled: 1-line block ×3, first 2 shown]
	v_pk_fma_f32 v[26:27], v[6:7], v[34:35], v[26:27]
	v_pk_fma_f32 v[30:31], v[8:9], v[28:29], v[26:27]
	;; [unrolled: 1-line block ×3, first 2 shown]
	v_pk_fma_f32 v[34:35], v[6:7], v[28:29], v[26:27] neg_lo:[0,1,0] neg_hi:[0,1,0]
	v_mov_b32_e32 v36, v30
	ds_read2_b64 v[26:29], v25 offset0:136 offset1:204
	v_mov_b32_e32 v37, v34
	v_mov_b32_e32 v34, v31
	ds_read2_b64 v[30:33], v24 offset0:8 offset1:12
	ds_write2_b64 v24, v[36:37], v[34:35] offset1:4
	s_waitcnt lgkmcnt(2)
	v_mov_b32_e32 v34, v26
	v_mov_b32_e32 v35, v28
	;; [unrolled: 1-line block ×3, first 2 shown]
	s_waitcnt lgkmcnt(1)
	v_mov_b32_e32 v26, v30
	v_mov_b32_e32 v27, v32
	;; [unrolled: 1-line block ×3, first 2 shown]
	v_pk_fma_f32 v[26:27], v[6:7], v[34:35], v[26:27]
	v_pk_fma_f32 v[30:31], v[8:9], v[28:29], v[26:27]
	;; [unrolled: 1-line block ×3, first 2 shown]
	v_pk_fma_f32 v[34:35], v[6:7], v[28:29], v[26:27] neg_lo:[0,1,0] neg_hi:[0,1,0]
	v_mov_b32_e32 v36, v30
	ds_read2_b64 v[26:29], v38 offset0:16 offset1:84
	v_mov_b32_e32 v37, v34
	v_mov_b32_e32 v34, v31
	ds_read2_b64 v[30:33], v24 offset0:16 offset1:20
	ds_write2_b64 v24, v[36:37], v[34:35] offset0:8 offset1:12
	s_waitcnt lgkmcnt(2)
	v_mov_b32_e32 v34, v26
	v_mov_b32_e32 v35, v28
	v_mov_b32_e32 v28, v27
	s_waitcnt lgkmcnt(1)
	v_mov_b32_e32 v26, v30
	v_mov_b32_e32 v27, v32
	;; [unrolled: 1-line block ×3, first 2 shown]
	v_pk_fma_f32 v[26:27], v[6:7], v[34:35], v[26:27]
	v_pk_fma_f32 v[30:31], v[8:9], v[28:29], v[26:27]
	;; [unrolled: 1-line block ×3, first 2 shown]
	v_pk_fma_f32 v[34:35], v[6:7], v[28:29], v[26:27] neg_lo:[0,1,0] neg_hi:[0,1,0]
	v_mov_b32_e32 v36, v30
	ds_read2_b64 v[26:29], v38 offset0:152 offset1:220
	v_mov_b32_e32 v37, v34
	v_mov_b32_e32 v34, v31
	ds_read2_b64 v[30:33], v24 offset0:24 offset1:28
	ds_write2_b64 v24, v[36:37], v[34:35] offset0:16 offset1:20
	s_waitcnt lgkmcnt(2)
	v_mov_b32_e32 v34, v26
	v_mov_b32_e32 v35, v28
	;; [unrolled: 1-line block ×3, first 2 shown]
	s_waitcnt lgkmcnt(1)
	v_mov_b32_e32 v26, v30
	v_mov_b32_e32 v27, v32
	;; [unrolled: 1-line block ×3, first 2 shown]
	v_pk_fma_f32 v[26:27], v[6:7], v[34:35], v[26:27]
	v_pk_fma_f32 v[30:31], v[8:9], v[34:35], v[32:33]
	;; [unrolled: 1-line block ×3, first 2 shown]
	v_pk_fma_f32 v[28:29], v[6:7], v[28:29], v[30:31] neg_lo:[0,1,0] neg_hi:[0,1,0]
	v_mov_b32_e32 v30, v26
	v_mov_b32_e32 v31, v28
	;; [unrolled: 1-line block ×3, first 2 shown]
	v_cmp_eq_u32_e32 vcc, 0, v2
	ds_write2_b64 v24, v[30:31], v[28:29] offset0:24 offset1:28
	v_add_u32_e32 v25, 0x1100, v25
	v_add_u32_e32 v24, 0x100, v24
	s_or_b64 s[26:27], vcc, s[26:27]
	v_mov_b32_e32 v26, s38
	s_andn2_b64 exec, exec, s[26:27]
	s_cbranch_execnz .LBB52_174
; %bb.175:                              ;   in Loop: Header=BB52_157 Depth=1
	s_or_b64 exec, exec, s[26:27]
.LBB52_176:                             ;   in Loop: Header=BB52_157 Depth=1
	s_or_b64 exec, exec, s[24:25]
	s_and_saveexec_b64 s[24:25], s[6:7]
	s_cbranch_execz .LBB52_179
; %bb.177:                              ;   in Loop: Header=BB52_157 Depth=1
	v_lshl_add_u32 v2, v26, 5, v14
	v_mul_lo_u32 v24, v26, s37
	s_mov_b64 s[26:27], 0
	v_mov_b32_e32 v25, v17
.LBB52_178:                             ;   Parent Loop BB52_157 Depth=1
                                        ; =>  This Inner Loop Header: Depth=2
	v_add_u32_e32 v30, v20, v24
	ds_read2_b64 v[26:29], v2 offset1:4
	ds_read2_b64 v[30:33], v30 offset1:68
	v_add_u32_e32 v25, -1, v25
	v_cmp_eq_u32_e32 vcc, 0, v25
	s_or_b64 s[26:27], vcc, s[26:27]
	s_waitcnt lgkmcnt(1)
	v_mov_b32_e32 v34, v26
	s_waitcnt lgkmcnt(0)
	v_mov_b32_e32 v36, v30
	v_mov_b32_e32 v37, v32
	v_mov_b32_e32 v35, v28
	v_mov_b32_e32 v28, v27
	v_mov_b32_e32 v32, v31
	v_pk_fma_f32 v[26:27], v[6:7], v[36:37], v[34:35]
	v_pk_fma_f32 v[28:29], v[8:9], v[36:37], v[28:29]
	;; [unrolled: 1-line block ×3, first 2 shown]
	v_pk_fma_f32 v[28:29], v[6:7], v[32:33], v[28:29] neg_lo:[0,1,0] neg_hi:[0,1,0]
	v_mov_b32_e32 v30, v26
	v_mov_b32_e32 v31, v28
	;; [unrolled: 1-line block ×3, first 2 shown]
	ds_write2_b64 v2, v[30:31], v[28:29] offset1:4
	v_add_u32_e32 v2, 64, v2
	v_add_u32_e32 v24, 0x440, v24
	s_andn2_b64 exec, exec, s[26:27]
	s_cbranch_execnz .LBB52_178
.LBB52_179:                             ;   in Loop: Header=BB52_157 Depth=1
	s_or_b64 exec, exec, s[24:25]
	s_mov_b64 s[24:25], 0
	s_and_saveexec_b64 s[26:27], s[8:9]
; %bb.180:                              ;   in Loop: Header=BB52_157 Depth=1
	s_mov_b64 s[24:25], exec
; %bb.181:                              ;   in Loop: Header=BB52_157 Depth=1
	s_or_b64 exec, exec, s[26:27]
	s_orn2_b64 s[24:25], s[24:25], exec
	v_mov_b32_e32 v2, v16
	v_mov_b32_e32 v8, v22
	;; [unrolled: 1-line block ×3, first 2 shown]
.LBB52_182:                             ;   in Loop: Header=BB52_157 Depth=1
	s_or_b64 exec, exec, s[16:17]
	s_and_b64 exec, exec, s[24:25]
	s_cbranch_execz .LBB52_156
; %bb.183:                              ;   in Loop: Header=BB52_157 Depth=1
	v_mov_b32_e32 v6, v5
	v_mov_b32_e32 v7, v4
	v_add_u32_e32 v9, v12, v9
	s_mov_b64 s[16:17], 0
	s_mov_b32 s24, s35
.LBB52_184:                             ;   Parent Loop BB52_157 Depth=1
                                        ; =>  This Inner Loop Header: Depth=2
	v_add_u32_e32 v26, s24, v8
	ds_read_b64 v[24:25], v9
	ds_read_b64 v[26:27], v26
	v_add_u32_e32 v2, 4, v2
	s_addk_i32 s24, 0x220
	v_cmp_le_i32_e32 vcc, s54, v2
	s_or_b64 s[16:17], vcc, s[16:17]
	s_waitcnt lgkmcnt(0)
	v_pk_fma_f32 v[24:25], v[6:7], v[26:27], v[24:25] op_sel_hi:[1,0,1]
	v_pk_fma_f32 v[24:25], v[4:5], v[26:27], v[24:25] op_sel:[0,1,0] neg_hi:[0,1,0]
	ds_write_b64 v9, v[24:25]
	v_add_u32_e32 v9, 32, v9
	s_andn2_b64 exec, exec, s[16:17]
	s_cbranch_execnz .LBB52_184
	s_branch .LBB52_156
.LBB52_185:
	s_and_saveexec_b64 s[2:3], s[0:1]
	s_cbranch_execz .LBB52_194
; %bb.186:
	s_mul_i32 s33, s33, s54
	v_add_u32_e32 v2, s33, v0
	s_cmp_lg_u32 s55, 0
	v_mul_lo_u32 v4, v2, s54
	v_mul_u32_u24_e32 v2, 0x88, v0
	s_movk_i32 s6, 0x1100
	v_cmp_gt_i32_e64 s[0:1], s54, v0
	s_cselect_b64 s[4:5], -1, 0
	v_add3_u32 v5, v2, v15, s6
	s_mov_b64 s[6:7], 0
	v_mov_b32_e32 v6, v1
	s_branch .LBB52_189
.LBB52_187:                             ;   in Loop: Header=BB52_189 Depth=1
	ds_read_b64 v[8:9], v5
	v_ashrrev_i32_e32 v3, 31, v2
	v_lshlrev_b64 v[2:3], 3, v[2:3]
	v_mov_b32_e32 v7, s29
	v_add_co_u32_e32 v2, vcc, s28, v2
	v_addc_co_u32_e32 v3, vcc, v7, v3, vcc
	s_waitcnt lgkmcnt(0)
	global_store_dwordx2 v[2:3], v[8:9], off
.LBB52_188:                             ;   in Loop: Header=BB52_189 Depth=1
	s_or_b64 exec, exec, s[8:9]
	v_add_u32_e32 v6, 4, v6
	v_cmp_le_i32_e32 vcc, s54, v6
	s_or_b64 s[6:7], vcc, s[6:7]
	v_add_u32_e32 v5, 32, v5
	s_andn2_b64 exec, exec, s[6:7]
	s_cbranch_execz .LBB52_194
.LBB52_189:                             ; =>This Inner Loop Header: Depth=1
	s_and_saveexec_b64 s[8:9], s[0:1]
	s_cbranch_execz .LBB52_188
; %bb.190:                              ;   in Loop: Header=BB52_189 Depth=1
	s_and_b64 vcc, exec, s[4:5]
	s_cbranch_vccz .LBB52_192
; %bb.191:                              ;   in Loop: Header=BB52_189 Depth=1
	v_add_u32_e32 v2, s33, v6
	v_mad_u64_u32 v[2:3], s[10:11], v2, s54, v[0:1]
	s_cbranch_execnz .LBB52_187
	s_branch .LBB52_193
.LBB52_192:                             ;   in Loop: Header=BB52_189 Depth=1
                                        ; implicit-def: $vgpr2
.LBB52_193:                             ;   in Loop: Header=BB52_189 Depth=1
	v_add_u32_e32 v2, v4, v6
	s_branch .LBB52_187
.LBB52_194:
	s_or_b64 exec, exec, s[2:3]
	v_or_b32_e32 v2, v1, v0
	v_cmp_eq_u32_e64 s[0:1], 0, v2
.LBB52_195:
	s_and_saveexec_b64 s[2:3], s[0:1]
	s_cbranch_execnz .LBB52_203
.LBB52_196:
	s_endpgm
.LBB52_197:
	s_mov_b64 s[0:1], 0
	s_cbranch_execz .LBB52_195
; %bb.198:
	v_or_b32_e32 v0, v1, v0
	v_cmp_eq_u32_e32 vcc, 0, v0
	s_and_saveexec_b64 s[2:3], vcc
	s_cbranch_execz .LBB52_202
; %bb.199:
	v_mbcnt_lo_u32_b32 v0, exec_lo, 0
	v_mbcnt_hi_u32_b32 v0, exec_hi, v0
	v_cmp_eq_u32_e32 vcc, 0, v0
	s_and_saveexec_b64 s[4:5], vcc
	s_cbranch_execz .LBB52_201
; %bb.200:
	s_add_i32 s6, s20, s21
	v_mov_b32_e32 v0, 0
	v_mov_b32_e32 v1, s6
	global_atomic_smin v0, v1, s[22:23]
.LBB52_201:
	s_or_b64 exec, exec, s[4:5]
	s_or_b64 s[0:1], s[0:1], exec
.LBB52_202:
	s_or_b64 exec, exec, s[2:3]
	s_and_saveexec_b64 s[2:3], s[0:1]
	s_cbranch_execz .LBB52_196
.LBB52_203:
	s_add_u32 s0, s18, s14
	s_addc_u32 s1, s19, s15
	v_mov_b32_e32 v0, 0
	v_mov_b32_e32 v1, 1
	s_waitcnt vmcnt(0)
	global_store_dword v0, v1, s[0:1]
	s_endpgm
	.section	.rodata,"a",@progbits
	.p2align	6, 0x0
	.amdhsa_kernel _ZN9rocsparseL18bsric0_9_16_kernelILi64ELi64ELi16E21rocsparse_complex_numIfEEEv20rocsparse_direction_iiPKiS5_PT2_S5_PiS5_S8_21rocsparse_index_base_
		.amdhsa_group_segment_fixed_size 9472
		.amdhsa_private_segment_fixed_size 0
		.amdhsa_kernarg_size 76
		.amdhsa_user_sgpr_count 6
		.amdhsa_user_sgpr_private_segment_buffer 1
		.amdhsa_user_sgpr_dispatch_ptr 0
		.amdhsa_user_sgpr_queue_ptr 0
		.amdhsa_user_sgpr_kernarg_segment_ptr 1
		.amdhsa_user_sgpr_dispatch_id 0
		.amdhsa_user_sgpr_flat_scratch_init 0
		.amdhsa_user_sgpr_kernarg_preload_length 0
		.amdhsa_user_sgpr_kernarg_preload_offset 0
		.amdhsa_user_sgpr_private_segment_size 0
		.amdhsa_uses_dynamic_stack 0
		.amdhsa_system_sgpr_private_segment_wavefront_offset 0
		.amdhsa_system_sgpr_workgroup_id_x 1
		.amdhsa_system_sgpr_workgroup_id_y 0
		.amdhsa_system_sgpr_workgroup_id_z 0
		.amdhsa_system_sgpr_workgroup_info 0
		.amdhsa_system_vgpr_workitem_id 1
		.amdhsa_next_free_vgpr 70
		.amdhsa_next_free_sgpr 64
		.amdhsa_accum_offset 72
		.amdhsa_reserve_vcc 1
		.amdhsa_reserve_flat_scratch 0
		.amdhsa_float_round_mode_32 0
		.amdhsa_float_round_mode_16_64 0
		.amdhsa_float_denorm_mode_32 3
		.amdhsa_float_denorm_mode_16_64 3
		.amdhsa_dx10_clamp 1
		.amdhsa_ieee_mode 1
		.amdhsa_fp16_overflow 0
		.amdhsa_tg_split 0
		.amdhsa_exception_fp_ieee_invalid_op 0
		.amdhsa_exception_fp_denorm_src 0
		.amdhsa_exception_fp_ieee_div_zero 0
		.amdhsa_exception_fp_ieee_overflow 0
		.amdhsa_exception_fp_ieee_underflow 0
		.amdhsa_exception_fp_ieee_inexact 0
		.amdhsa_exception_int_div_zero 0
	.end_amdhsa_kernel
	.section	.text._ZN9rocsparseL18bsric0_9_16_kernelILi64ELi64ELi16E21rocsparse_complex_numIfEEEv20rocsparse_direction_iiPKiS5_PT2_S5_PiS5_S8_21rocsparse_index_base_,"axG",@progbits,_ZN9rocsparseL18bsric0_9_16_kernelILi64ELi64ELi16E21rocsparse_complex_numIfEEEv20rocsparse_direction_iiPKiS5_PT2_S5_PiS5_S8_21rocsparse_index_base_,comdat
.Lfunc_end52:
	.size	_ZN9rocsparseL18bsric0_9_16_kernelILi64ELi64ELi16E21rocsparse_complex_numIfEEEv20rocsparse_direction_iiPKiS5_PT2_S5_PiS5_S8_21rocsparse_index_base_, .Lfunc_end52-_ZN9rocsparseL18bsric0_9_16_kernelILi64ELi64ELi16E21rocsparse_complex_numIfEEEv20rocsparse_direction_iiPKiS5_PT2_S5_PiS5_S8_21rocsparse_index_base_
                                        ; -- End function
	.section	.AMDGPU.csdata,"",@progbits
; Kernel info:
; codeLenInByte = 7868
; NumSgprs: 68
; NumVgprs: 70
; NumAgprs: 0
; TotalNumVgprs: 70
; ScratchSize: 0
; MemoryBound: 0
; FloatMode: 240
; IeeeMode: 1
; LDSByteSize: 9472 bytes/workgroup (compile time only)
; SGPRBlocks: 8
; VGPRBlocks: 8
; NumSGPRsForWavesPerEU: 68
; NumVGPRsForWavesPerEU: 70
; AccumOffset: 72
; Occupancy: 2
; WaveLimiterHint : 1
; COMPUTE_PGM_RSRC2:SCRATCH_EN: 0
; COMPUTE_PGM_RSRC2:USER_SGPR: 6
; COMPUTE_PGM_RSRC2:TRAP_HANDLER: 0
; COMPUTE_PGM_RSRC2:TGID_X_EN: 1
; COMPUTE_PGM_RSRC2:TGID_Y_EN: 0
; COMPUTE_PGM_RSRC2:TGID_Z_EN: 0
; COMPUTE_PGM_RSRC2:TIDIG_COMP_CNT: 1
; COMPUTE_PGM_RSRC3_GFX90A:ACCUM_OFFSET: 17
; COMPUTE_PGM_RSRC3_GFX90A:TG_SPLIT: 0
	.section	.text._ZN9rocsparseL19bsric0_17_32_kernelILi64ELi64ELi32E21rocsparse_complex_numIfEEEv20rocsparse_direction_iiPKiS5_PT2_S5_PiS5_S8_21rocsparse_index_base_,"axG",@progbits,_ZN9rocsparseL19bsric0_17_32_kernelILi64ELi64ELi32E21rocsparse_complex_numIfEEEv20rocsparse_direction_iiPKiS5_PT2_S5_PiS5_S8_21rocsparse_index_base_,comdat
	.globl	_ZN9rocsparseL19bsric0_17_32_kernelILi64ELi64ELi32E21rocsparse_complex_numIfEEEv20rocsparse_direction_iiPKiS5_PT2_S5_PiS5_S8_21rocsparse_index_base_ ; -- Begin function _ZN9rocsparseL19bsric0_17_32_kernelILi64ELi64ELi32E21rocsparse_complex_numIfEEEv20rocsparse_direction_iiPKiS5_PT2_S5_PiS5_S8_21rocsparse_index_base_
	.p2align	8
	.type	_ZN9rocsparseL19bsric0_17_32_kernelILi64ELi64ELi32E21rocsparse_complex_numIfEEEv20rocsparse_direction_iiPKiS5_PT2_S5_PiS5_S8_21rocsparse_index_base_,@function
_ZN9rocsparseL19bsric0_17_32_kernelILi64ELi64ELi32E21rocsparse_complex_numIfEEEv20rocsparse_direction_iiPKiS5_PT2_S5_PiS5_S8_21rocsparse_index_base_: ; @_ZN9rocsparseL19bsric0_17_32_kernelILi64ELi64ELi32E21rocsparse_complex_numIfEEEv20rocsparse_direction_iiPKiS5_PT2_S5_PiS5_S8_21rocsparse_index_base_
; %bb.0:
	s_load_dwordx8 s[16:23], s[4:5], 0x28
	s_mov_b32 s7, 0
	s_lshl_b64 s[0:1], s[6:7], 2
	v_and_b32_e32 v1, 0x3ff, v0
	v_bfe_u32 v0, v0, 10, 10
	s_waitcnt lgkmcnt(0)
	s_add_u32 s0, s20, s0
	s_addc_u32 s1, s21, s1
	s_load_dword s20, s[0:1], 0x0
	s_waitcnt lgkmcnt(0)
	s_ashr_i32 s21, s20, 31
	s_lshl_b64 s[14:15], s[20:21], 2
	s_add_u32 s0, s16, s14
	s_addc_u32 s1, s17, s15
	s_load_dword s33, s[0:1], 0x0
	s_load_dword s21, s[4:5], 0x48
	s_waitcnt lgkmcnt(0)
	s_cmp_lg_u32 s33, -1
	s_cbranch_scc0 .LBB53_185
; %bb.1:
	s_load_dwordx4 s[24:27], s[4:5], 0x10
	v_lshlrev_b32_e32 v3, 1, v0
	v_add_u32_e32 v4, v3, v1
	s_waitcnt lgkmcnt(0)
	s_add_u32 s0, s24, s14
	s_addc_u32 s1, s25, s15
	s_load_dword s28, s[0:1], 0x0
	s_waitcnt lgkmcnt(0)
	s_sub_i32 s58, s28, s21
	v_add_u32_e32 v2, s58, v4
	v_cmp_ge_i32_e32 vcc, s33, v2
	s_and_saveexec_b64 s[2:3], vcc
	s_cbranch_execz .LBB53_16
; %bb.2:
	v_add_u32_e32 v4, s28, v4
	v_subrev_u32_e32 v4, s21, v4
	v_add_u32_e32 v4, 64, v4
	s_add_i32 s0, s33, 1
	v_max_i32_e32 v4, s0, v4
	v_not_b32_e32 v5, v1
	v_add3_u32 v4, v4, s21, v5
	v_add_u32_e32 v3, s28, v3
	v_sub_u32_e32 v3, v4, v3
	s_movk_i32 s0, 0x640
	v_cmp_gt_u32_e32 vcc, s0, v3
	s_movk_i32 s0, 0x63f
	v_cmp_lt_u32_e64 s[0:1], s0, v3
	s_and_saveexec_b64 s[6:7], s[0:1]
	s_cbranch_execz .LBB53_13
; %bb.3:
	v_and_b32_e32 v4, 0xffffffc0, v3
	v_add_u32_e32 v4, v2, v4
	v_cmp_ge_i32_e64 s[0:1], v4, v2
	s_mov_b64 s[10:11], -1
	s_and_saveexec_b64 s[8:9], s[0:1]
	s_cbranch_execz .LBB53_12
; %bb.4:
	v_lshrrev_b32_e32 v14, 6, v3
	v_add_u32_e32 v4, -1, v14
	v_add_u32_e32 v3, 64, v2
	v_lshrrev_b32_e32 v5, 1, v4
	v_add_u32_e32 v15, 1, v5
	v_cmp_lt_u32_e64 s[0:1], 13, v4
	v_pk_mov_b32 v[4:5], v[2:3], v[2:3] op_sel:[0,1]
	s_and_saveexec_b64 s[10:11], s[0:1]
	s_cbranch_execz .LBB53_8
; %bb.5:
	v_and_b32_e32 v16, -8, v15
	s_mov_b64 s[12:13], 0
	v_mov_b32_e32 v17, s27
	v_pk_mov_b32 v[4:5], v[2:3], v[2:3] op_sel:[0,1]
.LBB53_6:                               ; =>This Inner Loop Header: Depth=1
	v_ashrrev_i32_e32 v21, 31, v4
	v_mov_b32_e32 v20, v4
	v_lshlrev_b64 v[20:21], 2, v[20:21]
	v_ashrrev_i32_e32 v19, 31, v5
	v_mov_b32_e32 v18, v5
	v_add_co_u32_e64 v20, s[0:1], s26, v20
	v_add_u32_e32 v6, 0x80, v4
	v_lshlrev_b64 v[18:19], 2, v[18:19]
	v_addc_co_u32_e64 v21, s[0:1], v17, v21, s[0:1]
	v_ashrrev_i32_e32 v7, 31, v6
	v_add_co_u32_e64 v18, s[0:1], s26, v18
	v_add_u32_e32 v8, 0x80, v5
	v_addc_co_u32_e64 v19, s[0:1], v17, v19, s[0:1]
	v_lshlrev_b64 v[42:43], 2, v[6:7]
	v_ashrrev_i32_e32 v9, 31, v8
	global_load_dword v3, v[20:21], off
	global_load_dword v7, v[18:19], off
	v_add_co_u32_e64 v18, s[0:1], s26, v42
	v_add_u32_e32 v10, 0x100, v4
	v_lshlrev_b64 v[44:45], 2, v[8:9]
	v_addc_co_u32_e64 v19, s[0:1], v17, v43, s[0:1]
	v_ashrrev_i32_e32 v11, 31, v10
	v_add_co_u32_e64 v20, s[0:1], s26, v44
	v_add_u32_e32 v12, 0x100, v5
	v_lshlrev_b64 v[46:47], 2, v[10:11]
	v_addc_co_u32_e64 v21, s[0:1], v17, v45, s[0:1]
	v_ashrrev_i32_e32 v13, 31, v12
	;; [unrolled: 5-line block ×12, first 2 shown]
	v_add_co_u32_e64 v62, s[0:1], s26, v66
	v_lshlrev_b64 v[68:69], 2, v[40:41]
	v_addc_co_u32_e64 v63, s[0:1], v17, v67, s[0:1]
	v_add_co_u32_e64 v64, s[0:1], s26, v68
	v_addc_co_u32_e64 v65, s[0:1], v17, v69, s[0:1]
	global_load_dword v9, v[20:21], off
	global_load_dword v11, v[18:19], off
	;; [unrolled: 1-line block ×14, first 2 shown]
	v_subrev_u32_e32 v19, s58, v4
	v_add_u32_e32 v16, -8, v16
	v_subrev_u32_e32 v18, s58, v5
	v_lshlrev_b32_e32 v19, 2, v19
	v_subrev_u32_e32 v6, s58, v6
	v_cmp_eq_u32_e64 s[0:1], 0, v16
	s_waitcnt vmcnt(14)
	v_subrev_u32_e32 v7, s21, v7
	v_subrev_u32_e32 v3, s21, v3
	v_add_u32_e32 v5, 0x400, v5
	v_add_u32_e32 v4, 0x400, v4
	v_lshlrev_b32_e32 v18, 2, v18
	v_subrev_u32_e32 v8, s58, v8
	v_subrev_u32_e32 v12, s58, v12
	;; [unrolled: 1-line block ×13, first 2 shown]
	v_lshlrev_b32_e32 v6, 2, v6
	s_or_b64 s[12:13], s[0:1], s[12:13]
	ds_write_b32 v19, v3 offset:25856
	ds_write_b32 v18, v7 offset:25856
	v_lshlrev_b32_e32 v8, 2, v8
	v_lshlrev_b32_e32 v10, 2, v10
	;; [unrolled: 1-line block ×13, first 2 shown]
	s_waitcnt vmcnt(13)
	v_subrev_u32_e32 v3, s21, v9
	s_waitcnt vmcnt(12)
	v_subrev_u32_e32 v7, s21, v11
	;; [unrolled: 2-line block ×14, first 2 shown]
	ds_write_b32 v6, v7 offset:25856
	ds_write_b32 v8, v3 offset:25856
	;; [unrolled: 1-line block ×14, first 2 shown]
	s_andn2_b64 exec, exec, s[12:13]
	s_cbranch_execnz .LBB53_6
; %bb.7:
	s_or_b64 exec, exec, s[12:13]
.LBB53_8:
	s_or_b64 exec, exec, s[10:11]
	v_and_b32_e32 v3, 7, v15
	v_cmp_ne_u32_e64 s[0:1], 0, v3
	s_and_saveexec_b64 s[10:11], s[0:1]
	s_cbranch_execz .LBB53_11
; %bb.9:
	s_mov_b64 s[12:13], 0
	v_mov_b32_e32 v6, s27
.LBB53_10:                              ; =>This Inner Loop Header: Depth=1
	v_ashrrev_i32_e32 v11, 31, v4
	v_mov_b32_e32 v10, v4
	v_lshlrev_b64 v[10:11], 2, v[10:11]
	v_ashrrev_i32_e32 v9, 31, v5
	v_mov_b32_e32 v8, v5
	v_add_co_u32_e64 v10, s[0:1], s26, v10
	v_lshlrev_b64 v[8:9], 2, v[8:9]
	v_addc_co_u32_e64 v11, s[0:1], v6, v11, s[0:1]
	v_add_co_u32_e64 v8, s[0:1], s26, v8
	v_addc_co_u32_e64 v9, s[0:1], v6, v9, s[0:1]
	global_load_dword v7, v[8:9], off
	global_load_dword v12, v[10:11], off
	v_add_u32_e32 v3, -1, v3
	v_subrev_u32_e32 v9, s58, v4
	v_cmp_eq_u32_e64 s[0:1], 0, v3
	v_subrev_u32_e32 v8, s58, v5
	v_add_u32_e32 v5, 0x80, v5
	v_add_u32_e32 v4, 0x80, v4
	v_lshlrev_b32_e32 v9, 2, v9
	s_or_b64 s[12:13], s[0:1], s[12:13]
	v_lshlrev_b32_e32 v8, 2, v8
	s_waitcnt vmcnt(1)
	v_subrev_u32_e32 v7, s21, v7
	s_waitcnt vmcnt(0)
	v_subrev_u32_e32 v10, s21, v12
	ds_write_b32 v9, v10 offset:25856
	ds_write_b32 v8, v7 offset:25856
	s_andn2_b64 exec, exec, s[12:13]
	s_cbranch_execnz .LBB53_10
.LBB53_11:
	s_or_b64 exec, exec, s[10:11]
	v_add_u32_e32 v3, 1, v14
	v_and_b32_e32 v4, 0x7fffffe, v3
	v_cmp_ne_u32_e64 s[0:1], v3, v4
	v_lshl_add_u32 v2, v4, 6, v2
	s_orn2_b64 s[10:11], s[0:1], exec
.LBB53_12:
	s_or_b64 exec, exec, s[8:9]
	s_andn2_b64 s[0:1], vcc, exec
	s_and_b64 s[8:9], s[10:11], exec
	s_or_b64 vcc, s[0:1], s[8:9]
.LBB53_13:
	s_or_b64 exec, exec, s[6:7]
	s_and_b64 exec, exec, vcc
	s_cbranch_execz .LBB53_16
; %bb.14:
	v_add_u32_e32 v3, s21, v2
	v_subrev_u32_e32 v3, s28, v3
	v_mov_b32_e32 v4, 0x6500
	v_lshl_add_u32 v4, v3, 2, v4
	s_mov_b64 s[0:1], 0
	v_mov_b32_e32 v5, s27
.LBB53_15:                              ; =>This Inner Loop Header: Depth=1
	v_ashrrev_i32_e32 v3, 31, v2
	v_lshlrev_b64 v[6:7], 2, v[2:3]
	v_add_co_u32_e32 v6, vcc, s26, v6
	v_addc_co_u32_e32 v7, vcc, v5, v7, vcc
	global_load_dword v3, v[6:7], off
	v_add_u32_e32 v2, 64, v2
	v_cmp_lt_i32_e32 vcc, s33, v2
	s_or_b64 s[0:1], vcc, s[0:1]
	s_waitcnt vmcnt(0)
	v_subrev_u32_e32 v3, s21, v3
	ds_write_b32 v4, v3
	v_add_u32_e32 v4, 0x100, v4
	s_andn2_b64 exec, exec, s[0:1]
	s_cbranch_execnz .LBB53_15
.LBB53_16:
	s_or_b64 exec, exec, s[2:3]
	s_load_dwordx2 s[28:29], s[4:5], 0x20
	v_cmp_gt_u32_e32 vcc, 32, v1
	v_lshlrev_b32_e32 v15, 3, v1
	s_and_saveexec_b64 s[0:1], vcc
	s_cbranch_execz .LBB53_19
; %bb.17:
	v_mul_u32_u24_e32 v2, 0x108, v0
	v_lshlrev_b32_e32 v3, 3, v1
	s_movk_i32 s2, 0x4200
	v_add3_u32 v5, v2, v3, s2
	v_mov_b32_e32 v2, 0
	v_add_u32_e32 v4, -2, v1
	s_mov_b64 s[2:3], 0
	v_mov_b32_e32 v3, v2
.LBB53_18:                              ; =>This Inner Loop Header: Depth=1
	v_add_u32_e32 v4, 2, v4
	v_cmp_lt_u32_e32 vcc, 29, v4
	ds_write_b64 v5, v[2:3]
	s_or_b64 s[2:3], vcc, s[2:3]
	v_add_u32_e32 v5, 16, v5
	s_andn2_b64 exec, exec, s[2:3]
	s_cbranch_execnz .LBB53_18
.LBB53_19:
	s_or_b64 exec, exec, s[0:1]
	s_load_dword s56, s[4:5], 0x8
	s_load_dword s57, s[4:5], 0x0
	s_cmp_ge_i32 s58, s33
	s_waitcnt lgkmcnt(0)
	v_cmp_gt_i32_e64 s[0:1], s56, v1
	v_xad_u32 v16, v1, -1, s56
	s_cbranch_scc1 .LBB53_128
; %bb.20:
	v_lshlrev_b32_e32 v18, 3, v1
	s_movk_i32 s60, 0x108
	v_or_b32_e32 v2, v1, v0
	v_mad_u32_u24 v19, v0, s60, v18
	v_cmp_ne_u32_e64 s[4:5], 0, v2
	v_lshrrev_b32_e32 v2, 1, v16
	v_add_u32_e32 v20, 0x4200, v19
	s_cmp_eq_u32 s57, 0
	v_add_u32_e32 v4, 1, v2
	v_lshl_add_u32 v2, v2, 4, v20
	s_cselect_b64 s[34:35], -1, 0
	s_cmp_lg_u32 s57, 0
	v_add_u32_e32 v3, 0x4204, v19
	v_or_b32_e32 v5, 4, v2
	s_cselect_b64 s[36:37], -1, 0
	s_cmp_gt_i32 s56, 0
	v_cmp_lt_u32_e64 s[6:7], v5, v3
	s_brev_b32 s8, -8
	v_cmp_lt_u32_e64 s[10:11], v2, v20
	v_cmp_lt_u32_e64 s[8:9], s8, v16
	s_cselect_b64 s[38:39], -1, 0
	s_or_b64 s[6:7], s[10:11], s[6:7]
	s_or_b64 s[6:7], s[6:7], s[8:9]
	v_cmp_lt_u32_e32 vcc, 41, v16
	s_xor_b64 s[12:13], s[6:7], -1
	s_and_b64 s[40:41], vcc, s[12:13]
	s_mul_i32 s12, s56, s58
	v_add_u32_e32 v3, s12, v0
	v_and_b32_e32 v21, -2, v4
	v_mul_lo_u32 v24, s56, v3
	v_mov_b32_e32 v3, 0x2100
	v_lshl_add_u32 v22, v21, 1, v1
	v_and_b32_e32 v2, 3, v4
	v_mad_u32_u24 v25, v0, s60, v3
	v_mad_u32_u24 v27, v1, s60, v3
	v_mov_b32_e32 v3, 0x4200
	s_mul_i32 s59, s56, s56
	s_mov_b32 s30, 0
	v_cmp_gt_i32_e64 s[2:3], s56, v0
	v_mul_lo_u32 v17, v0, s56
	v_cmp_ne_u32_e64 s[6:7], v4, v21
	v_cmp_ne_u32_e64 s[8:9], 0, v2
	v_cmp_lt_u32_e64 s[10:11], 5, v16
	v_mul_lo_u32 v23, v1, s56
	s_lshl_b32 s61, s56, 1
	v_mul_u32_u24_e32 v26, 0x108, v1
	v_mad_u32_u24 v28, v0, s60, v3
	v_add_u32_e32 v29, 0x2100, v19
	v_lshlrev_b32_e32 v30, 3, v2
	v_mov_b32_e32 v2, 0
	v_mul_u32_u24_e32 v31, 0x108, v0
	v_mul_lo_u32 v32, v22, s60
	v_lshlrev_b32_e32 v33, 3, v22
	v_cndmask_b32_e64 v34, 0, 1, s[36:37]
	s_mov_b32 s42, s58
	s_branch .LBB53_22
.LBB53_21:                              ;   in Loop: Header=BB53_22 Depth=1
	s_or_b64 exec, exec, s[44:45]
	s_add_i32 s42, s42, 1
	s_cmp_ge_i32 s42, s33
	s_waitcnt vmcnt(0)
	buffer_wbinvl1_vol
	v_add_u32_e32 v24, s59, v24
	s_cselect_b64 s[12:13], -1, 0
	s_and_b64 vcc, exec, s[12:13]
	s_cbranch_vccnz .LBB53_128
.LBB53_22:                              ; =>This Loop Header: Depth=1
                                        ;     Child Loop BB53_26 Depth 2
                                        ;     Child Loop BB53_39 Depth 2
	;; [unrolled: 1-line block ×4, first 2 shown]
                                        ;       Child Loop BB53_57 Depth 3
                                        ;     Child Loop BB53_70 Depth 2
                                        ;       Child Loop BB53_77 Depth 3
                                        ;       Child Loop BB53_82 Depth 3
	;; [unrolled: 1-line block ×3, first 2 shown]
                                        ;     Child Loop BB53_94 Depth 2
                                        ;     Child Loop BB53_105 Depth 2
	s_ashr_i32 s43, s42, 31
	s_lshl_b64 s[12:13], s[42:43], 2
	s_add_u32 s12, s26, s12
	s_addc_u32 s13, s27, s13
	s_load_dword s62, s[12:13], 0x0
	s_waitcnt lgkmcnt(0)
	s_sub_i32 s44, s62, s21
	s_ashr_i32 s45, s44, 31
	s_lshl_b64 s[12:13], s[44:45], 2
	s_add_u32 s46, s16, s12
	s_addc_u32 s47, s17, s13
	s_load_dword s63, s[46:47], 0x0
	s_waitcnt lgkmcnt(0)
	s_cmp_eq_u32 s63, -1
	s_cbranch_scc1 .LBB53_99
; %bb.23:                               ;   in Loop: Header=BB53_22 Depth=1
	s_add_u32 s46, s24, s12
	s_addc_u32 s47, s25, s13
	s_load_dword s31, s[46:47], 0x0
	s_mul_i32 s43, s42, s56
	s_and_saveexec_b64 s[46:47], s[0:1]
	s_cbranch_execz .LBB53_36
; %bb.24:                               ;   in Loop: Header=BB53_22 Depth=1
	s_mov_b64 s[48:49], 0
	v_mov_b32_e32 v8, v19
	v_mov_b32_e32 v9, v1
	s_branch .LBB53_26
.LBB53_25:                              ;   in Loop: Header=BB53_26 Depth=2
	s_or_b64 exec, exec, s[52:53]
	v_add_u32_e32 v9, 2, v9
	v_mov_b32_e32 v3, v2
	v_cmp_le_i32_e32 vcc, s56, v9
	s_waitcnt vmcnt(0)
	ds_write_b64 v8, v[6:7] offset:8448
	ds_write_b64 v8, v[2:3]
	s_or_b64 s[48:49], vcc, s[48:49]
	v_add_u32_e32 v8, 16, v8
	s_andn2_b64 exec, exec, s[48:49]
	s_cbranch_execz .LBB53_36
.LBB53_26:                              ;   Parent Loop BB53_22 Depth=1
                                        ; =>  This Inner Loop Header: Depth=2
	s_and_b64 vcc, exec, s[36:37]
	s_cbranch_vccz .LBB53_30
; %bb.27:                               ;   in Loop: Header=BB53_26 Depth=2
	s_mov_b64 s[52:53], 0
	s_mov_b64 s[50:51], 0
                                        ; implicit-def: $vgpr4
	s_and_saveexec_b64 s[54:55], s[2:3]
	s_xor_b64 s[54:55], exec, s[54:55]
; %bb.28:                               ;   in Loop: Header=BB53_26 Depth=2
	v_add_u32_e32 v3, s43, v9
	s_mov_b64 s[50:51], exec
	v_mad_u64_u32 v[4:5], s[64:65], v3, s56, v[0:1]
; %bb.29:                               ;   in Loop: Header=BB53_26 Depth=2
	s_or_b64 exec, exec, s[54:55]
	s_mov_b32 s45, 0
	s_and_b64 vcc, exec, s[52:53]
	s_cbranch_vccnz .LBB53_31
	s_branch .LBB53_34
.LBB53_30:                              ;   in Loop: Header=BB53_26 Depth=2
	s_mov_b64 s[50:51], 0
                                        ; implicit-def: $vgpr4
                                        ; implicit-def: $sgpr45
	s_cbranch_execz .LBB53_34
.LBB53_31:                              ;   in Loop: Header=BB53_26 Depth=2
                                        ; implicit-def: $vgpr4
	s_and_saveexec_b64 s[52:53], s[2:3]
; %bb.32:                               ;   in Loop: Header=BB53_26 Depth=2
	v_add_u32_e32 v4, v24, v9
	s_or_b64 s[50:51], s[50:51], exec
; %bb.33:                               ;   in Loop: Header=BB53_26 Depth=2
	s_or_b64 exec, exec, s[52:53]
	s_mov_b32 s45, 0
.LBB53_34:                              ;   in Loop: Header=BB53_26 Depth=2
	v_mov_b32_e32 v6, s45
	v_mov_b32_e32 v7, s45
	s_and_saveexec_b64 s[52:53], s[50:51]
	s_cbranch_execz .LBB53_25
; %bb.35:                               ;   in Loop: Header=BB53_26 Depth=2
	v_ashrrev_i32_e32 v5, 31, v4
	v_lshlrev_b64 v[4:5], 3, v[4:5]
	v_mov_b32_e32 v3, s29
	v_add_co_u32_e32 v4, vcc, s28, v4
	v_addc_co_u32_e32 v5, vcc, v3, v5, vcc
	global_load_dwordx2 v[6:7], v[4:5], off
	s_branch .LBB53_25
.LBB53_36:                              ;   in Loop: Header=BB53_22 Depth=1
	s_or_b64 exec, exec, s[46:47]
; %bb.37:                               ;   in Loop: Header=BB53_22 Depth=1
	ds_read_b32 v3, v2 offset:25856
	s_waitcnt lgkmcnt(0)
	s_sub_i32 s46, s31, s21
	s_cmp_le_i32 s46, s63
	s_cselect_b64 s[48:49], -1, 0
	s_mov_b32 s47, 0
	v_cmp_ge_i32_e32 vcc, s44, v3
	s_and_b64 s[48:49], s[48:49], vcc
	s_andn2_b64 vcc, exec, s[48:49]
	s_cbranch_vccnz .LBB53_49
; %bb.38:                               ;   in Loop: Header=BB53_22 Depth=1
	s_mov_b32 s31, 0
	s_mov_b32 s45, 0
.LBB53_39:                              ;   Parent Loop BB53_22 Depth=1
                                        ; =>  This Inner Loop Header: Depth=2
	s_ashr_i32 s47, s46, 31
	s_lshl_b64 s[48:49], s[46:47], 2
	s_add_u32 s48, s26, s48
	s_addc_u32 s49, s27, s49
	s_load_dword s47, s[48:49], 0x0
	s_lshl_b32 s48, s45, 2
	v_mov_b32_e32 v3, s48
	ds_read_b32 v3, v3 offset:25856
	s_mov_b64 s[48:49], -1
	s_waitcnt lgkmcnt(0)
	s_sub_i32 s53, s47, s21
                                        ; implicit-def: $sgpr47
                                        ; implicit-def: $sgpr52
                                        ; implicit-def: $sgpr51
	v_cmp_ge_i32_e32 vcc, s53, v3
	v_readfirstlane_b32 s50, v3
	s_cbranch_vccz .LBB53_45
; %bb.40:                               ;   in Loop: Header=BB53_39 Depth=2
	s_cmp_le_i32 s53, s50
                                        ; implicit-def: $sgpr47
                                        ; implicit-def: $sgpr52
                                        ; implicit-def: $sgpr51
	s_cbranch_scc0 .LBB53_42
; %bb.41:                               ;   in Loop: Header=BB53_39 Depth=2
	s_add_i32 s47, s45, s58
	s_mul_i32 s47, s47, s59
	s_lshl_b32 s48, s31, 2
	v_mov_b32_e32 v4, s47
	s_mul_i32 s47, s46, s59
	v_mov_b32_e32 v3, s48
	v_mov_b32_e32 v5, s47
	ds_write2st64_b32 v3, v5, v4 offset0:99 offset1:100
	s_add_i32 s51, s45, 1
	s_add_i32 s52, s46, 1
	;; [unrolled: 1-line block ×3, first 2 shown]
	s_mov_b64 s[48:49], 0
.LBB53_42:                              ;   in Loop: Header=BB53_39 Depth=2
	s_andn2_b64 vcc, exec, s[48:49]
	s_cbranch_vccnz .LBB53_44
; %bb.43:                               ;   in Loop: Header=BB53_39 Depth=2
	s_add_i32 s51, s45, 1
	s_mov_b32 s47, s31
	s_mov_b32 s52, s46
.LBB53_44:                              ;   in Loop: Header=BB53_39 Depth=2
	s_mov_b64 s[48:49], 0
.LBB53_45:                              ;   in Loop: Header=BB53_39 Depth=2
	s_andn2_b64 vcc, exec, s[48:49]
	s_cbranch_vccnz .LBB53_47
; %bb.46:                               ;   in Loop: Header=BB53_39 Depth=2
	s_add_i32 s52, s46, 1
	s_mov_b32 s51, s45
	s_mov_b32 s47, s31
.LBB53_47:                              ;   in Loop: Header=BB53_39 Depth=2
	s_cmp_le_i32 s52, s63
	s_cselect_b64 s[48:49], -1, 0
	s_cmp_le_i32 s50, s44
	s_cselect_b64 s[54:55], -1, 0
	s_and_b64 s[48:49], s[48:49], s[54:55]
	s_and_b64 vcc, exec, s[48:49]
	s_cbranch_vccz .LBB53_49
; %bb.48:                               ;   in Loop: Header=BB53_39 Depth=2
	s_mov_b32 s31, s47
	s_mov_b32 s46, s52
	;; [unrolled: 1-line block ×3, first 2 shown]
	s_branch .LBB53_39
.LBB53_49:                              ;   in Loop: Header=BB53_22 Depth=1
	s_add_u32 s12, s18, s12
	s_addc_u32 s13, s19, s13
	s_waitcnt lgkmcnt(0)
.LBB53_50:                              ;   Parent Loop BB53_22 Depth=1
                                        ; =>  This Inner Loop Header: Depth=2
	global_load_dword v3, v2, s[12:13] glc
	s_waitcnt vmcnt(0)
	v_cmp_eq_u32_e32 vcc, 0, v3
	s_cbranch_vccnz .LBB53_50
; %bb.51:                               ;   in Loop: Header=BB53_22 Depth=1
	s_cmp_lt_i32 s47, 2
	buffer_wbinvl1_vol
	s_cbranch_scc1 .LBB53_67
; %bb.52:                               ;   in Loop: Header=BB53_22 Depth=1
	s_add_i32 s48, s47, -2
	s_mov_b32 s49, 0
	s_branch .LBB53_54
.LBB53_53:                              ;   in Loop: Header=BB53_54 Depth=2
	s_or_b64 exec, exec, s[12:13]
	s_add_i32 s12, s49, 1
	s_cmp_eq_u32 s49, s48
	s_mov_b32 s49, s12
	s_cbranch_scc1 .LBB53_67
.LBB53_54:                              ;   Parent Loop BB53_22 Depth=1
                                        ; =>  This Loop Header: Depth=2
                                        ;       Child Loop BB53_57 Depth 3
	s_and_saveexec_b64 s[12:13], s[0:1]
	s_cbranch_execz .LBB53_53
; %bb.55:                               ;   in Loop: Header=BB53_54 Depth=2
	s_lshl_b32 s31, s49, 2
	v_mov_b32_e32 v3, s31
	ds_read2st64_b32 v[4:5], v3 offset0:99 offset1:100
	s_mov_b64 s[44:45], 0
	v_mov_b32_e32 v38, v1
	s_waitcnt lgkmcnt(0)
	v_add_u32_e32 v3, v5, v17
	v_add_u32_e32 v35, v0, v5
	;; [unrolled: 1-line block ×4, first 2 shown]
	s_branch .LBB53_57
.LBB53_56:                              ;   in Loop: Header=BB53_57 Depth=3
	v_lshlrev_b32_e32 v4, 3, v38
	v_mad_u32_u24 v6, v0, s60, v4
	ds_read_b64 v[4:5], v6
	v_add_u32_e32 v38, 2, v38
	v_cmp_le_i32_e32 vcc, s56, v38
	v_add_u32_e32 v36, 2, v36
	s_or_b64 s[44:45], vcc, s[44:45]
	s_waitcnt lgkmcnt(0)
	v_pk_add_f32 v[4:5], v[10:11], v[4:5]
	v_add_u32_e32 v37, s61, v37
	ds_write_b64 v6, v[4:5]
	s_andn2_b64 exec, exec, s[44:45]
	s_cbranch_execz .LBB53_53
.LBB53_57:                              ;   Parent Loop BB53_22 Depth=1
                                        ;     Parent Loop BB53_54 Depth=2
                                        ; =>    This Inner Loop Header: Depth=3
	s_mov_b32 s31, s30
	s_mov_b32 s50, 0
	v_pk_mov_b32 v[8:9], s[30:31], s[30:31] op_sel:[0,1]
	v_mov_b32_e32 v4, v36
	v_mov_b32_e32 v6, v35
	s_and_b64 vcc, exec, s[36:37]
	s_cbranch_vccz .LBB53_61
.LBB53_58:                              ;   in Loop: Header=BB53_57 Depth=3
	v_ashrrev_i32_e32 v5, 31, v4
	v_lshlrev_b64 v[10:11], 3, v[4:5]
	v_mov_b32_e32 v5, s29
	v_add_co_u32_e32 v10, vcc, s28, v10
	v_addc_co_u32_e32 v11, vcc, v5, v11, vcc
	global_load_dwordx2 v[10:11], v[10:11], off
	v_mov_b32_e32 v12, 0
	v_mov_b32_e32 v14, 0
	s_and_saveexec_b64 s[46:47], s[2:3]
	s_cbranch_execz .LBB53_60
; %bb.59:                               ;   in Loop: Header=BB53_57 Depth=3
	v_ashrrev_i32_e32 v7, 31, v6
	v_lshlrev_b64 v[12:13], 3, v[6:7]
	v_mov_b32_e32 v5, s29
	v_add_co_u32_e32 v12, vcc, s28, v12
	v_addc_co_u32_e32 v13, vcc, v5, v13, vcc
	global_load_dwordx2 v[12:13], v[12:13], off
	s_waitcnt vmcnt(0)
	v_mov_b32_e32 v14, v13
.LBB53_60:                              ;   in Loop: Header=BB53_57 Depth=3
	s_or_b64 exec, exec, s[46:47]
	s_waitcnt vmcnt(0)
	v_pk_fma_f32 v[12:13], v[10:11], v[12:13], v[8:9] op_sel_hi:[1,0,1]
	v_pk_fma_f32 v[10:11], v[10:11], v[14:15], v[12:13] op_sel:[1,0,0] op_sel_hi:[0,0,1] neg_hi:[0,1,0]
	s_branch .LBB53_65
.LBB53_61:                              ;   in Loop: Header=BB53_57 Depth=3
                                        ; implicit-def: $vgpr10_vgpr11
	s_cbranch_execz .LBB53_65
; %bb.62:                               ;   in Loop: Header=BB53_57 Depth=3
	v_add_u32_e32 v10, s50, v37
	v_ashrrev_i32_e32 v11, 31, v10
	v_lshlrev_b64 v[10:11], 3, v[10:11]
	v_mov_b32_e32 v5, s29
	v_add_co_u32_e32 v10, vcc, s28, v10
	v_addc_co_u32_e32 v11, vcc, v5, v11, vcc
	global_load_dwordx2 v[10:11], v[10:11], off
	v_mov_b32_e32 v12, 0
	v_mov_b32_e32 v14, 0
	s_and_saveexec_b64 s[46:47], s[2:3]
	s_cbranch_execz .LBB53_64
; %bb.63:                               ;   in Loop: Header=BB53_57 Depth=3
	v_add_u32_e32 v12, s50, v3
	v_ashrrev_i32_e32 v13, 31, v12
	v_lshlrev_b64 v[12:13], 3, v[12:13]
	v_mov_b32_e32 v5, s29
	v_add_co_u32_e32 v12, vcc, s28, v12
	v_addc_co_u32_e32 v13, vcc, v5, v13, vcc
	global_load_dwordx2 v[12:13], v[12:13], off
	s_waitcnt vmcnt(0)
	v_mov_b32_e32 v14, v13
.LBB53_64:                              ;   in Loop: Header=BB53_57 Depth=3
	s_or_b64 exec, exec, s[46:47]
	s_waitcnt vmcnt(0)
	v_pk_fma_f32 v[8:9], v[10:11], v[12:13], v[8:9] op_sel_hi:[1,0,1]
	v_pk_fma_f32 v[10:11], v[10:11], v[14:15], v[8:9] op_sel:[1,0,0] op_sel_hi:[0,0,1] neg_hi:[0,1,0]
.LBB53_65:                              ;   in Loop: Header=BB53_57 Depth=3
	s_add_i32 s50, s50, 1
	v_add_u32_e32 v6, s56, v6
	s_cmp_eq_u32 s56, s50
	v_add_u32_e32 v4, s56, v4
	s_cbranch_scc1 .LBB53_56
; %bb.66:                               ;   in Loop: Header=BB53_57 Depth=3
	v_pk_mov_b32 v[8:9], v[10:11], v[10:11] op_sel:[0,1]
	s_and_b64 vcc, exec, s[36:37]
	s_cbranch_vccz .LBB53_61
	s_branch .LBB53_58
.LBB53_67:                              ;   in Loop: Header=BB53_22 Depth=1
	s_andn2_b64 vcc, exec, s[38:39]
	s_waitcnt lgkmcnt(0)
	s_cbranch_vccnz .LBB53_89
; %bb.68:                               ;   in Loop: Header=BB53_22 Depth=1
	s_mul_i32 s31, s59, s63
	s_mov_b32 s50, 0
	s_movk_i32 s51, 0x2100
	v_mov_b32_e32 v3, v27
	s_mov_b32 s52, s31
	s_branch .LBB53_70
.LBB53_69:                              ;   in Loop: Header=BB53_70 Depth=2
	s_or_b64 exec, exec, s[12:13]
	s_add_i32 s50, s50, 1
	s_add_i32 s52, s52, 1
	;; [unrolled: 1-line block ×3, first 2 shown]
	s_cmp_eq_u32 s50, s56
	v_add_u32_e32 v3, 8, v3
	s_waitcnt lgkmcnt(0)
	s_cbranch_scc1 .LBB53_89
.LBB53_70:                              ;   Parent Loop BB53_22 Depth=1
                                        ; =>  This Loop Header: Depth=2
                                        ;       Child Loop BB53_77 Depth 3
                                        ;       Child Loop BB53_82 Depth 3
	;; [unrolled: 1-line block ×3, first 2 shown]
	s_mul_i32 s46, s50, s56
	s_add_i32 s46, s46, s31
	s_add_i32 s12, s46, s50
	s_ashr_i32 s13, s12, 31
	s_lshl_b64 s[12:13], s[12:13], 3
	s_add_u32 s12, s28, s12
	s_addc_u32 s13, s29, s13
	global_load_dwordx2 v[8:9], v2, s[12:13]
	v_lshl_add_u32 v7, s50, 3, v31
	ds_read_b64 v[4:5], v7 offset:8448
	s_waitcnt vmcnt(0)
	v_cmp_neq_f32_e32 vcc, 0, v8
	v_cmp_neq_f32_e64 s[12:13], 0, v9
	s_or_b64 vcc, vcc, s[12:13]
	s_or_b64 s[12:13], vcc, s[4:5]
	v_cndmask_b32_e32 v6, 1.0, v8, vcc
	s_xor_b64 s[44:45], s[12:13], -1
	v_cndmask_b32_e32 v8, 0, v9, vcc
	s_and_saveexec_b64 s[12:13], s[44:45]
	s_cbranch_execz .LBB53_74
; %bb.71:                               ;   in Loop: Header=BB53_70 Depth=2
	v_mbcnt_lo_u32_b32 v6, exec_lo, 0
	v_mbcnt_hi_u32_b32 v6, exec_hi, v6
	v_cmp_eq_u32_e32 vcc, 0, v6
	s_and_saveexec_b64 s[44:45], vcc
	s_cbranch_execz .LBB53_73
; %bb.72:                               ;   in Loop: Header=BB53_70 Depth=2
	v_mov_b32_e32 v6, s62
	global_atomic_smin v2, v6, s[22:23]
.LBB53_73:                              ;   in Loop: Header=BB53_70 Depth=2
	s_or_b64 exec, exec, s[44:45]
	v_mov_b32_e32 v6, 1.0
	v_mov_b32_e32 v8, 0
.LBB53_74:                              ;   in Loop: Header=BB53_70 Depth=2
	s_or_b64 exec, exec, s[12:13]
	ds_read_b64 v[12:13], v7
	s_cmp_eq_u32 s50, 0
	s_waitcnt lgkmcnt(0)
	v_mov_b32_e32 v10, v13
	v_mov_b32_e32 v11, v12
	s_cbranch_scc1 .LBB53_79
; %bb.75:                               ;   in Loop: Header=BB53_70 Depth=2
	s_mov_b32 s44, 0
	s_mov_b32 s45, s52
	v_mov_b32_e32 v9, v25
	s_branch .LBB53_77
.LBB53_76:                              ;   in Loop: Header=BB53_77 Depth=3
	s_ashr_i32 s13, s12, 31
	s_lshl_b64 s[12:13], s[12:13], 3
	s_add_u32 s12, s28, s12
	s_addc_u32 s13, s29, s13
	global_load_dwordx2 v[12:13], v2, s[12:13]
	ds_read_b64 v[36:37], v9
	s_add_i32 s44, s44, 1
	s_add_i32 s45, s45, s56
	s_cmp_ge_u32 s44, s50
	v_add_u32_e32 v9, 8, v9
	s_waitcnt vmcnt(0) lgkmcnt(0)
	v_pk_fma_f32 v[10:11], v[12:13], v[36:37], v[10:11] op_sel:[1,0,0] op_sel_hi:[0,0,1]
	v_pk_fma_f32 v[10:11], v[12:13], v[36:37], v[10:11] op_sel:[0,1,0] neg_lo:[0,1,0]
	s_cbranch_scc1 .LBB53_79
.LBB53_77:                              ;   Parent Loop BB53_22 Depth=1
                                        ;     Parent Loop BB53_70 Depth=2
                                        ; =>    This Inner Loop Header: Depth=3
	s_andn2_b64 vcc, exec, s[34:35]
	s_mov_b32 s12, s45
	s_cbranch_vccnz .LBB53_76
; %bb.78:                               ;   in Loop: Header=BB53_77 Depth=3
	s_add_i32 s12, s44, s46
	s_branch .LBB53_76
.LBB53_79:                              ;   in Loop: Header=BB53_70 Depth=2
	v_mul_f32_e32 v9, v8, v8
	v_fmac_f32_e32 v9, v6, v6
	v_div_scale_f32 v12, s[12:13], v9, v9, 1.0
	v_rcp_f32_e32 v13, v12
	v_div_scale_f32 v14, vcc, 1.0, v9, 1.0
	v_mov_b32_e32 v37, v4
	v_fma_f32 v35, -v12, v13, 1.0
	v_fmac_f32_e32 v13, v35, v13
	v_mul_f32_e32 v35, v14, v13
	v_fma_f32 v36, -v12, v35, v14
	v_fmac_f32_e32 v35, v36, v13
	v_fma_f32 v12, -v12, v35, v14
	v_mov_b32_e32 v36, v5
	v_div_fmas_f32 v12, v12, v13, v35
	v_pk_add_f32 v[4:5], v[36:37], v[10:11] neg_lo:[0,1] neg_hi:[0,1]
	v_add_u32_e32 v7, 0x2100, v7
	v_div_fixup_f32 v12, v12, v9, 1.0
	v_pk_mul_f32 v[8:9], v[8:9], v[4:5] op_sel:[0,1] op_sel_hi:[0,0] neg_lo:[0,1]
	v_pk_fma_f32 v[4:5], v[4:5], v[6:7], v[8:9] op_sel_hi:[1,0,1]
	v_pk_mul_f32 v[4:5], v[12:13], v[4:5] op_sel_hi:[0,1]
	v_mov_b32_e32 v8, v5
	v_mov_b32_e32 v9, v4
	ds_write_b64 v7, v[8:9]
	s_waitcnt lgkmcnt(0)
	s_and_saveexec_b64 s[12:13], s[0:1]
	s_cbranch_execz .LBB53_69
; %bb.80:                               ;   in Loop: Header=BB53_70 Depth=2
	s_mov_b64 s[46:47], -1
	v_mov_b32_e32 v8, v1
	v_mov_b32_e32 v9, v26
	;; [unrolled: 1-line block ×3, first 2 shown]
	s_and_saveexec_b64 s[44:45], s[40:41]
	s_cbranch_execz .LBB53_86
; %bb.81:                               ;   in Loop: Header=BB53_70 Depth=2
	v_mov_b32_e32 v6, v5
	v_mov_b32_e32 v7, v5
	;; [unrolled: 1-line block ×4, first 2 shown]
	s_mov_b64 s[46:47], 0
	v_mov_b32_e32 v10, v21
	v_mov_b32_e32 v11, v20
	;; [unrolled: 1-line block ×3, first 2 shown]
.LBB53_82:                              ;   Parent Loop BB53_22 Depth=1
                                        ;     Parent Loop BB53_70 Depth=2
                                        ; =>    This Inner Loop Header: Depth=3
	ds_read2_b64 v[36:39], v12 offset1:66
	ds_read2_b64 v[40:43], v11 offset1:2
	v_add_u32_e32 v10, -2, v10
	v_cmp_eq_u32_e32 vcc, 0, v10
	v_add_u32_e32 v12, 0x420, v12
	s_waitcnt lgkmcnt(1)
	v_mov_b32_e32 v44, v36
	v_mov_b32_e32 v45, v38
	;; [unrolled: 1-line block ×3, first 2 shown]
	s_waitcnt lgkmcnt(0)
	v_mov_b32_e32 v36, v40
	v_mov_b32_e32 v37, v42
	;; [unrolled: 1-line block ×3, first 2 shown]
	v_pk_fma_f32 v[36:37], v[6:7], v[44:45], v[36:37]
	v_pk_fma_f32 v[40:41], v[8:9], v[44:45], v[42:43]
	;; [unrolled: 1-line block ×3, first 2 shown]
	v_pk_fma_f32 v[38:39], v[6:7], v[38:39], v[40:41] neg_lo:[0,1,0] neg_hi:[0,1,0]
	v_mov_b32_e32 v40, v36
	v_mov_b32_e32 v41, v38
	;; [unrolled: 1-line block ×3, first 2 shown]
	ds_write2_b64 v11, v[40:41], v[38:39] offset1:2
	s_or_b64 s[46:47], vcc, s[46:47]
	v_add_u32_e32 v11, 32, v11
	s_andn2_b64 exec, exec, s[46:47]
	s_cbranch_execnz .LBB53_82
; %bb.83:                               ;   in Loop: Header=BB53_70 Depth=2
	s_or_b64 exec, exec, s[46:47]
	s_mov_b64 s[46:47], 0
	s_and_saveexec_b64 s[48:49], s[6:7]
	s_xor_b64 s[48:49], exec, s[48:49]
; %bb.84:                               ;   in Loop: Header=BB53_70 Depth=2
	s_mov_b64 s[46:47], exec
; %bb.85:                               ;   in Loop: Header=BB53_70 Depth=2
	s_or_b64 exec, exec, s[48:49]
	s_orn2_b64 s[46:47], s[46:47], exec
	v_mov_b32_e32 v8, v22
	v_mov_b32_e32 v9, v32
	;; [unrolled: 1-line block ×3, first 2 shown]
.LBB53_86:                              ;   in Loop: Header=BB53_70 Depth=2
	s_or_b64 exec, exec, s[44:45]
	s_and_b64 exec, exec, s[46:47]
	s_cbranch_execz .LBB53_69
; %bb.87:                               ;   in Loop: Header=BB53_70 Depth=2
	v_mov_b32_e32 v6, v5
	v_mov_b32_e32 v7, v4
	v_add_u32_e32 v10, v28, v10
	s_mov_b64 s[44:45], 0
	s_mov_b32 s46, s51
.LBB53_88:                              ;   Parent Loop BB53_22 Depth=1
                                        ;     Parent Loop BB53_70 Depth=2
                                        ; =>    This Inner Loop Header: Depth=3
	v_add_u32_e32 v11, s46, v9
	ds_read_b64 v[12:13], v10
	ds_read_b64 v[36:37], v11
	v_add_u32_e32 v8, 2, v8
	s_addk_i32 s46, 0x210
	v_cmp_le_i32_e32 vcc, s56, v8
	s_or_b64 s[44:45], vcc, s[44:45]
	s_waitcnt lgkmcnt(0)
	v_pk_fma_f32 v[12:13], v[6:7], v[36:37], v[12:13] op_sel_hi:[1,0,1]
	v_pk_fma_f32 v[12:13], v[4:5], v[36:37], v[12:13] op_sel:[0,1,0] neg_hi:[0,1,0]
	ds_write_b64 v10, v[12:13]
	v_add_u32_e32 v10, 16, v10
	s_andn2_b64 exec, exec, s[44:45]
	s_cbranch_execnz .LBB53_88
	s_branch .LBB53_69
.LBB53_89:                              ;   in Loop: Header=BB53_22 Depth=1
	s_and_saveexec_b64 s[44:45], s[0:1]
	s_cbranch_execz .LBB53_21
; %bb.90:                               ;   in Loop: Header=BB53_22 Depth=1
	v_mov_b32_e32 v3, v1
	s_and_saveexec_b64 s[12:13], s[8:9]
	s_cbranch_execz .LBB53_101
; %bb.91:                               ;   in Loop: Header=BB53_22 Depth=1
	s_mov_b64 s[46:47], 0
	v_mov_b32_e32 v6, v30
	v_mov_b32_e32 v7, v29
	;; [unrolled: 1-line block ×3, first 2 shown]
	s_branch .LBB53_94
.LBB53_92:                              ;   in Loop: Header=BB53_94 Depth=2
	ds_read_b64 v[8:9], v7
	v_ashrrev_i32_e32 v5, 31, v4
	v_lshlrev_b64 v[4:5], 3, v[4:5]
	v_mov_b32_e32 v10, s29
	v_add_co_u32_e32 v4, vcc, s28, v4
	v_addc_co_u32_e32 v5, vcc, v10, v5, vcc
	s_waitcnt lgkmcnt(0)
	global_store_dwordx2 v[4:5], v[8:9], off
.LBB53_93:                              ;   in Loop: Header=BB53_94 Depth=2
	s_or_b64 exec, exec, s[48:49]
	v_add_u32_e32 v6, -8, v6
	v_cmp_eq_u32_e32 vcc, 0, v6
	v_add_u32_e32 v3, 2, v3
	s_or_b64 s[46:47], vcc, s[46:47]
	v_add_u32_e32 v7, 16, v7
	s_andn2_b64 exec, exec, s[46:47]
	s_cbranch_execz .LBB53_100
.LBB53_94:                              ;   Parent Loop BB53_22 Depth=1
                                        ; =>  This Inner Loop Header: Depth=2
	s_and_saveexec_b64 s[48:49], s[2:3]
	s_cbranch_execz .LBB53_93
; %bb.95:                               ;   in Loop: Header=BB53_94 Depth=2
	s_andn2_b64 vcc, exec, s[36:37]
	s_cbranch_vccnz .LBB53_97
; %bb.96:                               ;   in Loop: Header=BB53_94 Depth=2
	v_add_u32_e32 v4, s43, v3
	v_mad_u64_u32 v[4:5], s[50:51], v4, s56, v[0:1]
	s_cbranch_execnz .LBB53_92
	s_branch .LBB53_98
.LBB53_97:                              ;   in Loop: Header=BB53_94 Depth=2
                                        ; implicit-def: $vgpr4
.LBB53_98:                              ;   in Loop: Header=BB53_94 Depth=2
	v_add_u32_e32 v4, v24, v3
	s_branch .LBB53_92
.LBB53_99:                              ;   in Loop: Header=BB53_22 Depth=1
                                        ; implicit-def: $sgpr42
                                        ; implicit-def: $vgpr24
	s_cbranch_execz .LBB53_22
	s_branch .LBB53_128
.LBB53_100:                             ;   in Loop: Header=BB53_22 Depth=1
	s_or_b64 exec, exec, s[46:47]
.LBB53_101:                             ;   in Loop: Header=BB53_22 Depth=1
	s_or_b64 exec, exec, s[12:13]
	s_and_b64 exec, exec, s[10:11]
	s_cbranch_execz .LBB53_21
; %bb.102:                              ;   in Loop: Header=BB53_22 Depth=1
	v_lshl_add_u32 v6, v3, 3, v25
	s_mov_b64 s[46:47], 0
	s_branch .LBB53_105
.LBB53_103:                             ;   in Loop: Header=BB53_105 Depth=2
	ds_read_b64 v[8:9], v6 offset:48
	v_ashrrev_i32_e32 v5, 31, v4
	v_lshlrev_b64 v[4:5], 3, v[4:5]
	v_mov_b32_e32 v7, s29
	v_add_co_u32_e32 v4, vcc, s28, v4
	v_addc_co_u32_e32 v5, vcc, v7, v5, vcc
	s_waitcnt lgkmcnt(0)
	global_store_dwordx2 v[4:5], v[8:9], off
.LBB53_104:                             ;   in Loop: Header=BB53_105 Depth=2
	s_or_b64 exec, exec, s[48:49]
	v_add_u32_e32 v3, 8, v3
	v_cmp_le_i32_e32 vcc, s56, v3
	s_or_b64 s[46:47], vcc, s[46:47]
	v_add_u32_e32 v6, 64, v6
	s_andn2_b64 exec, exec, s[46:47]
	s_cbranch_execz .LBB53_21
.LBB53_105:                             ;   Parent Loop BB53_22 Depth=1
                                        ; =>  This Inner Loop Header: Depth=2
	s_and_saveexec_b64 s[12:13], s[2:3]
	s_cbranch_execnz .LBB53_109
; %bb.106:                              ;   in Loop: Header=BB53_105 Depth=2
	s_or_b64 exec, exec, s[12:13]
	v_cmp_ne_u32_e64 s[12:13], 1, v34
	s_and_saveexec_b64 s[48:49], s[2:3]
	s_cbranch_execnz .LBB53_114
.LBB53_107:                             ;   in Loop: Header=BB53_105 Depth=2
	s_or_b64 exec, exec, s[48:49]
	s_and_saveexec_b64 s[48:49], s[2:3]
	s_cbranch_execnz .LBB53_119
.LBB53_108:                             ;   in Loop: Header=BB53_105 Depth=2
	s_or_b64 exec, exec, s[48:49]
	s_and_saveexec_b64 s[48:49], s[2:3]
	s_cbranch_execz .LBB53_104
	s_branch .LBB53_124
.LBB53_109:                             ;   in Loop: Header=BB53_105 Depth=2
	s_and_b64 vcc, exec, s[36:37]
	s_cbranch_vccz .LBB53_111
; %bb.110:                              ;   in Loop: Header=BB53_105 Depth=2
	v_add_u32_e32 v4, s43, v3
	v_mad_u64_u32 v[4:5], s[48:49], v4, s56, v[0:1]
	s_cbranch_execz .LBB53_112
	s_branch .LBB53_113
.LBB53_111:                             ;   in Loop: Header=BB53_105 Depth=2
                                        ; implicit-def: $vgpr4
.LBB53_112:                             ;   in Loop: Header=BB53_105 Depth=2
	v_add_u32_e32 v4, v24, v3
.LBB53_113:                             ;   in Loop: Header=BB53_105 Depth=2
	ds_read_b64 v[8:9], v6
	v_ashrrev_i32_e32 v5, 31, v4
	v_lshlrev_b64 v[4:5], 3, v[4:5]
	v_mov_b32_e32 v7, s29
	v_add_co_u32_e32 v4, vcc, s28, v4
	v_addc_co_u32_e32 v5, vcc, v7, v5, vcc
	s_waitcnt lgkmcnt(0)
	global_store_dwordx2 v[4:5], v[8:9], off
	s_or_b64 exec, exec, s[12:13]
	v_cmp_ne_u32_e64 s[12:13], 1, v34
	s_and_saveexec_b64 s[48:49], s[2:3]
	s_cbranch_execz .LBB53_107
.LBB53_114:                             ;   in Loop: Header=BB53_105 Depth=2
	s_and_b64 vcc, exec, s[12:13]
	s_cbranch_vccnz .LBB53_116
; %bb.115:                              ;   in Loop: Header=BB53_105 Depth=2
	v_add3_u32 v4, v3, s43, 2
	v_mad_u64_u32 v[4:5], s[50:51], v4, s56, v[0:1]
	s_cbranch_execz .LBB53_117
	s_branch .LBB53_118
.LBB53_116:                             ;   in Loop: Header=BB53_105 Depth=2
                                        ; implicit-def: $vgpr4
.LBB53_117:                             ;   in Loop: Header=BB53_105 Depth=2
	v_add3_u32 v4, v24, v3, 2
.LBB53_118:                             ;   in Loop: Header=BB53_105 Depth=2
	ds_read_b64 v[8:9], v6 offset:16
	v_ashrrev_i32_e32 v5, 31, v4
	v_lshlrev_b64 v[4:5], 3, v[4:5]
	v_mov_b32_e32 v7, s29
	v_add_co_u32_e32 v4, vcc, s28, v4
	v_addc_co_u32_e32 v5, vcc, v7, v5, vcc
	s_waitcnt lgkmcnt(0)
	global_store_dwordx2 v[4:5], v[8:9], off
	s_or_b64 exec, exec, s[48:49]
	s_and_saveexec_b64 s[48:49], s[2:3]
	s_cbranch_execz .LBB53_108
.LBB53_119:                             ;   in Loop: Header=BB53_105 Depth=2
	s_and_b64 vcc, exec, s[12:13]
	s_cbranch_vccnz .LBB53_121
; %bb.120:                              ;   in Loop: Header=BB53_105 Depth=2
	v_add3_u32 v4, v3, s43, 4
	v_mad_u64_u32 v[4:5], s[50:51], v4, s56, v[0:1]
	s_cbranch_execz .LBB53_122
	s_branch .LBB53_123
.LBB53_121:                             ;   in Loop: Header=BB53_105 Depth=2
                                        ; implicit-def: $vgpr4
.LBB53_122:                             ;   in Loop: Header=BB53_105 Depth=2
	v_add3_u32 v4, v24, v3, 4
.LBB53_123:                             ;   in Loop: Header=BB53_105 Depth=2
	ds_read_b64 v[8:9], v6 offset:32
	v_ashrrev_i32_e32 v5, 31, v4
	v_lshlrev_b64 v[4:5], 3, v[4:5]
	v_mov_b32_e32 v7, s29
	v_add_co_u32_e32 v4, vcc, s28, v4
	v_addc_co_u32_e32 v5, vcc, v7, v5, vcc
	s_waitcnt lgkmcnt(0)
	global_store_dwordx2 v[4:5], v[8:9], off
	s_or_b64 exec, exec, s[48:49]
	s_and_saveexec_b64 s[48:49], s[2:3]
	s_cbranch_execz .LBB53_104
.LBB53_124:                             ;   in Loop: Header=BB53_105 Depth=2
	s_and_b64 vcc, exec, s[12:13]
	s_cbranch_vccnz .LBB53_126
; %bb.125:                              ;   in Loop: Header=BB53_105 Depth=2
	v_add3_u32 v4, v3, s43, 6
	v_mad_u64_u32 v[4:5], s[12:13], v4, s56, v[0:1]
	s_cbranch_execnz .LBB53_103
	s_branch .LBB53_127
.LBB53_126:                             ;   in Loop: Header=BB53_105 Depth=2
                                        ; implicit-def: $vgpr4
.LBB53_127:                             ;   in Loop: Header=BB53_105 Depth=2
	v_add3_u32 v4, v24, v3, 6
	s_branch .LBB53_103
.LBB53_128:
	v_cmp_gt_i32_e64 s[0:1], s56, v1
	s_and_saveexec_b64 s[4:5], s[0:1]
	s_cbranch_execz .LBB53_141
; %bb.129:
	s_mul_i32 s24, s33, s56
	v_add_u32_e32 v2, s24, v0
	s_cmp_lg_u32 s57, 0
	v_mul_lo_u32 v6, v2, s56
	v_mul_u32_u24_e32 v2, 0x108, v0
	v_lshlrev_b32_e32 v3, 3, v1
	s_movk_i32 s8, 0x2100
	s_cselect_b64 s[6:7], -1, 0
	v_cmp_gt_i32_e64 s[2:3], s56, v0
	v_add3_u32 v7, v2, v3, s8
	s_mov_b64 s[8:9], 0
	v_mov_b32_e32 v8, v1
	s_branch .LBB53_131
.LBB53_130:                             ;   in Loop: Header=BB53_131 Depth=1
	s_or_b64 exec, exec, s[12:13]
	v_add_u32_e32 v8, 2, v8
	v_cmp_le_i32_e32 vcc, s56, v8
	s_waitcnt vmcnt(0)
	ds_write_b64 v7, v[4:5]
	s_or_b64 s[8:9], vcc, s[8:9]
	v_add_u32_e32 v7, 16, v7
	s_andn2_b64 exec, exec, s[8:9]
	s_cbranch_execz .LBB53_141
.LBB53_131:                             ; =>This Inner Loop Header: Depth=1
	s_and_b64 vcc, exec, s[6:7]
	s_cbranch_vccz .LBB53_136
; %bb.132:                              ;   in Loop: Header=BB53_131 Depth=1
	s_mov_b64 s[12:13], 0
	s_mov_b64 s[10:11], 0
                                        ; implicit-def: $vgpr2
	s_and_saveexec_b64 s[16:17], s[2:3]
	s_xor_b64 s[16:17], exec, s[16:17]
; %bb.133:                              ;   in Loop: Header=BB53_131 Depth=1
	v_add_u32_e32 v2, s24, v8
	s_mov_b64 s[10:11], exec
	v_mad_u64_u32 v[2:3], s[26:27], v2, s56, v[0:1]
; %bb.134:                              ;   in Loop: Header=BB53_131 Depth=1
	s_or_b64 exec, exec, s[16:17]
	s_mov_b32 s16, 0
	s_and_b64 vcc, exec, s[12:13]
	s_cbranch_vccnz .LBB53_137
.LBB53_135:                             ;   in Loop: Header=BB53_131 Depth=1
	v_mov_b32_e32 v4, s16
	v_mov_b32_e32 v5, s16
	s_and_saveexec_b64 s[12:13], s[10:11]
	s_cbranch_execz .LBB53_130
	s_branch .LBB53_140
.LBB53_136:                             ;   in Loop: Header=BB53_131 Depth=1
	s_mov_b64 s[10:11], 0
                                        ; implicit-def: $vgpr2
                                        ; implicit-def: $sgpr16
	s_cbranch_execz .LBB53_135
.LBB53_137:                             ;   in Loop: Header=BB53_131 Depth=1
                                        ; implicit-def: $vgpr2
	s_and_saveexec_b64 s[12:13], s[2:3]
; %bb.138:                              ;   in Loop: Header=BB53_131 Depth=1
	v_add_u32_e32 v2, v6, v8
	s_or_b64 s[10:11], s[10:11], exec
; %bb.139:                              ;   in Loop: Header=BB53_131 Depth=1
	s_or_b64 exec, exec, s[12:13]
	s_mov_b32 s16, 0
	v_mov_b32_e32 v4, s16
	v_mov_b32_e32 v5, s16
	s_and_saveexec_b64 s[12:13], s[10:11]
	s_cbranch_execz .LBB53_130
.LBB53_140:                             ;   in Loop: Header=BB53_131 Depth=1
	v_ashrrev_i32_e32 v3, 31, v2
	v_lshlrev_b64 v[2:3], 3, v[2:3]
	v_mov_b32_e32 v4, s29
	v_add_co_u32_e32 v2, vcc, s28, v2
	v_addc_co_u32_e32 v3, vcc, v4, v3, vcc
	global_load_dwordx2 v[4:5], v[2:3], off
	s_branch .LBB53_130
.LBB53_141:
	s_or_b64 exec, exec, s[4:5]
; %bb.142:
	s_cmp_lt_i32 s56, 1
	s_waitcnt lgkmcnt(0)
	s_cbranch_scc1 .LBB53_173
; %bb.143:
	v_or_b32_e32 v2, v1, v0
	s_movk_i32 s34, 0x108
	v_mov_b32_e32 v3, 0x4200
	v_cmp_ne_u32_e64 s[2:3], 0, v2
	v_lshlrev_b32_e32 v2, 3, v0
	v_mul_u32_u24_e32 v10, 0x108, v0
	s_movk_i32 s35, 0x2100
	v_mad_u32_u24 v12, v0, s34, v3
	v_add3_u32 v11, v10, v2, s35
	v_add_u32_e32 v13, v12, v2
	v_lshrrev_b32_e32 v2, 1, v16
	v_add_u32_e32 v14, v12, v15
	v_add_u32_e32 v4, 1, v2
	v_add_u32_e32 v5, -1, v2
	v_lshl_add_u32 v2, v2, 4, v14
	v_or_b32_e32 v3, 4, v14
	v_or_b32_e32 v7, 4, v2
	v_cmp_lt_u32_e64 s[4:5], v7, v3
	s_brev_b32 s6, -8
	v_cmp_lt_u32_e64 s[8:9], v2, v14
	v_lshrrev_b32_e32 v6, 1, v5
	v_cmp_lt_u32_e64 s[6:7], s6, v16
	s_or_b64 s[4:5], s[8:9], s[4:5]
	v_add_u32_e32 v6, 1, v6
	s_or_b64 s[4:5], s[4:5], s[6:7]
	v_and_b32_e32 v2, -2, v4
	v_cmp_lt_u32_e32 vcc, 41, v16
	s_xor_b64 s[10:11], s[4:5], -1
	v_lshl_add_u32 v16, v2, 1, v1
	v_and_b32_e32 v17, 3, v6
	v_cmp_ne_u32_e64 s[8:9], v4, v2
	v_mov_b32_e32 v2, 0x2100
	s_mov_b32 s30, 0
	s_add_i32 s31, s20, s21
	v_cmp_lt_u32_e64 s[4:5], 5, v5
	v_and_b32_e32 v18, -4, v6
	v_cmp_ne_u32_e64 s[6:7], 0, v17
	s_and_b64 s[12:13], vcc, s[10:11]
	v_mul_u32_u24_e32 v19, 0x108, v1
	v_mad_u32_u24 v20, v1, s34, v2
	s_mov_b32 s36, 0xf800000
	v_mov_b32_e32 v21, 0x260
	v_mov_b32_e32 v3, 0
	s_movk_i32 s37, 0x210
	v_mul_lo_u32 v22, v16, s34
	v_lshlrev_b32_e32 v23, 3, v16
	s_branch .LBB53_145
.LBB53_144:                             ;   in Loop: Header=BB53_145 Depth=1
	s_or_b64 exec, exec, s[10:11]
	s_add_i32 s30, s30, 1
	s_add_i32 s35, s35, 8
	s_cmp_eq_u32 s30, s56
	v_add_u32_e32 v20, 8, v20
	s_waitcnt lgkmcnt(0)
	s_cbranch_scc1 .LBB53_173
.LBB53_145:                             ; =>This Loop Header: Depth=1
                                        ;     Child Loop BB53_162 Depth 2
                                        ;     Child Loop BB53_166 Depth 2
	;; [unrolled: 1-line block ×3, first 2 shown]
	v_cmp_eq_u32_e32 vcc, s30, v0
	s_and_saveexec_b64 s[16:17], vcc
	s_cbranch_execz .LBB53_153
; %bb.146:                              ;   in Loop: Header=BB53_145 Depth=1
	ds_read_b64 v[4:5], v11
	ds_read_b64 v[6:7], v13
	s_waitcnt lgkmcnt(0)
	v_sub_f32_e32 v2, v4, v6
	v_sub_f32_e32 v6, v5, v7
	v_cmp_gt_f32_e32 vcc, 0, v2
	v_cndmask_b32_e64 v2, v2, -v2, vcc
	v_cmp_gt_f32_e32 vcc, 0, v6
	v_cndmask_b32_e64 v4, v6, -v6, vcc
	v_cmp_ngt_f32_e32 vcc, v2, v4
                                        ; implicit-def: $vgpr5
	s_and_saveexec_b64 s[10:11], vcc
	s_xor_b64 s[24:25], exec, s[10:11]
	s_cbranch_execz .LBB53_150
; %bb.147:                              ;   in Loop: Header=BB53_145 Depth=1
	v_cmp_neq_f32_e32 vcc, 0, v6
	v_mov_b32_e32 v5, 0
	s_and_saveexec_b64 s[26:27], vcc
	s_cbranch_execz .LBB53_149
; %bb.148:                              ;   in Loop: Header=BB53_145 Depth=1
	v_div_scale_f32 v5, s[10:11], v4, v4, v2
	v_rcp_f32_e32 v6, v5
	v_div_scale_f32 v7, vcc, v2, v4, v2
	v_fma_f32 v8, -v5, v6, 1.0
	v_fmac_f32_e32 v6, v8, v6
	v_mul_f32_e32 v8, v7, v6
	v_fma_f32 v9, -v5, v8, v7
	v_fmac_f32_e32 v8, v9, v6
	v_fma_f32 v5, -v5, v8, v7
	v_div_fmas_f32 v5, v5, v6, v8
	v_div_fixup_f32 v2, v5, v4, v2
	v_fma_f32 v2, v2, v2, 1.0
	v_mul_f32_e32 v5, 0x4f800000, v2
	v_cmp_gt_f32_e32 vcc, s36, v2
	v_cndmask_b32_e32 v2, v2, v5, vcc
	v_sqrt_f32_e32 v5, v2
	v_add_u32_e32 v6, -1, v5
	v_fma_f32 v7, -v6, v5, v2
	v_cmp_ge_f32_e64 s[10:11], 0, v7
	v_add_u32_e32 v7, 1, v5
	v_cndmask_b32_e64 v6, v5, v6, s[10:11]
	v_fma_f32 v5, -v7, v5, v2
	v_cmp_lt_f32_e64 s[10:11], 0, v5
	v_cndmask_b32_e64 v5, v6, v7, s[10:11]
	v_mul_f32_e32 v6, 0x37800000, v5
	v_cndmask_b32_e32 v5, v5, v6, vcc
	v_cmp_class_f32_e32 vcc, v2, v21
	v_cndmask_b32_e32 v2, v5, v2, vcc
	v_mul_f32_e32 v5, v4, v2
.LBB53_149:                             ;   in Loop: Header=BB53_145 Depth=1
	s_or_b64 exec, exec, s[26:27]
                                        ; implicit-def: $vgpr2
                                        ; implicit-def: $vgpr4
.LBB53_150:                             ;   in Loop: Header=BB53_145 Depth=1
	s_andn2_saveexec_b64 s[24:25], s[24:25]
	s_cbranch_execz .LBB53_152
; %bb.151:                              ;   in Loop: Header=BB53_145 Depth=1
	v_div_scale_f32 v5, s[10:11], v2, v2, v4
	v_rcp_f32_e32 v6, v5
	v_div_scale_f32 v7, vcc, v4, v2, v4
	v_fma_f32 v8, -v5, v6, 1.0
	v_fmac_f32_e32 v6, v8, v6
	v_mul_f32_e32 v8, v7, v6
	v_fma_f32 v9, -v5, v8, v7
	v_fmac_f32_e32 v8, v9, v6
	v_fma_f32 v5, -v5, v8, v7
	v_div_fmas_f32 v5, v5, v6, v8
	v_div_fixup_f32 v4, v5, v2, v4
	v_fma_f32 v4, v4, v4, 1.0
	v_mul_f32_e32 v5, 0x4f800000, v4
	v_cmp_gt_f32_e32 vcc, s36, v4
	v_cndmask_b32_e32 v4, v4, v5, vcc
	v_sqrt_f32_e32 v5, v4
	v_add_u32_e32 v6, -1, v5
	v_fma_f32 v7, -v6, v5, v4
	v_cmp_ge_f32_e64 s[10:11], 0, v7
	v_add_u32_e32 v7, 1, v5
	v_cndmask_b32_e64 v6, v5, v6, s[10:11]
	v_fma_f32 v5, -v7, v5, v4
	v_cmp_lt_f32_e64 s[10:11], 0, v5
	v_cndmask_b32_e64 v5, v6, v7, s[10:11]
	v_mul_f32_e32 v6, 0x37800000, v5
	v_cndmask_b32_e32 v5, v5, v6, vcc
	v_cmp_class_f32_e32 vcc, v4, v21
	v_cndmask_b32_e32 v4, v5, v4, vcc
	v_mul_f32_e32 v5, v2, v4
.LBB53_152:                             ;   in Loop: Header=BB53_145 Depth=1
	s_or_b64 exec, exec, s[24:25]
	v_mul_f32_e32 v2, 0x4f800000, v5
	v_cmp_gt_f32_e32 vcc, s36, v5
	v_cndmask_b32_e32 v2, v5, v2, vcc
	v_sqrt_f32_e32 v4, v2
	v_add_u32_e32 v5, -1, v4
	v_fma_f32 v7, -v5, v4, v2
	v_add_u32_e32 v6, 1, v4
	v_cmp_ge_f32_e64 s[10:11], 0, v7
	v_cndmask_b32_e64 v5, v4, v5, s[10:11]
	v_fma_f32 v4, -v6, v4, v2
	v_cmp_lt_f32_e64 s[10:11], 0, v4
	v_cndmask_b32_e64 v4, v5, v6, s[10:11]
	v_mul_f32_e32 v5, 0x37800000, v4
	v_cndmask_b32_e32 v4, v4, v5, vcc
	v_cmp_class_f32_e32 vcc, v2, v21
	v_cndmask_b32_e32 v2, v4, v2, vcc
	ds_write_b64 v11, v[2:3]
.LBB53_153:                             ;   in Loop: Header=BB53_145 Depth=1
	s_or_b64 exec, exec, s[16:17]
	s_lshl_b32 s10, s30, 3
	s_mul_i32 s11, s30, 0x108
	s_add_i32 s11, s11, s10
	v_mov_b32_e32 v2, s11
	s_waitcnt lgkmcnt(0)
	ds_read_b64 v[8:9], v2 offset:8448
	v_mov_b32_e32 v2, s10
	v_mad_u32_u24 v7, v0, s34, v2
	ds_read_b64 v[4:5], v7 offset:8448
	s_waitcnt lgkmcnt(1)
	v_cmp_neq_f32_e32 vcc, 0, v8
	v_cmp_neq_f32_e64 s[10:11], 0, v9
	s_or_b64 vcc, vcc, s[10:11]
	s_or_b64 s[10:11], vcc, s[2:3]
	v_cndmask_b32_e32 v2, 0, v9, vcc
	s_xor_b64 s[16:17], s[10:11], -1
	v_cndmask_b32_e32 v6, 1.0, v8, vcc
	s_and_saveexec_b64 s[10:11], s[16:17]
	s_cbranch_execz .LBB53_157
; %bb.154:                              ;   in Loop: Header=BB53_145 Depth=1
	v_mbcnt_lo_u32_b32 v2, exec_lo, 0
	v_mbcnt_hi_u32_b32 v2, exec_hi, v2
	v_cmp_eq_u32_e32 vcc, 0, v2
	s_and_saveexec_b64 s[16:17], vcc
	s_cbranch_execz .LBB53_156
; %bb.155:                              ;   in Loop: Header=BB53_145 Depth=1
	v_mov_b32_e32 v2, s31
	global_atomic_smin v3, v2, s[22:23]
.LBB53_156:                             ;   in Loop: Header=BB53_145 Depth=1
	s_or_b64 exec, exec, s[16:17]
	v_mov_b32_e32 v2, 0
	v_mov_b32_e32 v6, 1.0
.LBB53_157:                             ;   in Loop: Header=BB53_145 Depth=1
	s_or_b64 exec, exec, s[10:11]
	v_cmp_lt_u32_e32 vcc, s30, v0
	s_and_saveexec_b64 s[10:11], vcc
	s_cbranch_execz .LBB53_144
; %bb.158:                              ;   in Loop: Header=BB53_145 Depth=1
	v_mul_f32_e32 v24, v2, v2
	v_fmac_f32_e32 v24, v6, v6
	v_div_scale_f32 v8, s[16:17], v24, v24, 1.0
	v_rcp_f32_e32 v25, v8
	v_add_u32_e32 v28, 0x2100, v7
	v_lshl_add_u32 v7, s30, 3, v10
	v_fma_f32 v9, -v8, v25, 1.0
	v_fmac_f32_e32 v25, v9, v25
	v_div_scale_f32 v9, vcc, 1.0, v24, 1.0
	v_mul_f32_e32 v26, v9, v25
	v_fma_f32 v27, -v8, v26, v9
	v_fmac_f32_e32 v26, v27, v25
	v_fma_f32 v27, -v8, v26, v9
	ds_read_b64 v[8:9], v7 offset:16896
	v_div_fmas_f32 v7, v27, v25, v26
	s_waitcnt lgkmcnt(1)
	v_mov_b32_e32 v26, v5
	v_mov_b32_e32 v27, v4
	v_div_fixup_f32 v24, v7, v24, 1.0
	s_waitcnt lgkmcnt(0)
	v_pk_add_f32 v[4:5], v[26:27], v[8:9] op_sel:[0,1] op_sel_hi:[1,0] neg_lo:[0,1] neg_hi:[0,1]
	v_pk_mul_f32 v[8:9], v[2:3], v[4:5] op_sel:[0,1] op_sel_hi:[0,0] neg_lo:[0,1]
	v_pk_fma_f32 v[4:5], v[4:5], v[6:7], v[8:9] op_sel_hi:[1,0,1]
	v_pk_mul_f32 v[4:5], v[24:25], v[4:5] op_sel_hi:[0,1]
	v_mov_b32_e32 v6, v5
	v_mov_b32_e32 v7, v4
	ds_write_b64 v28, v[6:7]
	s_waitcnt lgkmcnt(0)
	s_and_b64 exec, exec, s[0:1]
	s_cbranch_execz .LBB53_144
; %bb.159:                              ;   in Loop: Header=BB53_145 Depth=1
	s_mov_b64 s[24:25], -1
	v_mov_b32_e32 v2, v1
	v_mov_b32_e32 v8, v19
	;; [unrolled: 1-line block ×3, first 2 shown]
	s_and_saveexec_b64 s[16:17], s[12:13]
	s_cbranch_execz .LBB53_170
; %bb.160:                              ;   in Loop: Header=BB53_145 Depth=1
	v_mov_b32_e32 v6, v5
	v_mov_b32_e32 v7, v5
	;; [unrolled: 1-line block ×5, first 2 shown]
	s_and_saveexec_b64 s[24:25], s[4:5]
	s_cbranch_execz .LBB53_164
; %bb.161:                              ;   in Loop: Header=BB53_145 Depth=1
	s_mov_b32 s38, 0
	s_mov_b64 s[26:27], 0
	v_mov_b32_e32 v2, v18
	v_mov_b32_e32 v24, v14
	;; [unrolled: 1-line block ×3, first 2 shown]
.LBB53_162:                             ;   Parent Loop BB53_145 Depth=1
                                        ; =>  This Inner Loop Header: Depth=2
	ds_read2_b64 v[26:29], v25 offset1:66
	ds_read2_b64 v[30:33], v24 offset1:2
	ds_read2_b64 v[34:37], v24 offset0:4 offset1:6
	v_add_u32_e32 v2, -4, v2
	s_add_i32 s38, s38, 8
	s_waitcnt lgkmcnt(2)
	v_mov_b32_e32 v38, v26
	v_mov_b32_e32 v39, v28
	;; [unrolled: 1-line block ×3, first 2 shown]
	s_waitcnt lgkmcnt(1)
	v_mov_b32_e32 v26, v30
	v_mov_b32_e32 v27, v32
	;; [unrolled: 1-line block ×3, first 2 shown]
	v_pk_fma_f32 v[26:27], v[6:7], v[38:39], v[26:27]
	v_pk_fma_f32 v[30:31], v[8:9], v[28:29], v[26:27]
	;; [unrolled: 1-line block ×3, first 2 shown]
	v_pk_fma_f32 v[32:33], v[6:7], v[28:29], v[26:27] neg_lo:[0,1,0] neg_hi:[0,1,0]
	ds_read2_b64 v[26:29], v25 offset0:132 offset1:198
	v_mov_b32_e32 v38, v30
	v_mov_b32_e32 v39, v32
	v_mov_b32_e32 v32, v31
	ds_write2_b64 v24, v[38:39], v[32:33] offset1:2
	s_waitcnt lgkmcnt(1)
	v_mov_b32_e32 v30, v26
	v_mov_b32_e32 v31, v28
	;; [unrolled: 1-line block ×6, first 2 shown]
	v_pk_fma_f32 v[26:27], v[6:7], v[30:31], v[26:27]
	v_pk_fma_f32 v[32:33], v[8:9], v[28:29], v[26:27]
	;; [unrolled: 1-line block ×3, first 2 shown]
	v_pk_fma_f32 v[34:35], v[6:7], v[28:29], v[26:27] neg_lo:[0,1,0] neg_hi:[0,1,0]
	v_add_u32_e32 v38, 0x800, v25
	v_mov_b32_e32 v36, v32
	ds_read2_b64 v[26:29], v38 offset0:8 offset1:74
	v_mov_b32_e32 v37, v34
	v_mov_b32_e32 v34, v33
	ds_read2_b64 v[30:33], v24 offset0:8 offset1:10
	ds_write2_b64 v24, v[36:37], v[34:35] offset0:4 offset1:6
	s_waitcnt lgkmcnt(2)
	v_mov_b32_e32 v34, v26
	v_mov_b32_e32 v35, v28
	v_mov_b32_e32 v28, v27
	s_waitcnt lgkmcnt(1)
	v_mov_b32_e32 v26, v30
	v_mov_b32_e32 v27, v32
	;; [unrolled: 1-line block ×3, first 2 shown]
	v_pk_fma_f32 v[26:27], v[6:7], v[34:35], v[26:27]
	v_pk_fma_f32 v[30:31], v[8:9], v[28:29], v[26:27]
	;; [unrolled: 1-line block ×3, first 2 shown]
	v_pk_fma_f32 v[34:35], v[6:7], v[28:29], v[26:27] neg_lo:[0,1,0] neg_hi:[0,1,0]
	v_mov_b32_e32 v36, v30
	ds_read2_b64 v[26:29], v38 offset0:140 offset1:206
	v_mov_b32_e32 v37, v34
	v_mov_b32_e32 v34, v31
	ds_read2_b64 v[30:33], v24 offset0:12 offset1:14
	ds_write2_b64 v24, v[36:37], v[34:35] offset0:8 offset1:10
	s_waitcnt lgkmcnt(2)
	v_mov_b32_e32 v34, v26
	v_mov_b32_e32 v35, v28
	;; [unrolled: 1-line block ×3, first 2 shown]
	s_waitcnt lgkmcnt(1)
	v_mov_b32_e32 v26, v30
	v_mov_b32_e32 v27, v32
	;; [unrolled: 1-line block ×3, first 2 shown]
	v_pk_fma_f32 v[26:27], v[6:7], v[34:35], v[26:27]
	v_pk_fma_f32 v[30:31], v[8:9], v[34:35], v[32:33]
	;; [unrolled: 1-line block ×3, first 2 shown]
	v_pk_fma_f32 v[28:29], v[6:7], v[28:29], v[30:31] neg_lo:[0,1,0] neg_hi:[0,1,0]
	v_mov_b32_e32 v30, v26
	v_mov_b32_e32 v31, v28
	;; [unrolled: 1-line block ×3, first 2 shown]
	v_cmp_eq_u32_e32 vcc, 0, v2
	ds_write2_b64 v24, v[30:31], v[28:29] offset0:12 offset1:14
	v_add_u32_e32 v25, 0x1080, v25
	v_add_u32_e32 v24, 0x80, v24
	s_or_b64 s[26:27], vcc, s[26:27]
	v_mov_b32_e32 v26, s38
	s_andn2_b64 exec, exec, s[26:27]
	s_cbranch_execnz .LBB53_162
; %bb.163:                              ;   in Loop: Header=BB53_145 Depth=1
	s_or_b64 exec, exec, s[26:27]
.LBB53_164:                             ;   in Loop: Header=BB53_145 Depth=1
	s_or_b64 exec, exec, s[24:25]
	s_and_saveexec_b64 s[24:25], s[6:7]
	s_cbranch_execz .LBB53_167
; %bb.165:                              ;   in Loop: Header=BB53_145 Depth=1
	v_lshl_add_u32 v2, v26, 4, v14
	v_mul_lo_u32 v24, v26, s37
	s_mov_b64 s[26:27], 0
	v_mov_b32_e32 v25, v17
.LBB53_166:                             ;   Parent Loop BB53_145 Depth=1
                                        ; =>  This Inner Loop Header: Depth=2
	v_add_u32_e32 v30, v20, v24
	ds_read2_b64 v[26:29], v2 offset1:2
	ds_read2_b64 v[30:33], v30 offset1:66
	v_add_u32_e32 v25, -1, v25
	v_cmp_eq_u32_e32 vcc, 0, v25
	s_or_b64 s[26:27], vcc, s[26:27]
	s_waitcnt lgkmcnt(1)
	v_mov_b32_e32 v34, v26
	s_waitcnt lgkmcnt(0)
	v_mov_b32_e32 v36, v30
	v_mov_b32_e32 v37, v32
	;; [unrolled: 1-line block ×5, first 2 shown]
	v_pk_fma_f32 v[26:27], v[6:7], v[36:37], v[34:35]
	v_pk_fma_f32 v[28:29], v[8:9], v[36:37], v[28:29]
	;; [unrolled: 1-line block ×3, first 2 shown]
	v_pk_fma_f32 v[28:29], v[6:7], v[32:33], v[28:29] neg_lo:[0,1,0] neg_hi:[0,1,0]
	v_mov_b32_e32 v30, v26
	v_mov_b32_e32 v31, v28
	;; [unrolled: 1-line block ×3, first 2 shown]
	ds_write2_b64 v2, v[30:31], v[28:29] offset1:2
	v_add_u32_e32 v2, 32, v2
	v_add_u32_e32 v24, 0x420, v24
	s_andn2_b64 exec, exec, s[26:27]
	s_cbranch_execnz .LBB53_166
.LBB53_167:                             ;   in Loop: Header=BB53_145 Depth=1
	s_or_b64 exec, exec, s[24:25]
	s_mov_b64 s[24:25], 0
	s_and_saveexec_b64 s[26:27], s[8:9]
; %bb.168:                              ;   in Loop: Header=BB53_145 Depth=1
	s_mov_b64 s[24:25], exec
; %bb.169:                              ;   in Loop: Header=BB53_145 Depth=1
	s_or_b64 exec, exec, s[26:27]
	s_orn2_b64 s[24:25], s[24:25], exec
	v_mov_b32_e32 v2, v16
	v_mov_b32_e32 v8, v22
	;; [unrolled: 1-line block ×3, first 2 shown]
.LBB53_170:                             ;   in Loop: Header=BB53_145 Depth=1
	s_or_b64 exec, exec, s[16:17]
	s_and_b64 exec, exec, s[24:25]
	s_cbranch_execz .LBB53_144
; %bb.171:                              ;   in Loop: Header=BB53_145 Depth=1
	v_mov_b32_e32 v6, v5
	v_mov_b32_e32 v7, v4
	v_add_u32_e32 v9, v12, v9
	s_mov_b64 s[16:17], 0
	s_mov_b32 s24, s35
.LBB53_172:                             ;   Parent Loop BB53_145 Depth=1
                                        ; =>  This Inner Loop Header: Depth=2
	v_add_u32_e32 v26, s24, v8
	ds_read_b64 v[24:25], v9
	ds_read_b64 v[26:27], v26
	v_add_u32_e32 v2, 2, v2
	s_addk_i32 s24, 0x210
	v_cmp_le_i32_e32 vcc, s56, v2
	s_or_b64 s[16:17], vcc, s[16:17]
	s_waitcnt lgkmcnt(0)
	v_pk_fma_f32 v[24:25], v[6:7], v[26:27], v[24:25] op_sel_hi:[1,0,1]
	v_pk_fma_f32 v[24:25], v[4:5], v[26:27], v[24:25] op_sel:[0,1,0] neg_hi:[0,1,0]
	ds_write_b64 v9, v[24:25]
	v_add_u32_e32 v9, 16, v9
	s_andn2_b64 exec, exec, s[16:17]
	s_cbranch_execnz .LBB53_172
	s_branch .LBB53_144
.LBB53_173:
	s_and_saveexec_b64 s[2:3], s[0:1]
	s_cbranch_execz .LBB53_182
; %bb.174:
	s_mul_i32 s33, s33, s56
	v_add_u32_e32 v2, s33, v0
	s_cmp_lg_u32 s57, 0
	v_mul_lo_u32 v4, v2, s56
	v_mul_u32_u24_e32 v2, 0x108, v0
	s_movk_i32 s6, 0x2100
	v_cmp_gt_i32_e64 s[0:1], s56, v0
	s_cselect_b64 s[4:5], -1, 0
	v_add3_u32 v5, v2, v15, s6
	s_mov_b64 s[6:7], 0
	v_mov_b32_e32 v6, v1
	s_branch .LBB53_177
.LBB53_175:                             ;   in Loop: Header=BB53_177 Depth=1
	ds_read_b64 v[8:9], v5
	v_ashrrev_i32_e32 v3, 31, v2
	v_lshlrev_b64 v[2:3], 3, v[2:3]
	v_mov_b32_e32 v7, s29
	v_add_co_u32_e32 v2, vcc, s28, v2
	v_addc_co_u32_e32 v3, vcc, v7, v3, vcc
	s_waitcnt lgkmcnt(0)
	global_store_dwordx2 v[2:3], v[8:9], off
.LBB53_176:                             ;   in Loop: Header=BB53_177 Depth=1
	s_or_b64 exec, exec, s[8:9]
	v_add_u32_e32 v6, 2, v6
	v_cmp_le_i32_e32 vcc, s56, v6
	s_or_b64 s[6:7], vcc, s[6:7]
	v_add_u32_e32 v5, 16, v5
	s_andn2_b64 exec, exec, s[6:7]
	s_cbranch_execz .LBB53_182
.LBB53_177:                             ; =>This Inner Loop Header: Depth=1
	s_and_saveexec_b64 s[8:9], s[0:1]
	s_cbranch_execz .LBB53_176
; %bb.178:                              ;   in Loop: Header=BB53_177 Depth=1
	s_and_b64 vcc, exec, s[4:5]
	s_cbranch_vccz .LBB53_180
; %bb.179:                              ;   in Loop: Header=BB53_177 Depth=1
	v_add_u32_e32 v2, s33, v6
	v_mad_u64_u32 v[2:3], s[10:11], v2, s56, v[0:1]
	s_cbranch_execnz .LBB53_175
	s_branch .LBB53_181
.LBB53_180:                             ;   in Loop: Header=BB53_177 Depth=1
                                        ; implicit-def: $vgpr2
.LBB53_181:                             ;   in Loop: Header=BB53_177 Depth=1
	v_add_u32_e32 v2, v4, v6
	s_branch .LBB53_175
.LBB53_182:
	s_or_b64 exec, exec, s[2:3]
	v_or_b32_e32 v2, v1, v0
	v_cmp_eq_u32_e64 s[0:1], 0, v2
.LBB53_183:
	s_and_saveexec_b64 s[2:3], s[0:1]
	s_cbranch_execnz .LBB53_191
.LBB53_184:
	s_endpgm
.LBB53_185:
	s_mov_b64 s[0:1], 0
	s_cbranch_execz .LBB53_183
; %bb.186:
	v_or_b32_e32 v0, v1, v0
	v_cmp_eq_u32_e32 vcc, 0, v0
	s_and_saveexec_b64 s[2:3], vcc
	s_cbranch_execz .LBB53_190
; %bb.187:
	v_mbcnt_lo_u32_b32 v0, exec_lo, 0
	v_mbcnt_hi_u32_b32 v0, exec_hi, v0
	v_cmp_eq_u32_e32 vcc, 0, v0
	s_and_saveexec_b64 s[4:5], vcc
	s_cbranch_execz .LBB53_189
; %bb.188:
	s_add_i32 s6, s20, s21
	v_mov_b32_e32 v0, 0
	v_mov_b32_e32 v1, s6
	global_atomic_smin v0, v1, s[22:23]
.LBB53_189:
	s_or_b64 exec, exec, s[4:5]
	s_or_b64 s[0:1], s[0:1], exec
.LBB53_190:
	s_or_b64 exec, exec, s[2:3]
	s_and_saveexec_b64 s[2:3], s[0:1]
	s_cbranch_execz .LBB53_184
.LBB53_191:
	s_add_u32 s0, s18, s14
	s_addc_u32 s1, s19, s15
	v_mov_b32_e32 v0, 0
	v_mov_b32_e32 v1, 1
	s_waitcnt vmcnt(0)
	global_store_dword v0, v1, s[0:1]
	s_endpgm
	.section	.rodata,"a",@progbits
	.p2align	6, 0x0
	.amdhsa_kernel _ZN9rocsparseL19bsric0_17_32_kernelILi64ELi64ELi32E21rocsparse_complex_numIfEEEv20rocsparse_direction_iiPKiS5_PT2_S5_PiS5_S8_21rocsparse_index_base_
		.amdhsa_group_segment_fixed_size 26112
		.amdhsa_private_segment_fixed_size 0
		.amdhsa_kernarg_size 76
		.amdhsa_user_sgpr_count 6
		.amdhsa_user_sgpr_private_segment_buffer 1
		.amdhsa_user_sgpr_dispatch_ptr 0
		.amdhsa_user_sgpr_queue_ptr 0
		.amdhsa_user_sgpr_kernarg_segment_ptr 1
		.amdhsa_user_sgpr_dispatch_id 0
		.amdhsa_user_sgpr_flat_scratch_init 0
		.amdhsa_user_sgpr_kernarg_preload_length 0
		.amdhsa_user_sgpr_kernarg_preload_offset 0
		.amdhsa_user_sgpr_private_segment_size 0
		.amdhsa_uses_dynamic_stack 0
		.amdhsa_system_sgpr_private_segment_wavefront_offset 0
		.amdhsa_system_sgpr_workgroup_id_x 1
		.amdhsa_system_sgpr_workgroup_id_y 0
		.amdhsa_system_sgpr_workgroup_id_z 0
		.amdhsa_system_sgpr_workgroup_info 0
		.amdhsa_system_vgpr_workitem_id 1
		.amdhsa_next_free_vgpr 70
		.amdhsa_next_free_sgpr 66
		.amdhsa_accum_offset 72
		.amdhsa_reserve_vcc 1
		.amdhsa_reserve_flat_scratch 0
		.amdhsa_float_round_mode_32 0
		.amdhsa_float_round_mode_16_64 0
		.amdhsa_float_denorm_mode_32 3
		.amdhsa_float_denorm_mode_16_64 3
		.amdhsa_dx10_clamp 1
		.amdhsa_ieee_mode 1
		.amdhsa_fp16_overflow 0
		.amdhsa_tg_split 0
		.amdhsa_exception_fp_ieee_invalid_op 0
		.amdhsa_exception_fp_denorm_src 0
		.amdhsa_exception_fp_ieee_div_zero 0
		.amdhsa_exception_fp_ieee_overflow 0
		.amdhsa_exception_fp_ieee_underflow 0
		.amdhsa_exception_fp_ieee_inexact 0
		.amdhsa_exception_int_div_zero 0
	.end_amdhsa_kernel
	.section	.text._ZN9rocsparseL19bsric0_17_32_kernelILi64ELi64ELi32E21rocsparse_complex_numIfEEEv20rocsparse_direction_iiPKiS5_PT2_S5_PiS5_S8_21rocsparse_index_base_,"axG",@progbits,_ZN9rocsparseL19bsric0_17_32_kernelILi64ELi64ELi32E21rocsparse_complex_numIfEEEv20rocsparse_direction_iiPKiS5_PT2_S5_PiS5_S8_21rocsparse_index_base_,comdat
.Lfunc_end53:
	.size	_ZN9rocsparseL19bsric0_17_32_kernelILi64ELi64ELi32E21rocsparse_complex_numIfEEEv20rocsparse_direction_iiPKiS5_PT2_S5_PiS5_S8_21rocsparse_index_base_, .Lfunc_end53-_ZN9rocsparseL19bsric0_17_32_kernelILi64ELi64ELi32E21rocsparse_complex_numIfEEEv20rocsparse_direction_iiPKiS5_PT2_S5_PiS5_S8_21rocsparse_index_base_
                                        ; -- End function
	.section	.AMDGPU.csdata,"",@progbits
; Kernel info:
; codeLenInByte = 7624
; NumSgprs: 70
; NumVgprs: 70
; NumAgprs: 0
; TotalNumVgprs: 70
; ScratchSize: 0
; MemoryBound: 0
; FloatMode: 240
; IeeeMode: 1
; LDSByteSize: 26112 bytes/workgroup (compile time only)
; SGPRBlocks: 8
; VGPRBlocks: 8
; NumSGPRsForWavesPerEU: 70
; NumVGPRsForWavesPerEU: 70
; AccumOffset: 72
; Occupancy: 1
; WaveLimiterHint : 1
; COMPUTE_PGM_RSRC2:SCRATCH_EN: 0
; COMPUTE_PGM_RSRC2:USER_SGPR: 6
; COMPUTE_PGM_RSRC2:TRAP_HANDLER: 0
; COMPUTE_PGM_RSRC2:TGID_X_EN: 1
; COMPUTE_PGM_RSRC2:TGID_Y_EN: 0
; COMPUTE_PGM_RSRC2:TGID_Z_EN: 0
; COMPUTE_PGM_RSRC2:TIDIG_COMP_CNT: 1
; COMPUTE_PGM_RSRC3_GFX90A:ACCUM_OFFSET: 17
; COMPUTE_PGM_RSRC3_GFX90A:TG_SPLIT: 0
	.section	.text._ZN9rocsparseL17bsric0_2_8_kernelILi64ELi128ELi8E21rocsparse_complex_numIfEEEv20rocsparse_direction_iiPKiS5_PT2_S5_PiS5_S8_21rocsparse_index_base_,"axG",@progbits,_ZN9rocsparseL17bsric0_2_8_kernelILi64ELi128ELi8E21rocsparse_complex_numIfEEEv20rocsparse_direction_iiPKiS5_PT2_S5_PiS5_S8_21rocsparse_index_base_,comdat
	.globl	_ZN9rocsparseL17bsric0_2_8_kernelILi64ELi128ELi8E21rocsparse_complex_numIfEEEv20rocsparse_direction_iiPKiS5_PT2_S5_PiS5_S8_21rocsparse_index_base_ ; -- Begin function _ZN9rocsparseL17bsric0_2_8_kernelILi64ELi128ELi8E21rocsparse_complex_numIfEEEv20rocsparse_direction_iiPKiS5_PT2_S5_PiS5_S8_21rocsparse_index_base_
	.p2align	8
	.type	_ZN9rocsparseL17bsric0_2_8_kernelILi64ELi128ELi8E21rocsparse_complex_numIfEEEv20rocsparse_direction_iiPKiS5_PT2_S5_PiS5_S8_21rocsparse_index_base_,@function
_ZN9rocsparseL17bsric0_2_8_kernelILi64ELi128ELi8E21rocsparse_complex_numIfEEEv20rocsparse_direction_iiPKiS5_PT2_S5_PiS5_S8_21rocsparse_index_base_: ; @_ZN9rocsparseL17bsric0_2_8_kernelILi64ELi128ELi8E21rocsparse_complex_numIfEEEv20rocsparse_direction_iiPKiS5_PT2_S5_PiS5_S8_21rocsparse_index_base_
; %bb.0:
	s_load_dwordx8 s[12:19], s[4:5], 0x28
	s_mov_b32 s7, 0
	s_lshl_b64 s[0:1], s[6:7], 2
	v_and_b32_e32 v15, 0x3ff, v0
	v_bfe_u32 v16, v0, 10, 10
	s_waitcnt lgkmcnt(0)
	s_add_u32 s0, s16, s0
	s_addc_u32 s1, s17, s1
	s_load_dword s16, s[0:1], 0x0
	s_waitcnt lgkmcnt(0)
	s_ashr_i32 s17, s16, 31
	s_lshl_b64 s[10:11], s[16:17], 2
	s_add_u32 s0, s12, s10
	s_addc_u32 s1, s13, s11
	s_load_dword s33, s[0:1], 0x0
	s_load_dword s17, s[4:5], 0x48
	s_waitcnt lgkmcnt(0)
	s_cmp_lg_u32 s33, -1
	s_cbranch_scc0 .LBB54_92
; %bb.1:
	s_load_dwordx4 s[20:23], s[4:5], 0x10
	s_load_dwordx2 s[24:25], s[4:5], 0x20
	v_lshlrev_b32_e32 v17, 3, v16
	v_add_u32_e32 v1, v17, v15
	s_waitcnt lgkmcnt(0)
	s_add_u32 s0, s20, s10
	s_addc_u32 s1, s21, s11
	s_load_dword s26, s[0:1], 0x0
	s_waitcnt lgkmcnt(0)
	s_sub_i32 s42, s26, s17
	v_add_u32_e32 v0, s42, v1
	v_cmp_ge_i32_e32 vcc, s33, v0
	s_and_saveexec_b64 s[0:1], vcc
	s_cbranch_execz .LBB54_14
; %bb.2:
	v_add_u32_e32 v1, s26, v1
	v_subrev_u32_e32 v1, s17, v1
	v_add_u32_e32 v1, 64, v1
	s_add_i32 s2, s33, 1
	v_max_i32_e32 v1, s2, v1
	v_not_b32_e32 v2, v15
	v_add3_u32 v1, v1, s17, v2
	v_add_u32_e32 v2, s26, v17
	v_sub_u32_e32 v1, v1, v2
	v_cmp_lt_u32_e32 vcc, 63, v1
	s_mov_b64 s[6:7], -1
	s_and_saveexec_b64 s[2:3], vcc
	s_cbranch_execz .LBB54_11
; %bb.3:
	v_lshrrev_b32_e32 v12, 6, v1
	v_add_u32_e32 v2, -1, v12
	v_add_u32_e32 v1, 64, v0
	v_lshrrev_b32_e32 v3, 1, v2
	v_add_u32_e32 v13, 1, v3
	v_cmp_lt_u32_e32 vcc, 13, v2
	v_pk_mov_b32 v[2:3], v[0:1], v[0:1] op_sel:[0,1]
	s_and_saveexec_b64 s[6:7], vcc
	s_cbranch_execz .LBB54_7
; %bb.4:
	v_and_b32_e32 v14, -8, v13
	s_mov_b64 s[8:9], 0
	v_mov_b32_e32 v18, s23
	v_pk_mov_b32 v[2:3], v[0:1], v[0:1] op_sel:[0,1]
.LBB54_5:                               ; =>This Inner Loop Header: Depth=1
	v_ashrrev_i32_e32 v23, 31, v2
	v_mov_b32_e32 v22, v2
	v_lshlrev_b64 v[22:23], 2, v[22:23]
	v_ashrrev_i32_e32 v21, 31, v3
	v_mov_b32_e32 v20, v3
	v_add_co_u32_e32 v22, vcc, s22, v22
	v_add_u32_e32 v4, 0x80, v2
	v_lshlrev_b64 v[20:21], 2, v[20:21]
	v_addc_co_u32_e32 v23, vcc, v18, v23, vcc
	v_ashrrev_i32_e32 v5, 31, v4
	v_add_co_u32_e32 v20, vcc, s22, v20
	v_add_u32_e32 v6, 0x80, v3
	v_addc_co_u32_e32 v21, vcc, v18, v21, vcc
	v_lshlrev_b64 v[44:45], 2, v[4:5]
	v_ashrrev_i32_e32 v7, 31, v6
	global_load_dword v1, v[22:23], off
	global_load_dword v5, v[20:21], off
	v_add_co_u32_e32 v20, vcc, s22, v44
	v_add_u32_e32 v8, 0x100, v2
	v_lshlrev_b64 v[46:47], 2, v[6:7]
	v_addc_co_u32_e32 v21, vcc, v18, v45, vcc
	v_ashrrev_i32_e32 v9, 31, v8
	v_add_co_u32_e32 v22, vcc, s22, v46
	v_add_u32_e32 v10, 0x100, v3
	v_lshlrev_b64 v[48:49], 2, v[8:9]
	v_addc_co_u32_e32 v23, vcc, v18, v47, vcc
	v_ashrrev_i32_e32 v11, 31, v10
	;; [unrolled: 5-line block ×12, first 2 shown]
	v_add_co_u32_e32 v64, vcc, s22, v68
	v_lshlrev_b64 v[70:71], 2, v[42:43]
	v_addc_co_u32_e32 v65, vcc, v18, v69, vcc
	v_add_co_u32_e32 v66, vcc, s22, v70
	v_addc_co_u32_e32 v67, vcc, v18, v71, vcc
	global_load_dword v7, v[22:23], off
	global_load_dword v9, v[20:21], off
	;; [unrolled: 1-line block ×14, first 2 shown]
	v_subrev_u32_e32 v21, s42, v2
	v_add_u32_e32 v14, -8, v14
	v_subrev_u32_e32 v20, s42, v3
	v_lshlrev_b32_e32 v21, 2, v21
	v_subrev_u32_e32 v4, s42, v4
	v_cmp_eq_u32_e32 vcc, 0, v14
	s_waitcnt vmcnt(14)
	v_subrev_u32_e32 v5, s17, v5
	v_subrev_u32_e32 v1, s17, v1
	v_add_u32_e32 v3, 0x400, v3
	v_add_u32_e32 v2, 0x400, v2
	v_lshlrev_b32_e32 v20, 2, v20
	v_subrev_u32_e32 v6, s42, v6
	v_subrev_u32_e32 v10, s42, v10
	;; [unrolled: 1-line block ×13, first 2 shown]
	v_lshlrev_b32_e32 v4, 2, v4
	s_or_b64 s[8:9], vcc, s[8:9]
	ds_write_b32 v21, v1 offset:3328
	ds_write_b32 v20, v5 offset:3328
	v_lshlrev_b32_e32 v6, 2, v6
	v_lshlrev_b32_e32 v8, 2, v8
	;; [unrolled: 1-line block ×13, first 2 shown]
	s_waitcnt vmcnt(13)
	v_subrev_u32_e32 v1, s17, v7
	s_waitcnt vmcnt(12)
	v_subrev_u32_e32 v5, s17, v9
	;; [unrolled: 2-line block ×14, first 2 shown]
	ds_write_b32 v4, v5 offset:3328
	ds_write_b32 v6, v1 offset:3328
	;; [unrolled: 1-line block ×14, first 2 shown]
	s_andn2_b64 exec, exec, s[8:9]
	s_cbranch_execnz .LBB54_5
; %bb.6:
	s_or_b64 exec, exec, s[8:9]
.LBB54_7:
	s_or_b64 exec, exec, s[6:7]
	v_and_b32_e32 v1, 7, v13
	v_cmp_ne_u32_e32 vcc, 0, v1
	s_and_saveexec_b64 s[6:7], vcc
	s_cbranch_execz .LBB54_10
; %bb.8:
	s_mov_b64 s[8:9], 0
	v_mov_b32_e32 v4, s23
.LBB54_9:                               ; =>This Inner Loop Header: Depth=1
	v_ashrrev_i32_e32 v9, 31, v2
	v_mov_b32_e32 v8, v2
	v_lshlrev_b64 v[8:9], 2, v[8:9]
	v_ashrrev_i32_e32 v7, 31, v3
	v_mov_b32_e32 v6, v3
	v_add_co_u32_e32 v8, vcc, s22, v8
	v_lshlrev_b64 v[6:7], 2, v[6:7]
	v_addc_co_u32_e32 v9, vcc, v4, v9, vcc
	v_add_co_u32_e32 v6, vcc, s22, v6
	v_addc_co_u32_e32 v7, vcc, v4, v7, vcc
	global_load_dword v5, v[6:7], off
	global_load_dword v10, v[8:9], off
	v_add_u32_e32 v1, -1, v1
	v_subrev_u32_e32 v7, s42, v2
	v_cmp_eq_u32_e32 vcc, 0, v1
	v_subrev_u32_e32 v6, s42, v3
	v_add_u32_e32 v3, 0x80, v3
	v_add_u32_e32 v2, 0x80, v2
	v_lshlrev_b32_e32 v7, 2, v7
	s_or_b64 s[8:9], vcc, s[8:9]
	v_lshlrev_b32_e32 v6, 2, v6
	s_waitcnt vmcnt(1)
	v_subrev_u32_e32 v5, s17, v5
	s_waitcnt vmcnt(0)
	v_subrev_u32_e32 v8, s17, v10
	ds_write_b32 v7, v8 offset:3328
	ds_write_b32 v6, v5 offset:3328
	s_andn2_b64 exec, exec, s[8:9]
	s_cbranch_execnz .LBB54_9
.LBB54_10:
	s_or_b64 exec, exec, s[6:7]
	v_add_u32_e32 v1, 1, v12
	v_and_b32_e32 v2, 0x7fffffe, v1
	v_cmp_ne_u32_e32 vcc, v1, v2
	v_lshl_add_u32 v0, v2, 6, v0
	s_orn2_b64 s[6:7], vcc, exec
.LBB54_11:
	s_or_b64 exec, exec, s[2:3]
	s_and_b64 exec, exec, s[6:7]
	s_cbranch_execz .LBB54_14
; %bb.12:
	v_add_u32_e32 v1, s17, v0
	v_subrev_u32_e32 v1, s26, v1
	v_mov_b32_e32 v2, 0xd00
	v_lshl_add_u32 v4, v1, 2, v2
	v_ashrrev_i32_e32 v1, 31, v0
	v_lshlrev_b64 v[2:3], 2, v[0:1]
	v_mov_b32_e32 v1, s23
	v_add_co_u32_e32 v2, vcc, s22, v2
	v_addc_co_u32_e32 v3, vcc, v1, v3, vcc
	s_mov_b64 s[2:3], 0
.LBB54_13:                              ; =>This Inner Loop Header: Depth=1
	global_load_dword v1, v[2:3], off
	v_add_co_u32_e32 v2, vcc, 0x100, v2
	v_add_u32_e32 v0, 64, v0
	v_addc_co_u32_e32 v3, vcc, 0, v3, vcc
	v_cmp_lt_i32_e32 vcc, s33, v0
	s_or_b64 s[2:3], vcc, s[2:3]
	s_waitcnt vmcnt(0)
	v_subrev_u32_e32 v1, s17, v1
	ds_write_b32 v4, v1
	v_add_u32_e32 v4, 0x100, v4
	s_andn2_b64 exec, exec, s[2:3]
	s_cbranch_execnz .LBB54_13
.LBB54_14:
	s_or_b64 exec, exec, s[0:1]
	s_load_dword s44, s[4:5], 0x0
	s_load_dword s43, s[4:5], 0x8
	v_lshlrev_b32_e32 v18, 3, v15
	s_movk_i32 s45, 0x48
	v_mad_u32_u24 v19, v16, s45, v18
	v_mov_b32_e32 v0, 0
	v_add_u32_e32 v3, 0x6c0, v19
	s_mov_b32 s26, 0
	v_mov_b32_e32 v1, v0
	s_cmp_ge_i32 s42, s33
	ds_write_b64 v19, v[0:1] offset:1728
	s_waitcnt lgkmcnt(0)
	s_cbranch_scc1 .LBB54_68
; %bb.15:
	s_cmp_eq_u32 s44, 0
	s_cselect_b64 vcc, -1, 0
	s_cmp_lg_u32 s44, 0
	v_cmp_gt_i32_e64 s[0:1], s43, v15
	v_cmp_gt_i32_e64 s[2:3], s43, v16
	s_cselect_b64 s[28:29], -1, 0
	s_and_b64 s[30:31], s[0:1], s[2:3]
	s_cmp_gt_i32 s43, 0
	v_mov_b32_e32 v1, 0x480
	s_cselect_b64 s[6:7], -1, 0
	v_mad_u32_u24 v1, v16, s45, v1
	v_or_b32_e32 v2, v15, v16
	v_cndmask_b32_e64 v4, 0, 1, s[6:7]
	v_add_u32_e32 v20, v1, v18
	s_mul_i32 s46, s43, s43
	v_mul_lo_u32 v21, v15, s43
	v_mul_lo_u32 v22, v16, s43
	v_add_u32_e32 v23, 0x240, v19
	v_cmp_ne_u32_e64 s[4:5], 0, v2
	v_cndmask_b32_e32 v2, v16, v15, vcc
	v_cndmask_b32_e32 v24, v15, v16, vcc
	v_mov_b32_e32 v25, 0
	v_cmp_ne_u32_e64 s[6:7], 1, v4
	s_mov_b32 s34, s42
	s_branch .LBB54_18
.LBB54_16:                              ;   in Loop: Header=BB54_18 Depth=1
	s_or_b64 exec, exec, s[8:9]
	s_add_i32 s34, s34, 1
	s_cmp_ge_i32 s34, s33
	s_cselect_b64 s[38:39], -1, 0
	s_waitcnt vmcnt(0)
	buffer_wbinvl1_vol
.LBB54_17:                              ;   in Loop: Header=BB54_18 Depth=1
	s_and_b64 vcc, exec, s[38:39]
	s_cbranch_vccnz .LBB54_68
.LBB54_18:                              ; =>This Loop Header: Depth=1
                                        ;     Child Loop BB54_23 Depth 2
                                        ;     Child Loop BB54_34 Depth 2
	;; [unrolled: 1-line block ×3, first 2 shown]
                                        ;       Child Loop BB54_65 Depth 3
	s_ashr_i32 s35, s34, 31
	s_lshl_b64 s[8:9], s[34:35], 2
	s_add_u32 s8, s22, s8
	s_addc_u32 s9, s23, s9
	s_load_dword s35, s[8:9], 0x0
	s_waitcnt lgkmcnt(0)
	s_sub_i32 s36, s35, s17
	s_ashr_i32 s37, s36, 31
	s_lshl_b64 s[8:9], s[36:37], 2
	s_add_u32 s38, s12, s8
	s_addc_u32 s39, s13, s9
	s_load_dword s27, s[38:39], 0x0
	s_mov_b64 s[38:39], -1
	s_waitcnt lgkmcnt(0)
	s_cmp_eq_u32 s27, -1
	s_cbranch_scc1 .LBB54_17
; %bb.19:                               ;   in Loop: Header=BB54_18 Depth=1
	s_add_u32 s38, s20, s8
	v_mov_b32_e32 v4, 0
	s_mul_i32 s40, s34, s43
	s_addc_u32 s39, s21, s9
	s_mov_b32 s37, 0
	v_add_u32_e32 v26, s40, v24
	v_mov_b32_e32 v5, v4
	s_and_saveexec_b64 s[40:41], s[30:31]
	s_cbranch_execz .LBB54_21
; %bb.20:                               ;   in Loop: Header=BB54_18 Depth=1
	v_mad_u64_u32 v[4:5], s[48:49], v26, s43, v[2:3]
	v_ashrrev_i32_e32 v5, 31, v4
	v_lshlrev_b64 v[4:5], 3, v[4:5]
	v_mov_b32_e32 v6, s25
	v_add_co_u32_e32 v4, vcc, s24, v4
	v_addc_co_u32_e32 v5, vcc, v6, v5, vcc
	global_load_dwordx2 v[4:5], v[4:5], off
.LBB54_21:                              ;   in Loop: Header=BB54_18 Depth=1
	s_or_b64 exec, exec, s[40:41]
	s_load_dword s38, s[38:39], 0x0
	ds_read_b32 v6, v25 offset:3328
	s_waitcnt vmcnt(0)
	ds_write_b64 v20, v[4:5]
	s_waitcnt lgkmcnt(0)
	s_sub_i32 s38, s38, s17
	s_cmp_le_i32 s38, s27
	v_cmp_ge_i32_e32 vcc, s36, v6
	s_cselect_b64 s[40:41], -1, 0
	s_and_b64 s[40:41], s[40:41], vcc
	s_andn2_b64 vcc, exec, s[40:41]
	s_cbranch_vccnz .LBB54_33
; %bb.22:                               ;   in Loop: Header=BB54_18 Depth=1
	s_mov_b32 s47, 0
	s_mov_b32 s48, 0
.LBB54_23:                              ;   Parent Loop BB54_18 Depth=1
                                        ; =>  This Inner Loop Header: Depth=2
	s_ashr_i32 s39, s38, 31
	s_lshl_b64 s[40:41], s[38:39], 2
	s_add_u32 s40, s22, s40
	s_addc_u32 s41, s23, s41
	s_lshl_b32 s39, s48, 2
	s_load_dword s37, s[40:41], 0x0
	v_mov_b32_e32 v4, s39
	ds_read_b32 v4, v4 offset:3328
	s_mov_b64 s[40:41], -1
                                        ; implicit-def: $sgpr50
                                        ; implicit-def: $sgpr49
	s_waitcnt lgkmcnt(0)
	s_sub_i32 s51, s37, s17
                                        ; implicit-def: $sgpr37
	v_cmp_ge_i32_e32 vcc, s51, v4
	v_readfirstlane_b32 s39, v4
	s_cbranch_vccz .LBB54_29
; %bb.24:                               ;   in Loop: Header=BB54_23 Depth=2
	s_cmp_le_i32 s51, s39
                                        ; implicit-def: $sgpr37
                                        ; implicit-def: $sgpr50
                                        ; implicit-def: $sgpr49
	s_cbranch_scc0 .LBB54_26
; %bb.25:                               ;   in Loop: Header=BB54_23 Depth=2
	s_add_i32 s37, s48, s42
	s_mul_i32 s37, s37, s46
	s_lshl_b32 s40, s47, 2
	v_mov_b32_e32 v5, s37
	s_mul_i32 s37, s38, s46
	v_mov_b32_e32 v4, s40
	v_mov_b32_e32 v6, s37
	ds_write2st64_b32 v4, v6, v5 offset0:9 offset1:11
	s_add_i32 s49, s48, 1
	s_add_i32 s50, s38, 1
	;; [unrolled: 1-line block ×3, first 2 shown]
	s_mov_b64 s[40:41], 0
.LBB54_26:                              ;   in Loop: Header=BB54_23 Depth=2
	s_andn2_b64 vcc, exec, s[40:41]
	s_cbranch_vccnz .LBB54_28
; %bb.27:                               ;   in Loop: Header=BB54_23 Depth=2
	s_add_i32 s49, s48, 1
	s_mov_b32 s37, s47
	s_mov_b32 s50, s38
.LBB54_28:                              ;   in Loop: Header=BB54_23 Depth=2
	s_mov_b64 s[40:41], 0
.LBB54_29:                              ;   in Loop: Header=BB54_23 Depth=2
	s_andn2_b64 vcc, exec, s[40:41]
	s_cbranch_vccnz .LBB54_31
; %bb.30:                               ;   in Loop: Header=BB54_23 Depth=2
	s_add_i32 s50, s38, 1
	s_mov_b32 s49, s48
	s_mov_b32 s37, s47
.LBB54_31:                              ;   in Loop: Header=BB54_23 Depth=2
	s_cmp_le_i32 s50, s27
	s_cselect_b64 s[40:41], -1, 0
	s_cmp_le_i32 s39, s36
	s_cselect_b64 s[38:39], -1, 0
	s_and_b64 s[38:39], s[40:41], s[38:39]
	s_and_b64 vcc, exec, s[38:39]
	s_cbranch_vccz .LBB54_33
; %bb.32:                               ;   in Loop: Header=BB54_23 Depth=2
	s_mov_b32 s47, s37
	s_mov_b32 s38, s50
	;; [unrolled: 1-line block ×3, first 2 shown]
	s_branch .LBB54_23
.LBB54_33:                              ;   in Loop: Header=BB54_18 Depth=1
	s_add_u32 s8, s14, s8
	s_addc_u32 s9, s15, s9
	s_waitcnt lgkmcnt(0)
.LBB54_34:                              ;   Parent Loop BB54_18 Depth=1
                                        ; =>  This Inner Loop Header: Depth=2
	global_load_dword v4, v25, s[8:9] glc
	s_waitcnt vmcnt(0)
	v_cmp_eq_u32_e32 vcc, 0, v4
	s_cbranch_vccnz .LBB54_34
; %bb.35:                               ;   in Loop: Header=BB54_18 Depth=1
	v_mov_b32_e32 v4, 0
	v_mov_b32_e32 v5, v4
	buffer_wbinvl1_vol
	s_and_saveexec_b64 s[8:9], s[30:31]
	s_cbranch_execz .LBB54_37
; %bb.36:                               ;   in Loop: Header=BB54_18 Depth=1
	s_mul_i32 s27, s27, s43
	v_add_u32_e32 v4, s27, v24
	v_mad_u64_u32 v[4:5], s[38:39], v4, s43, v[2:3]
	v_ashrrev_i32_e32 v5, 31, v4
	v_lshlrev_b64 v[4:5], 3, v[4:5]
	v_mov_b32_e32 v6, s25
	v_add_co_u32_e32 v4, vcc, s24, v4
	v_addc_co_u32_e32 v5, vcc, v6, v5, vcc
	global_load_dwordx2 v[4:5], v[4:5], off
.LBB54_37:                              ;   in Loop: Header=BB54_18 Depth=1
	s_or_b64 exec, exec, s[8:9]
	s_mov_b32 s27, s26
	s_cmp_lt_i32 s37, 2
	v_pk_mov_b32 v[10:11], s[26:27], s[26:27] op_sel:[0,1]
	s_waitcnt vmcnt(0)
	ds_write_b64 v19, v[4:5]
	s_waitcnt lgkmcnt(0)
	s_cbranch_scc1 .LBB54_56
; %bb.38:                               ;   in Loop: Header=BB54_18 Depth=1
	s_add_i32 s36, s37, -2
	s_mov_b32 s37, 0
	v_pk_mov_b32 v[6:7], s[26:27], s[26:27] op_sel:[0,1]
	s_and_b64 vcc, exec, s[6:7]
	s_cbranch_vccnz .LBB54_53
.LBB54_39:                              ;   in Loop: Header=BB54_18 Depth=1
	s_lshl_b32 s8, s37, 2
	v_mov_b32_e32 v4, s8
	ds_read2st64_b32 v[8:9], v4 offset0:9 offset1:11
	s_mov_b32 s27, 0
	s_waitcnt lgkmcnt(0)
	v_add_u32_e32 v27, v8, v21
	v_add_u32_e32 v28, v9, v22
	;; [unrolled: 1-line block ×4, first 2 shown]
	s_and_b64 vcc, exec, s[28:29]
	s_cbranch_vccz .LBB54_45
.LBB54_40:                              ;   in Loop: Header=BB54_18 Depth=1
	v_mov_b32_e32 v12, 0
	v_mov_b32_e32 v10, 0
	;; [unrolled: 1-line block ×3, first 2 shown]
	s_and_saveexec_b64 s[8:9], s[0:1]
	s_cbranch_execz .LBB54_42
; %bb.41:                               ;   in Loop: Header=BB54_18 Depth=1
	v_ashrrev_i32_e32 v9, 31, v8
	v_lshlrev_b64 v[10:11], 3, v[8:9]
	v_mov_b32_e32 v5, s25
	v_add_co_u32_e32 v10, vcc, s24, v10
	v_addc_co_u32_e32 v11, vcc, v5, v11, vcc
	global_load_dwordx2 v[10:11], v[10:11], off
.LBB54_42:                              ;   in Loop: Header=BB54_18 Depth=1
	s_or_b64 exec, exec, s[8:9]
	v_mov_b32_e32 v14, 0
	s_and_saveexec_b64 s[8:9], s[2:3]
	s_cbranch_execz .LBB54_44
; %bb.43:                               ;   in Loop: Header=BB54_18 Depth=1
	v_ashrrev_i32_e32 v5, 31, v4
	v_lshlrev_b64 v[12:13], 3, v[4:5]
	v_mov_b32_e32 v5, s25
	v_add_co_u32_e32 v12, vcc, s24, v12
	v_addc_co_u32_e32 v13, vcc, v5, v13, vcc
	global_load_dwordx2 v[12:13], v[12:13], off
	s_waitcnt vmcnt(0)
	v_mov_b32_e32 v14, v13
.LBB54_44:                              ;   in Loop: Header=BB54_18 Depth=1
	s_or_b64 exec, exec, s[8:9]
	s_waitcnt vmcnt(0)
	v_mov_b32_e32 v30, v11
	v_mov_b32_e32 v31, v10
	v_pk_fma_f32 v[12:13], v[30:31], v[12:13], v[6:7] op_sel_hi:[1,0,1]
	v_pk_fma_f32 v[10:11], v[10:11], v[14:15], v[12:13] op_sel_hi:[1,0,1] neg_lo:[0,1,0]
	s_branch .LBB54_51
.LBB54_45:                              ;   in Loop: Header=BB54_18 Depth=1
                                        ; implicit-def: $vgpr10_vgpr11
	s_cbranch_execz .LBB54_51
; %bb.46:                               ;   in Loop: Header=BB54_18 Depth=1
	v_mov_b32_e32 v12, 0
	v_mov_b32_e32 v10, 0
	;; [unrolled: 1-line block ×3, first 2 shown]
	s_and_saveexec_b64 s[8:9], s[0:1]
	s_cbranch_execz .LBB54_48
; %bb.47:                               ;   in Loop: Header=BB54_18 Depth=1
	v_add_u32_e32 v10, s27, v27
	v_ashrrev_i32_e32 v11, 31, v10
	v_lshlrev_b64 v[10:11], 3, v[10:11]
	v_mov_b32_e32 v5, s25
	v_add_co_u32_e32 v10, vcc, s24, v10
	v_addc_co_u32_e32 v11, vcc, v5, v11, vcc
	global_load_dwordx2 v[10:11], v[10:11], off
.LBB54_48:                              ;   in Loop: Header=BB54_18 Depth=1
	s_or_b64 exec, exec, s[8:9]
	v_mov_b32_e32 v14, 0
	s_and_saveexec_b64 s[8:9], s[2:3]
	s_cbranch_execz .LBB54_50
; %bb.49:                               ;   in Loop: Header=BB54_18 Depth=1
	v_add_u32_e32 v12, s27, v28
	v_ashrrev_i32_e32 v13, 31, v12
	v_lshlrev_b64 v[12:13], 3, v[12:13]
	v_mov_b32_e32 v5, s25
	v_add_co_u32_e32 v12, vcc, s24, v12
	v_addc_co_u32_e32 v13, vcc, v5, v13, vcc
	global_load_dwordx2 v[12:13], v[12:13], off
	s_waitcnt vmcnt(0)
	v_mov_b32_e32 v14, v13
.LBB54_50:                              ;   in Loop: Header=BB54_18 Depth=1
	s_or_b64 exec, exec, s[8:9]
	s_waitcnt vmcnt(0)
	v_mov_b32_e32 v30, v11
	v_mov_b32_e32 v31, v10
	v_pk_fma_f32 v[6:7], v[30:31], v[12:13], v[6:7] op_sel_hi:[1,0,1]
	v_pk_fma_f32 v[10:11], v[10:11], v[14:15], v[6:7] op_sel_hi:[1,0,1] neg_lo:[0,1,0]
.LBB54_51:                              ;   in Loop: Header=BB54_18 Depth=1
	s_add_i32 s27, s27, 1
	v_add_u32_e32 v4, s43, v4
	s_cmp_eq_u32 s43, s27
	v_add_u32_e32 v8, s43, v8
	s_cbranch_scc1 .LBB54_54
; %bb.52:                               ;   in Loop: Header=BB54_18 Depth=1
	v_pk_mov_b32 v[6:7], v[10:11], v[10:11] op_sel:[0,1]
	s_and_b64 vcc, exec, s[28:29]
	s_cbranch_vccz .LBB54_45
	s_branch .LBB54_40
.LBB54_53:                              ;   in Loop: Header=BB54_18 Depth=1
	v_pk_mov_b32 v[10:11], v[6:7], v[6:7] op_sel:[0,1]
.LBB54_54:                              ;   in Loop: Header=BB54_18 Depth=1
	s_add_i32 s8, s37, 1
	s_cmp_eq_u32 s37, s36
	s_cbranch_scc1 .LBB54_56
; %bb.55:                               ;   in Loop: Header=BB54_18 Depth=1
	s_mov_b32 s37, s8
	v_pk_mov_b32 v[6:7], v[10:11], v[10:11] op_sel:[0,1]
	s_and_b64 vcc, exec, s[6:7]
	s_cbranch_vccz .LBB54_39
	s_branch .LBB54_53
.LBB54_56:                              ;   in Loop: Header=BB54_18 Depth=1
	v_mov_b32_e32 v4, v11
	v_mov_b32_e32 v5, v10
	s_and_b64 vcc, exec, s[6:7]
	ds_write_b64 v23, v[4:5]
	s_waitcnt lgkmcnt(0)
	s_cbranch_vccnz .LBB54_66
; %bb.57:                               ;   in Loop: Header=BB54_18 Depth=1
	s_mov_b32 s27, 0
	s_mov_b32 s38, 0
	s_branch .LBB54_59
.LBB54_58:                              ;   in Loop: Header=BB54_59 Depth=2
	v_mul_f32_e32 v9, v6, v6
	v_fmac_f32_e32 v9, v8, v8
	v_div_scale_f32 v12, s[8:9], v9, v9, 1.0
	v_rcp_f32_e32 v13, v12
	v_div_scale_f32 v14, vcc, 1.0, v9, 1.0
	v_mov_b32_e32 v29, v4
	v_fma_f32 v27, -v12, v13, 1.0
	v_fmac_f32_e32 v13, v27, v13
	v_mul_f32_e32 v27, v14, v13
	v_fma_f32 v28, -v12, v27, v14
	v_fmac_f32_e32 v27, v28, v13
	v_fma_f32 v12, -v12, v27, v14
	v_mov_b32_e32 v28, v5
	v_add_u32_e32 v7, 0x480, v7
	v_div_fmas_f32 v12, v12, v13, v27
	v_pk_add_f32 v[4:5], v[28:29], v[10:11] neg_lo:[0,1] neg_hi:[0,1]
	v_div_fixup_f32 v12, v12, v9, 1.0
	v_mul_u32_u24_e32 v9, 0x48, v15
	v_pk_mul_f32 v[10:11], v[6:7], v[4:5] op_sel:[0,1] op_sel_hi:[0,0] neg_lo:[0,1]
	v_lshl_add_u32 v13, s38, 3, v9
	v_pk_fma_f32 v[4:5], v[4:5], v[8:9], v[10:11] op_sel_hi:[1,0,1]
	v_pk_mul_f32 v[4:5], v[12:13], v[4:5] op_sel_hi:[0,1]
	v_mov_b32_e32 v8, v5
	v_mov_b32_e32 v9, v4
	ds_write_b64 v7, v[8:9]
	s_waitcnt lgkmcnt(0)
	ds_read_b64 v[6:7], v13 offset:1152
	ds_read_b64 v[8:9], v3
	s_add_i32 s38, s38, 1
	s_addk_i32 s27, 0x48
	s_cmp_eq_u32 s38, s43
	s_waitcnt lgkmcnt(0)
	v_pk_fma_f32 v[8:9], v[4:5], v[6:7], v[8:9] op_sel:[1,0,0] op_sel_hi:[0,0,1]
	v_pk_fma_f32 v[4:5], v[4:5], v[6:7], v[8:9] op_sel:[0,1,0] neg_hi:[0,1,0]
	ds_write_b64 v3, v[4:5]
	s_waitcnt lgkmcnt(0)
	s_cbranch_scc1 .LBB54_66
.LBB54_59:                              ;   Parent Loop BB54_18 Depth=1
                                        ; =>  This Loop Header: Depth=2
                                        ;       Child Loop BB54_65 Depth 3
	s_lshl_b32 s8, s38, 3
	s_mul_i32 s9, s38, 0x48
	s_add_i32 s9, s8, s9
	v_mov_b32_e32 v4, s9
	ds_read_b64 v[8:9], v4
	v_mov_b32_e32 v4, s8
	v_mad_u32_u24 v7, v16, s45, v4
	ds_read_b64 v[4:5], v7 offset:1152
	s_waitcnt lgkmcnt(1)
	v_cmp_neq_f32_e32 vcc, 0, v8
	v_cmp_neq_f32_e64 s[8:9], 0, v9
	s_or_b64 vcc, vcc, s[8:9]
	s_or_b64 s[8:9], vcc, s[4:5]
	v_cndmask_b32_e32 v6, 0, v9, vcc
	s_xor_b64 s[36:37], s[8:9], -1
	v_cndmask_b32_e32 v8, 1.0, v8, vcc
	s_and_saveexec_b64 s[8:9], s[36:37]
	s_cbranch_execz .LBB54_63
; %bb.60:                               ;   in Loop: Header=BB54_59 Depth=2
	v_mbcnt_lo_u32_b32 v6, exec_lo, 0
	v_mbcnt_hi_u32_b32 v6, exec_hi, v6
	v_cmp_eq_u32_e32 vcc, 0, v6
	s_and_saveexec_b64 s[36:37], vcc
	s_cbranch_execz .LBB54_62
; %bb.61:                               ;   in Loop: Header=BB54_59 Depth=2
	v_mov_b32_e32 v6, s35
	global_atomic_smin v25, v6, s[18:19]
.LBB54_62:                              ;   in Loop: Header=BB54_59 Depth=2
	s_or_b64 exec, exec, s[36:37]
	v_mov_b32_e32 v6, 0
	v_mov_b32_e32 v8, 1.0
.LBB54_63:                              ;   in Loop: Header=BB54_59 Depth=2
	s_or_b64 exec, exec, s[8:9]
	v_mul_u32_u24_e32 v9, 0x48, v16
	v_lshl_add_u32 v9, s38, 3, v9
	ds_read_b64 v[12:13], v9 offset:576
	s_cmp_eq_u32 s38, 0
	s_waitcnt lgkmcnt(0)
	v_mov_b32_e32 v10, v13
	v_mov_b32_e32 v11, v12
	s_cbranch_scc1 .LBB54_58
; %bb.64:                               ;   in Loop: Header=BB54_59 Depth=2
	s_mov_b32 s8, 0
	v_mov_b32_e32 v9, v1
	s_mov_b32 s9, s27
.LBB54_65:                              ;   Parent Loop BB54_18 Depth=1
                                        ;     Parent Loop BB54_59 Depth=2
                                        ; =>    This Inner Loop Header: Depth=3
	v_mov_b32_e32 v14, s9
	ds_read_b64 v[12:13], v9
	ds_read_b64 v[28:29], v14
	s_add_i32 s8, s8, 1
	s_add_i32 s9, s9, 8
	v_add_u32_e32 v9, 8, v9
	s_cmp_ge_u32 s8, s38
	s_waitcnt lgkmcnt(0)
	v_pk_fma_f32 v[10:11], v[28:29], v[12:13], v[10:11] op_sel:[1,0,0] op_sel_hi:[0,0,1]
	v_pk_fma_f32 v[10:11], v[28:29], v[12:13], v[10:11] op_sel:[0,1,0] neg_lo:[0,1,0]
	s_cbranch_scc0 .LBB54_65
	s_branch .LBB54_58
.LBB54_66:                              ;   in Loop: Header=BB54_18 Depth=1
	s_and_saveexec_b64 s[8:9], s[30:31]
	s_cbranch_execz .LBB54_16
; %bb.67:                               ;   in Loop: Header=BB54_18 Depth=1
	ds_read_b64 v[4:5], v20
	v_mad_u64_u32 v[6:7], s[36:37], v26, s43, v[2:3]
	v_ashrrev_i32_e32 v7, 31, v6
	v_lshlrev_b64 v[6:7], 3, v[6:7]
	v_mov_b32_e32 v8, s25
	v_add_co_u32_e32 v6, vcc, s24, v6
	v_addc_co_u32_e32 v7, vcc, v8, v7, vcc
	s_waitcnt lgkmcnt(0)
	global_store_dwordx2 v[6:7], v[4:5], off
	s_branch .LBB54_16
.LBB54_68:
	s_cmp_eq_u32 s44, 0
	v_max_i32_e32 v1, v15, v16
	s_cselect_b64 vcc, -1, 0
	v_cmp_gt_i32_e64 s[0:1], s43, v1
	v_cndmask_b32_e32 v1, v15, v16, vcc
	s_mul_i32 s33, s33, s43
	v_cndmask_b32_e32 v2, v16, v15, vcc
	v_add_u32_e32 v5, s33, v1
	v_mov_b32_e32 v1, 0
	s_and_saveexec_b64 s[2:3], s[0:1]
	s_cbranch_execz .LBB54_70
; %bb.69:
	v_mad_u64_u32 v[0:1], s[4:5], v5, s43, v[2:3]
	v_ashrrev_i32_e32 v1, 31, v0
	v_lshlrev_b64 v[0:1], 3, v[0:1]
	v_mov_b32_e32 v4, s25
	v_add_co_u32_e32 v0, vcc, s24, v0
	v_addc_co_u32_e32 v1, vcc, v4, v1, vcc
	global_load_dwordx2 v[0:1], v[0:1], off
.LBB54_70:
	s_or_b64 exec, exec, s[2:3]
	s_movk_i32 s4, 0x48
	v_mad_u32_u24 v6, v16, s4, v18
	s_movk_i32 s20, 0x480
	s_cmp_lt_i32 s43, 1
	s_waitcnt vmcnt(0)
	ds_write_b64 v6, v[0:1] offset:1152
	s_waitcnt lgkmcnt(0)
	s_cbranch_scc1 .LBB54_87
; %bb.71:
	v_or_b32_e32 v0, v15, v16
	v_cmp_ne_u32_e64 s[2:3], 0, v0
	v_mov_b32_e32 v0, 0x480
	v_mad_u32_u24 v7, v16, s4, v0
	v_mul_u32_u24_e32 v1, 0x48, v16
	s_movk_i32 s5, 0x6c0
	s_mov_b32 s21, 0
	s_add_i32 s22, s16, s17
	v_add_u32_e32 v8, v7, v17
	v_add3_u32 v9, v1, v17, s5
	v_mad_u32_u24 v10, v15, s4, v0
	s_mov_b32 s23, 0xf800000
	v_mov_b32_e32 v11, 0x260
	v_mov_b32_e32 v1, 0
	s_branch .LBB54_73
.LBB54_72:                              ;   in Loop: Header=BB54_73 Depth=1
	s_or_b64 exec, exec, s[4:5]
	s_add_i32 s21, s21, 1
	s_addk_i32 s20, 0x50
	v_add_u32_e32 v7, 8, v7
	s_cmp_eq_u32 s43, s21
	v_add_u32_e32 v10, 8, v10
	s_waitcnt lgkmcnt(0)
	s_cbranch_scc1 .LBB54_87
.LBB54_73:                              ; =>This Inner Loop Header: Depth=1
	v_cmp_eq_u32_e32 vcc, s21, v16
	s_and_saveexec_b64 s[6:7], vcc
	s_cbranch_execz .LBB54_81
; %bb.74:                               ;   in Loop: Header=BB54_73 Depth=1
	ds_read_b64 v[12:13], v8
	ds_read_b64 v[18:19], v9
	s_waitcnt lgkmcnt(0)
	v_sub_f32_e32 v0, v12, v18
	v_sub_f32_e32 v13, v13, v19
	v_cmp_gt_f32_e32 vcc, 0, v0
	v_cndmask_b32_e64 v0, v0, -v0, vcc
	v_cmp_gt_f32_e32 vcc, 0, v13
	v_cndmask_b32_e64 v4, v13, -v13, vcc
	v_cmp_ngt_f32_e32 vcc, v0, v4
                                        ; implicit-def: $vgpr12
	s_and_saveexec_b64 s[4:5], vcc
	s_xor_b64 s[8:9], exec, s[4:5]
	s_cbranch_execz .LBB54_78
; %bb.75:                               ;   in Loop: Header=BB54_73 Depth=1
	v_cmp_neq_f32_e32 vcc, 0, v13
	v_mov_b32_e32 v12, 0
	s_and_saveexec_b64 s[12:13], vcc
	s_cbranch_execz .LBB54_77
; %bb.76:                               ;   in Loop: Header=BB54_73 Depth=1
	v_div_scale_f32 v12, s[4:5], v4, v4, v0
	v_rcp_f32_e32 v13, v12
	v_div_scale_f32 v14, vcc, v0, v4, v0
	v_fma_f32 v17, -v12, v13, 1.0
	v_fmac_f32_e32 v13, v17, v13
	v_mul_f32_e32 v17, v14, v13
	v_fma_f32 v18, -v12, v17, v14
	v_fmac_f32_e32 v17, v18, v13
	v_fma_f32 v12, -v12, v17, v14
	v_div_fmas_f32 v12, v12, v13, v17
	v_div_fixup_f32 v0, v12, v4, v0
	v_fma_f32 v0, v0, v0, 1.0
	v_mul_f32_e32 v12, 0x4f800000, v0
	v_cmp_gt_f32_e32 vcc, s23, v0
	v_cndmask_b32_e32 v0, v0, v12, vcc
	v_sqrt_f32_e32 v12, v0
	v_add_u32_e32 v13, -1, v12
	v_fma_f32 v14, -v13, v12, v0
	v_cmp_ge_f32_e64 s[4:5], 0, v14
	v_add_u32_e32 v14, 1, v12
	v_cndmask_b32_e64 v13, v12, v13, s[4:5]
	v_fma_f32 v12, -v14, v12, v0
	v_cmp_lt_f32_e64 s[4:5], 0, v12
	v_cndmask_b32_e64 v12, v13, v14, s[4:5]
	v_mul_f32_e32 v13, 0x37800000, v12
	v_cndmask_b32_e32 v12, v12, v13, vcc
	v_cmp_class_f32_e32 vcc, v0, v11
	v_cndmask_b32_e32 v0, v12, v0, vcc
	v_mul_f32_e32 v12, v4, v0
.LBB54_77:                              ;   in Loop: Header=BB54_73 Depth=1
	s_or_b64 exec, exec, s[12:13]
                                        ; implicit-def: $vgpr0
                                        ; implicit-def: $vgpr4
.LBB54_78:                              ;   in Loop: Header=BB54_73 Depth=1
	s_andn2_saveexec_b64 s[8:9], s[8:9]
	s_cbranch_execz .LBB54_80
; %bb.79:                               ;   in Loop: Header=BB54_73 Depth=1
	v_div_scale_f32 v12, s[4:5], v0, v0, v4
	v_rcp_f32_e32 v13, v12
	v_div_scale_f32 v14, vcc, v4, v0, v4
	v_fma_f32 v17, -v12, v13, 1.0
	v_fmac_f32_e32 v13, v17, v13
	v_mul_f32_e32 v17, v14, v13
	v_fma_f32 v18, -v12, v17, v14
	v_fmac_f32_e32 v17, v18, v13
	v_fma_f32 v12, -v12, v17, v14
	v_div_fmas_f32 v12, v12, v13, v17
	v_div_fixup_f32 v4, v12, v0, v4
	v_fma_f32 v4, v4, v4, 1.0
	v_mul_f32_e32 v12, 0x4f800000, v4
	v_cmp_gt_f32_e32 vcc, s23, v4
	v_cndmask_b32_e32 v4, v4, v12, vcc
	v_sqrt_f32_e32 v12, v4
	v_add_u32_e32 v13, -1, v12
	v_fma_f32 v14, -v13, v12, v4
	v_cmp_ge_f32_e64 s[4:5], 0, v14
	v_add_u32_e32 v14, 1, v12
	v_cndmask_b32_e64 v13, v12, v13, s[4:5]
	v_fma_f32 v12, -v14, v12, v4
	v_cmp_lt_f32_e64 s[4:5], 0, v12
	v_cndmask_b32_e64 v12, v13, v14, s[4:5]
	v_mul_f32_e32 v13, 0x37800000, v12
	v_cndmask_b32_e32 v12, v12, v13, vcc
	v_cmp_class_f32_e32 vcc, v4, v11
	v_cndmask_b32_e32 v4, v12, v4, vcc
	v_mul_f32_e32 v12, v0, v4
.LBB54_80:                              ;   in Loop: Header=BB54_73 Depth=1
	s_or_b64 exec, exec, s[8:9]
	v_mul_f32_e32 v0, 0x4f800000, v12
	v_cmp_gt_f32_e32 vcc, s23, v12
	v_cndmask_b32_e32 v0, v12, v0, vcc
	v_sqrt_f32_e32 v4, v0
	v_add_u32_e32 v12, -1, v4
	v_fma_f32 v14, -v12, v4, v0
	v_add_u32_e32 v13, 1, v4
	v_cmp_ge_f32_e64 s[4:5], 0, v14
	v_cndmask_b32_e64 v12, v4, v12, s[4:5]
	v_fma_f32 v4, -v13, v4, v0
	v_cmp_lt_f32_e64 s[4:5], 0, v4
	v_cndmask_b32_e64 v4, v12, v13, s[4:5]
	v_mul_f32_e32 v12, 0x37800000, v4
	v_cndmask_b32_e32 v4, v4, v12, vcc
	v_cmp_class_f32_e32 vcc, v0, v11
	v_cndmask_b32_e32 v0, v4, v0, vcc
	ds_write_b64 v8, v[0:1]
.LBB54_81:                              ;   in Loop: Header=BB54_73 Depth=1
	s_or_b64 exec, exec, s[6:7]
	v_mov_b32_e32 v0, s20
	s_waitcnt lgkmcnt(0)
	ds_read_b64 v[12:13], v0
	s_waitcnt lgkmcnt(0)
	v_cmp_neq_f32_e32 vcc, 0, v12
	v_cmp_neq_f32_e64 s[4:5], 0, v13
	s_or_b64 vcc, vcc, s[4:5]
	s_or_b64 s[4:5], vcc, s[2:3]
	v_cndmask_b32_e32 v0, 0, v13, vcc
	s_xor_b64 s[6:7], s[4:5], -1
	v_cndmask_b32_e32 v4, 1.0, v12, vcc
	s_and_saveexec_b64 s[4:5], s[6:7]
	s_cbranch_execz .LBB54_85
; %bb.82:                               ;   in Loop: Header=BB54_73 Depth=1
	v_mbcnt_lo_u32_b32 v0, exec_lo, 0
	v_mbcnt_hi_u32_b32 v0, exec_hi, v0
	v_cmp_eq_u32_e32 vcc, 0, v0
	s_and_saveexec_b64 s[6:7], vcc
	s_cbranch_execz .LBB54_84
; %bb.83:                               ;   in Loop: Header=BB54_73 Depth=1
	v_mov_b32_e32 v0, s22
	global_atomic_smin v1, v0, s[18:19]
.LBB54_84:                              ;   in Loop: Header=BB54_73 Depth=1
	s_or_b64 exec, exec, s[6:7]
	v_mov_b32_e32 v0, 0
	v_mov_b32_e32 v4, 1.0
.LBB54_85:                              ;   in Loop: Header=BB54_73 Depth=1
	s_or_b64 exec, exec, s[4:5]
	v_cmp_lt_u32_e32 vcc, s21, v16
	s_and_saveexec_b64 s[4:5], vcc
	s_cbranch_execz .LBB54_72
; %bb.86:                               ;   in Loop: Header=BB54_73 Depth=1
	v_mul_f32_e32 v12, v0, v0
	v_fmac_f32_e32 v12, v4, v4
	v_div_scale_f32 v13, s[6:7], v12, v12, 1.0
	v_rcp_f32_e32 v14, v13
	ds_read2_b64 v[18:21], v7 offset1:72
	v_fma_f32 v17, -v13, v14, 1.0
	v_fmac_f32_e32 v14, v17, v14
	v_div_scale_f32 v17, vcc, 1.0, v12, 1.0
	v_mul_f32_e32 v22, v17, v14
	v_fma_f32 v23, -v13, v22, v17
	v_fmac_f32_e32 v22, v23, v14
	v_fma_f32 v13, -v13, v22, v17
	s_waitcnt lgkmcnt(0)
	v_pk_add_f32 v[18:19], v[18:19], v[20:21] op_sel:[1,1] op_sel_hi:[0,0] neg_lo:[0,1] neg_hi:[0,1]
	v_div_fmas_f32 v13, v13, v14, v22
	v_pk_mul_f32 v[20:21], v[0:1], v[18:19] op_sel:[0,1] op_sel_hi:[0,0] neg_lo:[0,1]
	v_div_fixup_f32 v12, v13, v12, 1.0
	v_pk_fma_f32 v[18:19], v[18:19], v[4:5], v[20:21] op_sel_hi:[1,0,1]
	v_pk_mul_f32 v[12:13], v[12:13], v[18:19] op_sel_hi:[0,1]
	v_mov_b32_e32 v18, v13
	v_mov_b32_e32 v19, v12
	ds_write_b64 v7, v[18:19]
	s_waitcnt lgkmcnt(0)
	ds_read_b64 v[18:19], v10
	ds_read_b64 v[20:21], v3
	s_waitcnt lgkmcnt(0)
	v_pk_fma_f32 v[20:21], v[12:13], v[18:19], v[20:21] op_sel:[1,0,0] op_sel_hi:[0,0,1]
	v_pk_fma_f32 v[12:13], v[12:13], v[18:19], v[20:21] op_sel:[0,1,0] neg_hi:[0,1,0]
	ds_write_b64 v3, v[12:13]
	s_branch .LBB54_72
.LBB54_87:
	s_and_saveexec_b64 s[2:3], s[0:1]
	s_cbranch_execz .LBB54_89
; %bb.88:
	v_add_u32_e32 v0, 0x480, v6
	ds_read_b64 v[0:1], v0
	v_mad_u64_u32 v[2:3], s[0:1], v5, s43, v[2:3]
	v_ashrrev_i32_e32 v3, 31, v2
	v_lshlrev_b64 v[2:3], 3, v[2:3]
	v_mov_b32_e32 v4, s25
	v_add_co_u32_e32 v2, vcc, s24, v2
	v_addc_co_u32_e32 v3, vcc, v4, v3, vcc
	s_waitcnt lgkmcnt(0)
	global_store_dwordx2 v[2:3], v[0:1], off
.LBB54_89:
	s_or_b64 exec, exec, s[2:3]
	v_or_b32_e32 v0, v15, v16
	v_cmp_eq_u32_e64 s[0:1], 0, v0
.LBB54_90:
	s_and_saveexec_b64 s[2:3], s[0:1]
	s_cbranch_execnz .LBB54_98
.LBB54_91:
	s_endpgm
.LBB54_92:
	s_mov_b64 s[0:1], 0
	s_cbranch_execz .LBB54_90
; %bb.93:
	v_or_b32_e32 v0, v15, v16
	v_cmp_eq_u32_e32 vcc, 0, v0
	s_and_saveexec_b64 s[2:3], vcc
	s_cbranch_execz .LBB54_97
; %bb.94:
	v_mbcnt_lo_u32_b32 v0, exec_lo, 0
	v_mbcnt_hi_u32_b32 v0, exec_hi, v0
	v_cmp_eq_u32_e32 vcc, 0, v0
	s_and_saveexec_b64 s[4:5], vcc
	s_cbranch_execz .LBB54_96
; %bb.95:
	s_add_i32 s6, s16, s17
	v_mov_b32_e32 v0, 0
	v_mov_b32_e32 v1, s6
	global_atomic_smin v0, v1, s[18:19]
.LBB54_96:
	s_or_b64 exec, exec, s[4:5]
	s_or_b64 s[0:1], s[0:1], exec
.LBB54_97:
	s_or_b64 exec, exec, s[2:3]
	s_and_saveexec_b64 s[2:3], s[0:1]
	s_cbranch_execz .LBB54_91
.LBB54_98:
	s_add_u32 s0, s14, s10
	s_addc_u32 s1, s15, s11
	v_mov_b32_e32 v0, 0
	v_mov_b32_e32 v1, 1
	s_waitcnt vmcnt(0)
	global_store_dword v0, v1, s[0:1]
	s_endpgm
	.section	.rodata,"a",@progbits
	.p2align	6, 0x0
	.amdhsa_kernel _ZN9rocsparseL17bsric0_2_8_kernelILi64ELi128ELi8E21rocsparse_complex_numIfEEEv20rocsparse_direction_iiPKiS5_PT2_S5_PiS5_S8_21rocsparse_index_base_
		.amdhsa_group_segment_fixed_size 3840
		.amdhsa_private_segment_fixed_size 0
		.amdhsa_kernarg_size 76
		.amdhsa_user_sgpr_count 6
		.amdhsa_user_sgpr_private_segment_buffer 1
		.amdhsa_user_sgpr_dispatch_ptr 0
		.amdhsa_user_sgpr_queue_ptr 0
		.amdhsa_user_sgpr_kernarg_segment_ptr 1
		.amdhsa_user_sgpr_dispatch_id 0
		.amdhsa_user_sgpr_flat_scratch_init 0
		.amdhsa_user_sgpr_kernarg_preload_length 0
		.amdhsa_user_sgpr_kernarg_preload_offset 0
		.amdhsa_user_sgpr_private_segment_size 0
		.amdhsa_uses_dynamic_stack 0
		.amdhsa_system_sgpr_private_segment_wavefront_offset 0
		.amdhsa_system_sgpr_workgroup_id_x 1
		.amdhsa_system_sgpr_workgroup_id_y 0
		.amdhsa_system_sgpr_workgroup_id_z 0
		.amdhsa_system_sgpr_workgroup_info 0
		.amdhsa_system_vgpr_workitem_id 1
		.amdhsa_next_free_vgpr 72
		.amdhsa_next_free_sgpr 52
		.amdhsa_accum_offset 72
		.amdhsa_reserve_vcc 1
		.amdhsa_reserve_flat_scratch 0
		.amdhsa_float_round_mode_32 0
		.amdhsa_float_round_mode_16_64 0
		.amdhsa_float_denorm_mode_32 3
		.amdhsa_float_denorm_mode_16_64 3
		.amdhsa_dx10_clamp 1
		.amdhsa_ieee_mode 1
		.amdhsa_fp16_overflow 0
		.amdhsa_tg_split 0
		.amdhsa_exception_fp_ieee_invalid_op 0
		.amdhsa_exception_fp_denorm_src 0
		.amdhsa_exception_fp_ieee_div_zero 0
		.amdhsa_exception_fp_ieee_overflow 0
		.amdhsa_exception_fp_ieee_underflow 0
		.amdhsa_exception_fp_ieee_inexact 0
		.amdhsa_exception_int_div_zero 0
	.end_amdhsa_kernel
	.section	.text._ZN9rocsparseL17bsric0_2_8_kernelILi64ELi128ELi8E21rocsparse_complex_numIfEEEv20rocsparse_direction_iiPKiS5_PT2_S5_PiS5_S8_21rocsparse_index_base_,"axG",@progbits,_ZN9rocsparseL17bsric0_2_8_kernelILi64ELi128ELi8E21rocsparse_complex_numIfEEEv20rocsparse_direction_iiPKiS5_PT2_S5_PiS5_S8_21rocsparse_index_base_,comdat
.Lfunc_end54:
	.size	_ZN9rocsparseL17bsric0_2_8_kernelILi64ELi128ELi8E21rocsparse_complex_numIfEEEv20rocsparse_direction_iiPKiS5_PT2_S5_PiS5_S8_21rocsparse_index_base_, .Lfunc_end54-_ZN9rocsparseL17bsric0_2_8_kernelILi64ELi128ELi8E21rocsparse_complex_numIfEEEv20rocsparse_direction_iiPKiS5_PT2_S5_PiS5_S8_21rocsparse_index_base_
                                        ; -- End function
	.section	.AMDGPU.csdata,"",@progbits
; Kernel info:
; codeLenInByte = 4864
; NumSgprs: 56
; NumVgprs: 72
; NumAgprs: 0
; TotalNumVgprs: 72
; ScratchSize: 0
; MemoryBound: 0
; FloatMode: 240
; IeeeMode: 1
; LDSByteSize: 3840 bytes/workgroup (compile time only)
; SGPRBlocks: 6
; VGPRBlocks: 8
; NumSGPRsForWavesPerEU: 56
; NumVGPRsForWavesPerEU: 72
; AccumOffset: 72
; Occupancy: 5
; WaveLimiterHint : 1
; COMPUTE_PGM_RSRC2:SCRATCH_EN: 0
; COMPUTE_PGM_RSRC2:USER_SGPR: 6
; COMPUTE_PGM_RSRC2:TRAP_HANDLER: 0
; COMPUTE_PGM_RSRC2:TGID_X_EN: 1
; COMPUTE_PGM_RSRC2:TGID_Y_EN: 0
; COMPUTE_PGM_RSRC2:TGID_Z_EN: 0
; COMPUTE_PGM_RSRC2:TIDIG_COMP_CNT: 1
; COMPUTE_PGM_RSRC3_GFX90A:ACCUM_OFFSET: 17
; COMPUTE_PGM_RSRC3_GFX90A:TG_SPLIT: 0
	.section	.text._ZN9rocsparseL18bsric0_9_16_kernelILi64ELi128ELi16E21rocsparse_complex_numIfEEEv20rocsparse_direction_iiPKiS5_PT2_S5_PiS5_S8_21rocsparse_index_base_,"axG",@progbits,_ZN9rocsparseL18bsric0_9_16_kernelILi64ELi128ELi16E21rocsparse_complex_numIfEEEv20rocsparse_direction_iiPKiS5_PT2_S5_PiS5_S8_21rocsparse_index_base_,comdat
	.globl	_ZN9rocsparseL18bsric0_9_16_kernelILi64ELi128ELi16E21rocsparse_complex_numIfEEEv20rocsparse_direction_iiPKiS5_PT2_S5_PiS5_S8_21rocsparse_index_base_ ; -- Begin function _ZN9rocsparseL18bsric0_9_16_kernelILi64ELi128ELi16E21rocsparse_complex_numIfEEEv20rocsparse_direction_iiPKiS5_PT2_S5_PiS5_S8_21rocsparse_index_base_
	.p2align	8
	.type	_ZN9rocsparseL18bsric0_9_16_kernelILi64ELi128ELi16E21rocsparse_complex_numIfEEEv20rocsparse_direction_iiPKiS5_PT2_S5_PiS5_S8_21rocsparse_index_base_,@function
_ZN9rocsparseL18bsric0_9_16_kernelILi64ELi128ELi16E21rocsparse_complex_numIfEEEv20rocsparse_direction_iiPKiS5_PT2_S5_PiS5_S8_21rocsparse_index_base_: ; @_ZN9rocsparseL18bsric0_9_16_kernelILi64ELi128ELi16E21rocsparse_complex_numIfEEEv20rocsparse_direction_iiPKiS5_PT2_S5_PiS5_S8_21rocsparse_index_base_
; %bb.0:
	s_load_dwordx8 s[16:23], s[4:5], 0x28
	s_mov_b32 s7, 0
	s_lshl_b64 s[0:1], s[6:7], 2
	v_and_b32_e32 v1, 0x3ff, v0
	v_bfe_u32 v0, v0, 10, 10
	s_waitcnt lgkmcnt(0)
	s_add_u32 s0, s20, s0
	s_addc_u32 s1, s21, s1
	s_load_dword s20, s[0:1], 0x0
	s_waitcnt lgkmcnt(0)
	s_ashr_i32 s21, s20, 31
	s_lshl_b64 s[14:15], s[20:21], 2
	s_add_u32 s0, s16, s14
	s_addc_u32 s1, s17, s15
	s_load_dword s33, s[0:1], 0x0
	s_load_dword s21, s[4:5], 0x48
	s_waitcnt lgkmcnt(0)
	s_cmp_lg_u32 s33, -1
	s_cbranch_scc0 .LBB55_197
; %bb.1:
	s_load_dwordx4 s[24:27], s[4:5], 0x10
	v_lshlrev_b32_e32 v3, 2, v0
	v_add_u32_e32 v4, v3, v1
	s_waitcnt lgkmcnt(0)
	s_add_u32 s0, s24, s14
	s_addc_u32 s1, s25, s15
	s_load_dword s28, s[0:1], 0x0
	s_waitcnt lgkmcnt(0)
	s_sub_i32 s56, s28, s21
	v_add_u32_e32 v2, s56, v4
	v_cmp_ge_i32_e32 vcc, s33, v2
	s_and_saveexec_b64 s[2:3], vcc
	s_cbranch_execz .LBB55_16
; %bb.2:
	v_add_u32_e32 v4, s28, v4
	v_subrev_u32_e32 v4, s21, v4
	v_add_u32_e32 v4, 64, v4
	s_add_i32 s0, s33, 1
	v_max_i32_e32 v4, s0, v4
	v_not_b32_e32 v5, v1
	v_add3_u32 v4, v4, s21, v5
	v_add_u32_e32 v3, s28, v3
	v_sub_u32_e32 v3, v4, v3
	s_movk_i32 s0, 0x640
	v_cmp_gt_u32_e32 vcc, s0, v3
	s_movk_i32 s0, 0x63f
	v_cmp_lt_u32_e64 s[0:1], s0, v3
	s_and_saveexec_b64 s[6:7], s[0:1]
	s_cbranch_execz .LBB55_13
; %bb.3:
	v_and_b32_e32 v4, 0xffffffc0, v3
	v_add_u32_e32 v4, v2, v4
	v_cmp_ge_i32_e64 s[0:1], v4, v2
	s_mov_b64 s[10:11], -1
	s_and_saveexec_b64 s[8:9], s[0:1]
	s_cbranch_execz .LBB55_12
; %bb.4:
	v_lshrrev_b32_e32 v14, 6, v3
	v_add_u32_e32 v4, -1, v14
	v_add_u32_e32 v3, 64, v2
	v_lshrrev_b32_e32 v5, 1, v4
	v_add_u32_e32 v15, 1, v5
	v_cmp_lt_u32_e64 s[0:1], 13, v4
	v_pk_mov_b32 v[4:5], v[2:3], v[2:3] op_sel:[0,1]
	s_and_saveexec_b64 s[10:11], s[0:1]
	s_cbranch_execz .LBB55_8
; %bb.5:
	v_and_b32_e32 v16, -8, v15
	s_mov_b64 s[12:13], 0
	v_mov_b32_e32 v17, s27
	v_pk_mov_b32 v[4:5], v[2:3], v[2:3] op_sel:[0,1]
.LBB55_6:                               ; =>This Inner Loop Header: Depth=1
	v_ashrrev_i32_e32 v21, 31, v4
	v_mov_b32_e32 v20, v4
	v_lshlrev_b64 v[20:21], 2, v[20:21]
	v_ashrrev_i32_e32 v19, 31, v5
	v_mov_b32_e32 v18, v5
	v_add_co_u32_e64 v20, s[0:1], s26, v20
	v_add_u32_e32 v6, 0x80, v4
	v_lshlrev_b64 v[18:19], 2, v[18:19]
	v_addc_co_u32_e64 v21, s[0:1], v17, v21, s[0:1]
	v_ashrrev_i32_e32 v7, 31, v6
	v_add_co_u32_e64 v18, s[0:1], s26, v18
	v_add_u32_e32 v8, 0x80, v5
	v_addc_co_u32_e64 v19, s[0:1], v17, v19, s[0:1]
	v_lshlrev_b64 v[42:43], 2, v[6:7]
	v_ashrrev_i32_e32 v9, 31, v8
	global_load_dword v3, v[20:21], off
	global_load_dword v7, v[18:19], off
	v_add_co_u32_e64 v18, s[0:1], s26, v42
	v_add_u32_e32 v10, 0x100, v4
	v_lshlrev_b64 v[44:45], 2, v[8:9]
	v_addc_co_u32_e64 v19, s[0:1], v17, v43, s[0:1]
	v_ashrrev_i32_e32 v11, 31, v10
	v_add_co_u32_e64 v20, s[0:1], s26, v44
	v_add_u32_e32 v12, 0x100, v5
	v_lshlrev_b64 v[46:47], 2, v[10:11]
	v_addc_co_u32_e64 v21, s[0:1], v17, v45, s[0:1]
	v_ashrrev_i32_e32 v13, 31, v12
	;; [unrolled: 5-line block ×12, first 2 shown]
	v_add_co_u32_e64 v62, s[0:1], s26, v66
	v_lshlrev_b64 v[68:69], 2, v[40:41]
	v_addc_co_u32_e64 v63, s[0:1], v17, v67, s[0:1]
	v_add_co_u32_e64 v64, s[0:1], s26, v68
	v_addc_co_u32_e64 v65, s[0:1], v17, v69, s[0:1]
	global_load_dword v9, v[20:21], off
	global_load_dword v11, v[18:19], off
	;; [unrolled: 1-line block ×14, first 2 shown]
	v_subrev_u32_e32 v19, s56, v4
	v_add_u32_e32 v16, -8, v16
	v_subrev_u32_e32 v18, s56, v5
	v_lshlrev_b32_e32 v19, 2, v19
	v_subrev_u32_e32 v6, s56, v6
	v_cmp_eq_u32_e64 s[0:1], 0, v16
	s_waitcnt vmcnt(14)
	v_subrev_u32_e32 v7, s21, v7
	v_subrev_u32_e32 v3, s21, v3
	v_add_u32_e32 v5, 0x400, v5
	v_add_u32_e32 v4, 0x400, v4
	v_lshlrev_b32_e32 v18, 2, v18
	v_subrev_u32_e32 v8, s56, v8
	v_subrev_u32_e32 v12, s56, v12
	;; [unrolled: 1-line block ×13, first 2 shown]
	v_lshlrev_b32_e32 v6, 2, v6
	s_or_b64 s[12:13], s[0:1], s[12:13]
	ds_write_b32 v19, v3 offset:9728
	ds_write_b32 v18, v7 offset:9728
	v_lshlrev_b32_e32 v8, 2, v8
	v_lshlrev_b32_e32 v10, 2, v10
	;; [unrolled: 1-line block ×13, first 2 shown]
	s_waitcnt vmcnt(13)
	v_subrev_u32_e32 v3, s21, v9
	s_waitcnt vmcnt(12)
	v_subrev_u32_e32 v7, s21, v11
	;; [unrolled: 2-line block ×14, first 2 shown]
	ds_write_b32 v6, v7 offset:9728
	ds_write_b32 v8, v3 offset:9728
	;; [unrolled: 1-line block ×14, first 2 shown]
	s_andn2_b64 exec, exec, s[12:13]
	s_cbranch_execnz .LBB55_6
; %bb.7:
	s_or_b64 exec, exec, s[12:13]
.LBB55_8:
	s_or_b64 exec, exec, s[10:11]
	v_and_b32_e32 v3, 7, v15
	v_cmp_ne_u32_e64 s[0:1], 0, v3
	s_and_saveexec_b64 s[10:11], s[0:1]
	s_cbranch_execz .LBB55_11
; %bb.9:
	s_mov_b64 s[12:13], 0
	v_mov_b32_e32 v6, s27
.LBB55_10:                              ; =>This Inner Loop Header: Depth=1
	v_ashrrev_i32_e32 v11, 31, v4
	v_mov_b32_e32 v10, v4
	v_lshlrev_b64 v[10:11], 2, v[10:11]
	v_ashrrev_i32_e32 v9, 31, v5
	v_mov_b32_e32 v8, v5
	v_add_co_u32_e64 v10, s[0:1], s26, v10
	v_lshlrev_b64 v[8:9], 2, v[8:9]
	v_addc_co_u32_e64 v11, s[0:1], v6, v11, s[0:1]
	v_add_co_u32_e64 v8, s[0:1], s26, v8
	v_addc_co_u32_e64 v9, s[0:1], v6, v9, s[0:1]
	global_load_dword v7, v[8:9], off
	global_load_dword v12, v[10:11], off
	v_add_u32_e32 v3, -1, v3
	v_subrev_u32_e32 v9, s56, v4
	v_cmp_eq_u32_e64 s[0:1], 0, v3
	v_subrev_u32_e32 v8, s56, v5
	v_add_u32_e32 v5, 0x80, v5
	v_add_u32_e32 v4, 0x80, v4
	v_lshlrev_b32_e32 v9, 2, v9
	s_or_b64 s[12:13], s[0:1], s[12:13]
	v_lshlrev_b32_e32 v8, 2, v8
	s_waitcnt vmcnt(1)
	v_subrev_u32_e32 v7, s21, v7
	s_waitcnt vmcnt(0)
	v_subrev_u32_e32 v10, s21, v12
	ds_write_b32 v9, v10 offset:9728
	ds_write_b32 v8, v7 offset:9728
	s_andn2_b64 exec, exec, s[12:13]
	s_cbranch_execnz .LBB55_10
.LBB55_11:
	s_or_b64 exec, exec, s[10:11]
	v_add_u32_e32 v3, 1, v14
	v_and_b32_e32 v4, 0x7fffffe, v3
	v_cmp_ne_u32_e64 s[0:1], v3, v4
	v_lshl_add_u32 v2, v4, 6, v2
	s_orn2_b64 s[10:11], s[0:1], exec
.LBB55_12:
	s_or_b64 exec, exec, s[8:9]
	s_andn2_b64 s[0:1], vcc, exec
	s_and_b64 s[8:9], s[10:11], exec
	s_or_b64 vcc, s[0:1], s[8:9]
.LBB55_13:
	s_or_b64 exec, exec, s[6:7]
	s_and_b64 exec, exec, vcc
	s_cbranch_execz .LBB55_16
; %bb.14:
	v_add_u32_e32 v3, s21, v2
	v_subrev_u32_e32 v3, s28, v3
	v_mov_b32_e32 v4, 0x2600
	v_lshl_add_u32 v4, v3, 2, v4
	s_mov_b64 s[0:1], 0
	v_mov_b32_e32 v5, s27
.LBB55_15:                              ; =>This Inner Loop Header: Depth=1
	v_ashrrev_i32_e32 v3, 31, v2
	v_lshlrev_b64 v[6:7], 2, v[2:3]
	v_add_co_u32_e32 v6, vcc, s26, v6
	v_addc_co_u32_e32 v7, vcc, v5, v7, vcc
	global_load_dword v3, v[6:7], off
	v_add_u32_e32 v2, 64, v2
	v_cmp_lt_i32_e32 vcc, s33, v2
	s_or_b64 s[0:1], vcc, s[0:1]
	s_waitcnt vmcnt(0)
	v_subrev_u32_e32 v3, s21, v3
	ds_write_b32 v4, v3
	v_add_u32_e32 v4, 0x100, v4
	s_andn2_b64 exec, exec, s[0:1]
	s_cbranch_execnz .LBB55_15
.LBB55_16:
	s_or_b64 exec, exec, s[2:3]
	s_load_dwordx2 s[28:29], s[4:5], 0x20
	v_cmp_gt_u32_e32 vcc, 16, v1
	v_lshlrev_b32_e32 v15, 3, v1
	s_and_saveexec_b64 s[0:1], vcc
	s_cbranch_execz .LBB55_19
; %bb.17:
	v_mul_u32_u24_e32 v2, 0x88, v0
	v_lshlrev_b32_e32 v3, 3, v1
	s_movk_i32 s2, 0x1980
	v_add3_u32 v5, v2, v3, s2
	v_mov_b32_e32 v2, 0
	v_add_u32_e32 v4, -4, v1
	s_mov_b64 s[2:3], 0
	v_mov_b32_e32 v3, v2
.LBB55_18:                              ; =>This Inner Loop Header: Depth=1
	v_add_u32_e32 v4, 4, v4
	v_cmp_lt_u32_e32 vcc, 11, v4
	ds_write_b64 v5, v[2:3]
	s_or_b64 s[2:3], vcc, s[2:3]
	v_add_u32_e32 v5, 32, v5
	s_andn2_b64 exec, exec, s[2:3]
	s_cbranch_execnz .LBB55_18
.LBB55_19:
	s_or_b64 exec, exec, s[0:1]
	s_load_dword s54, s[4:5], 0x8
	s_load_dword s55, s[4:5], 0x0
	s_cmp_ge_i32 s56, s33
	s_waitcnt lgkmcnt(0)
	v_cmp_gt_i32_e64 s[0:1], s54, v1
	v_xad_u32 v16, v1, -1, s54
	s_cbranch_scc1 .LBB55_140
; %bb.20:
	v_lshlrev_b32_e32 v18, 3, v1
	s_movk_i32 s58, 0x88
	v_or_b32_e32 v2, v1, v0
	v_mad_u32_u24 v19, v0, s58, v18
	v_cmp_ne_u32_e64 s[4:5], 0, v2
	v_lshrrev_b32_e32 v2, 2, v16
	v_add_u32_e32 v20, 0x1980, v19
	v_add_u32_e32 v4, 1, v2
	v_lshl_add_u32 v2, v2, 5, v20
	s_cmp_lg_u32 s55, 0
	v_add_u32_e32 v3, 0x1984, v19
	s_movk_i32 s6, 0x53
	v_or_b32_e32 v5, 4, v2
	s_cselect_b64 s[34:35], -1, 0
	s_cmp_gt_i32 s54, 0
	v_cmp_lt_u32_e32 vcc, s6, v16
	v_cmp_lt_u32_e64 s[6:7], v5, v3
	s_brev_b32 s8, -8
	v_cmp_lt_u32_e64 s[10:11], v2, v20
	v_cmp_lt_u32_e64 s[8:9], s8, v16
	s_cselect_b64 s[36:37], -1, 0
	s_or_b64 s[6:7], s[10:11], s[6:7]
	s_or_b64 s[6:7], s[6:7], s[8:9]
	s_xor_b64 s[12:13], s[6:7], -1
	s_and_b64 s[38:39], vcc, s[12:13]
	s_mul_i32 s12, s54, s56
	v_add_u32_e32 v3, s12, v0
	v_and_b32_e32 v21, 0x7ffffffe, v4
	v_mul_lo_u32 v25, s54, v3
	v_mov_b32_e32 v3, 0x1100
	v_lshl_add_u32 v22, v21, 2, v1
	v_and_b32_e32 v2, 3, v4
	v_mad_u32_u24 v26, v0, s58, v3
	v_mad_u32_u24 v28, v1, s58, v3
	v_mov_b32_e32 v3, 0x1980
	s_mov_b32 s30, 0
	v_cmp_gt_i32_e64 s[2:3], s54, v0
	s_mul_i32 s57, s54, s54
	v_mul_lo_u32 v17, v0, s54
	v_cmp_ne_u32_e64 s[6:7], v4, v21
	v_cmp_ne_u32_e64 s[8:9], 0, v2
	v_cmp_lt_u32_e64 s[10:11], 11, v16
	v_add_u32_e32 v23, 0x880, v19
	v_mul_lo_u32 v24, v1, s54
	s_lshl_b32 s59, s54, 2
	v_mul_u32_u24_e32 v27, 0x88, v1
	v_mad_u32_u24 v29, v0, s58, v3
	v_add_u32_e32 v30, 0x1100, v19
	v_lshlrev_b32_e32 v31, 3, v2
	v_mov_b32_e32 v2, 0
	v_mul_u32_u24_e32 v32, 0x88, v0
	v_mul_lo_u32 v33, v22, s58
	v_lshlrev_b32_e32 v34, 3, v22
	v_cndmask_b32_e64 v35, 0, 1, s[34:35]
	s_mov_b32 s40, s56
	s_branch .LBB55_22
.LBB55_21:                              ;   in Loop: Header=BB55_22 Depth=1
	s_or_b64 exec, exec, s[42:43]
	s_add_i32 s40, s40, 1
	s_cmp_ge_i32 s40, s33
	s_waitcnt vmcnt(0)
	buffer_wbinvl1_vol
	v_add_u32_e32 v25, s57, v25
	s_cselect_b64 s[12:13], -1, 0
	s_and_b64 vcc, exec, s[12:13]
	s_cbranch_vccnz .LBB55_140
.LBB55_22:                              ; =>This Loop Header: Depth=1
                                        ;     Child Loop BB55_26 Depth 2
                                        ;     Child Loop BB55_39 Depth 2
	;; [unrolled: 1-line block ×5, first 2 shown]
                                        ;       Child Loop BB55_71 Depth 3
                                        ;     Child Loop BB55_84 Depth 2
                                        ;       Child Loop BB55_90 Depth 3
                                        ;       Child Loop BB55_94 Depth 3
	;; [unrolled: 1-line block ×3, first 2 shown]
                                        ;     Child Loop BB55_106 Depth 2
                                        ;     Child Loop BB55_117 Depth 2
	s_ashr_i32 s41, s40, 31
	s_lshl_b64 s[12:13], s[40:41], 2
	s_add_u32 s12, s26, s12
	s_addc_u32 s13, s27, s13
	s_load_dword s60, s[12:13], 0x0
	s_waitcnt lgkmcnt(0)
	s_sub_i32 s42, s60, s21
	s_ashr_i32 s43, s42, 31
	s_lshl_b64 s[12:13], s[42:43], 2
	s_add_u32 s44, s16, s12
	s_addc_u32 s45, s17, s13
	s_load_dword s31, s[44:45], 0x0
	s_waitcnt lgkmcnt(0)
	s_cmp_eq_u32 s31, -1
	s_cbranch_scc1 .LBB55_111
; %bb.23:                               ;   in Loop: Header=BB55_22 Depth=1
	s_add_u32 s44, s24, s12
	s_addc_u32 s45, s25, s13
	s_load_dword s43, s[44:45], 0x0
	s_mul_i32 s41, s40, s54
	s_and_saveexec_b64 s[44:45], s[0:1]
	s_cbranch_execz .LBB55_36
; %bb.24:                               ;   in Loop: Header=BB55_22 Depth=1
	s_mov_b64 s[46:47], 0
	v_mov_b32_e32 v8, v23
	v_mov_b32_e32 v9, v1
	s_branch .LBB55_26
.LBB55_25:                              ;   in Loop: Header=BB55_26 Depth=2
	s_or_b64 exec, exec, s[50:51]
	v_add_u32_e32 v9, 4, v9
	v_mov_b32_e32 v3, v2
	v_cmp_le_i32_e32 vcc, s54, v9
	s_waitcnt vmcnt(0)
	ds_write_b64 v8, v[6:7] offset:2176
	ds_write_b64 v8, v[2:3]
	s_or_b64 s[46:47], vcc, s[46:47]
	v_add_u32_e32 v8, 32, v8
	s_andn2_b64 exec, exec, s[46:47]
	s_cbranch_execz .LBB55_36
.LBB55_26:                              ;   Parent Loop BB55_22 Depth=1
                                        ; =>  This Inner Loop Header: Depth=2
	s_and_b64 vcc, exec, s[34:35]
	s_cbranch_vccz .LBB55_31
; %bb.27:                               ;   in Loop: Header=BB55_26 Depth=2
	s_mov_b64 s[50:51], 0
	s_mov_b64 s[48:49], 0
                                        ; implicit-def: $vgpr4
	s_and_saveexec_b64 s[52:53], s[2:3]
	s_xor_b64 s[52:53], exec, s[52:53]
; %bb.28:                               ;   in Loop: Header=BB55_26 Depth=2
	v_add_u32_e32 v3, s41, v9
	s_mov_b64 s[48:49], exec
	v_mad_u64_u32 v[4:5], s[62:63], v3, s54, v[0:1]
; %bb.29:                               ;   in Loop: Header=BB55_26 Depth=2
	s_or_b64 exec, exec, s[52:53]
	s_mov_b32 s52, 0
	s_and_b64 vcc, exec, s[50:51]
	s_cbranch_vccnz .LBB55_32
.LBB55_30:                              ;   in Loop: Header=BB55_26 Depth=2
	v_mov_b32_e32 v6, s52
	v_mov_b32_e32 v7, s52
	s_and_saveexec_b64 s[50:51], s[48:49]
	s_cbranch_execz .LBB55_25
	s_branch .LBB55_35
.LBB55_31:                              ;   in Loop: Header=BB55_26 Depth=2
	s_mov_b64 s[48:49], 0
                                        ; implicit-def: $vgpr4
                                        ; implicit-def: $sgpr52
	s_cbranch_execz .LBB55_30
.LBB55_32:                              ;   in Loop: Header=BB55_26 Depth=2
                                        ; implicit-def: $vgpr4
	s_and_saveexec_b64 s[50:51], s[2:3]
; %bb.33:                               ;   in Loop: Header=BB55_26 Depth=2
	v_add_u32_e32 v4, v25, v9
	s_or_b64 s[48:49], s[48:49], exec
; %bb.34:                               ;   in Loop: Header=BB55_26 Depth=2
	s_or_b64 exec, exec, s[50:51]
	s_mov_b32 s52, 0
	v_mov_b32_e32 v6, s52
	v_mov_b32_e32 v7, s52
	s_and_saveexec_b64 s[50:51], s[48:49]
	s_cbranch_execz .LBB55_25
.LBB55_35:                              ;   in Loop: Header=BB55_26 Depth=2
	v_ashrrev_i32_e32 v5, 31, v4
	v_lshlrev_b64 v[4:5], 3, v[4:5]
	v_mov_b32_e32 v3, s29
	v_add_co_u32_e32 v4, vcc, s28, v4
	v_addc_co_u32_e32 v5, vcc, v3, v5, vcc
	global_load_dwordx2 v[6:7], v[4:5], off
	s_branch .LBB55_25
.LBB55_36:                              ;   in Loop: Header=BB55_22 Depth=1
	s_or_b64 exec, exec, s[44:45]
; %bb.37:                               ;   in Loop: Header=BB55_22 Depth=1
	ds_read_b32 v3, v2 offset:9728
	s_waitcnt lgkmcnt(0)
	s_sub_i32 s44, s43, s21
	s_cmp_le_i32 s44, s31
	s_cselect_b64 s[46:47], -1, 0
	s_mov_b32 s50, 0
	v_cmp_ge_i32_e32 vcc, s42, v3
	s_and_b64 s[46:47], s[46:47], vcc
	s_andn2_b64 vcc, exec, s[46:47]
	s_cbranch_vccnz .LBB55_49
; %bb.38:                               ;   in Loop: Header=BB55_22 Depth=1
	s_mov_b32 s43, 0
	s_mov_b32 s48, 0
.LBB55_39:                              ;   Parent Loop BB55_22 Depth=1
                                        ; =>  This Inner Loop Header: Depth=2
	s_ashr_i32 s45, s44, 31
	s_lshl_b64 s[46:47], s[44:45], 2
	s_add_u32 s46, s26, s46
	s_addc_u32 s47, s27, s47
	s_load_dword s45, s[46:47], 0x0
	s_lshl_b32 s46, s48, 2
	v_mov_b32_e32 v3, s46
	ds_read_b32 v3, v3 offset:9728
	s_mov_b64 s[46:47], -1
	s_waitcnt lgkmcnt(0)
	s_sub_i32 s52, s45, s21
                                        ; implicit-def: $sgpr50
                                        ; implicit-def: $sgpr51
                                        ; implicit-def: $sgpr49
	v_cmp_ge_i32_e32 vcc, s52, v3
	v_readfirstlane_b32 s45, v3
	s_cbranch_vccz .LBB55_45
; %bb.40:                               ;   in Loop: Header=BB55_39 Depth=2
	s_cmp_le_i32 s52, s45
                                        ; implicit-def: $sgpr50
                                        ; implicit-def: $sgpr51
                                        ; implicit-def: $sgpr49
	s_cbranch_scc0 .LBB55_42
; %bb.41:                               ;   in Loop: Header=BB55_39 Depth=2
	s_add_i32 s46, s48, s56
	s_mul_i32 s46, s46, s57
	s_lshl_b32 s47, s43, 2
	v_mov_b32_e32 v4, s46
	s_mul_i32 s46, s44, s57
	v_mov_b32_e32 v3, s47
	v_mov_b32_e32 v5, s46
	ds_write2st64_b32 v3, v5, v4 offset0:34 offset1:36
	s_add_i32 s49, s48, 1
	s_add_i32 s51, s44, 1
	;; [unrolled: 1-line block ×3, first 2 shown]
	s_mov_b64 s[46:47], 0
.LBB55_42:                              ;   in Loop: Header=BB55_39 Depth=2
	s_andn2_b64 vcc, exec, s[46:47]
	s_cbranch_vccnz .LBB55_44
; %bb.43:                               ;   in Loop: Header=BB55_39 Depth=2
	s_add_i32 s49, s48, 1
	s_mov_b32 s50, s43
	s_mov_b32 s51, s44
.LBB55_44:                              ;   in Loop: Header=BB55_39 Depth=2
	s_mov_b64 s[46:47], 0
.LBB55_45:                              ;   in Loop: Header=BB55_39 Depth=2
	s_andn2_b64 vcc, exec, s[46:47]
	s_cbranch_vccnz .LBB55_47
; %bb.46:                               ;   in Loop: Header=BB55_39 Depth=2
	s_add_i32 s51, s44, 1
	s_mov_b32 s49, s48
	s_mov_b32 s50, s43
.LBB55_47:                              ;   in Loop: Header=BB55_39 Depth=2
	s_cmp_le_i32 s51, s31
	s_cselect_b64 s[46:47], -1, 0
	s_cmp_le_i32 s45, s42
	s_cselect_b64 s[44:45], -1, 0
	s_and_b64 s[44:45], s[46:47], s[44:45]
	s_and_b64 vcc, exec, s[44:45]
	s_cbranch_vccz .LBB55_49
; %bb.48:                               ;   in Loop: Header=BB55_39 Depth=2
	s_mov_b32 s43, s50
	s_mov_b32 s44, s51
	;; [unrolled: 1-line block ×3, first 2 shown]
	s_branch .LBB55_39
.LBB55_49:                              ;   in Loop: Header=BB55_22 Depth=1
	s_add_u32 s12, s18, s12
	s_addc_u32 s13, s19, s13
	s_waitcnt lgkmcnt(0)
.LBB55_50:                              ;   Parent Loop BB55_22 Depth=1
                                        ; =>  This Inner Loop Header: Depth=2
	global_load_dword v3, v2, s[12:13] glc
	s_waitcnt vmcnt(0)
	v_cmp_eq_u32_e32 vcc, 0, v3
	s_cbranch_vccnz .LBB55_50
; %bb.51:                               ;   in Loop: Header=BB55_22 Depth=1
	buffer_wbinvl1_vol
	s_and_saveexec_b64 s[12:13], s[0:1]
	s_cbranch_execz .LBB55_64
; %bb.52:                               ;   in Loop: Header=BB55_22 Depth=1
	s_mul_i32 s31, s31, s54
	v_add_u32_e32 v3, s31, v0
	v_mul_lo_u32 v3, v3, s54
	s_mov_b64 s[42:43], 0
	v_mov_b32_e32 v8, v19
	v_mov_b32_e32 v9, v1
	s_branch .LBB55_54
.LBB55_53:                              ;   in Loop: Header=BB55_54 Depth=2
	s_or_b64 exec, exec, s[46:47]
	v_add_u32_e32 v9, 4, v9
	v_cmp_le_i32_e32 vcc, s54, v9
	s_waitcnt vmcnt(0)
	ds_write_b64 v8, v[6:7]
	s_or_b64 s[42:43], vcc, s[42:43]
	v_add_u32_e32 v8, 32, v8
	s_andn2_b64 exec, exec, s[42:43]
	s_cbranch_execz .LBB55_64
.LBB55_54:                              ;   Parent Loop BB55_22 Depth=1
                                        ; =>  This Inner Loop Header: Depth=2
	s_and_b64 vcc, exec, s[34:35]
	s_cbranch_vccz .LBB55_59
; %bb.55:                               ;   in Loop: Header=BB55_54 Depth=2
	s_mov_b64 s[46:47], 0
	s_mov_b64 s[44:45], 0
                                        ; implicit-def: $vgpr4
	s_and_saveexec_b64 s[48:49], s[2:3]
	s_xor_b64 s[48:49], exec, s[48:49]
; %bb.56:                               ;   in Loop: Header=BB55_54 Depth=2
	v_add_u32_e32 v4, s31, v9
	s_mov_b64 s[44:45], exec
	v_mad_u64_u32 v[4:5], s[52:53], v4, s54, v[0:1]
; %bb.57:                               ;   in Loop: Header=BB55_54 Depth=2
	s_or_b64 exec, exec, s[48:49]
	s_mov_b32 s48, 0
	s_and_b64 vcc, exec, s[46:47]
	s_cbranch_vccnz .LBB55_60
.LBB55_58:                              ;   in Loop: Header=BB55_54 Depth=2
	v_mov_b32_e32 v6, s48
	v_mov_b32_e32 v7, s48
	s_and_saveexec_b64 s[46:47], s[44:45]
	s_cbranch_execz .LBB55_53
	s_branch .LBB55_63
.LBB55_59:                              ;   in Loop: Header=BB55_54 Depth=2
	s_mov_b64 s[44:45], 0
                                        ; implicit-def: $vgpr4
                                        ; implicit-def: $sgpr48
	s_cbranch_execz .LBB55_58
.LBB55_60:                              ;   in Loop: Header=BB55_54 Depth=2
                                        ; implicit-def: $vgpr4
	s_and_saveexec_b64 s[46:47], s[2:3]
; %bb.61:                               ;   in Loop: Header=BB55_54 Depth=2
	v_add_u32_e32 v4, v3, v9
	s_or_b64 s[44:45], s[44:45], exec
; %bb.62:                               ;   in Loop: Header=BB55_54 Depth=2
	s_or_b64 exec, exec, s[46:47]
	s_mov_b32 s48, 0
	v_mov_b32_e32 v6, s48
	v_mov_b32_e32 v7, s48
	s_and_saveexec_b64 s[46:47], s[44:45]
	s_cbranch_execz .LBB55_53
.LBB55_63:                              ;   in Loop: Header=BB55_54 Depth=2
	v_ashrrev_i32_e32 v5, 31, v4
	v_lshlrev_b64 v[4:5], 3, v[4:5]
	v_mov_b32_e32 v6, s29
	v_add_co_u32_e32 v4, vcc, s28, v4
	v_addc_co_u32_e32 v5, vcc, v6, v5, vcc
	global_load_dwordx2 v[6:7], v[4:5], off
	s_branch .LBB55_53
.LBB55_64:                              ;   in Loop: Header=BB55_22 Depth=1
	s_or_b64 exec, exec, s[12:13]
; %bb.65:                               ;   in Loop: Header=BB55_22 Depth=1
	s_cmp_lt_i32 s50, 2
	s_cbranch_scc1 .LBB55_81
; %bb.66:                               ;   in Loop: Header=BB55_22 Depth=1
	s_add_i32 s46, s50, -2
	s_mov_b32 s47, 0
	s_branch .LBB55_68
.LBB55_67:                              ;   in Loop: Header=BB55_68 Depth=2
	s_or_b64 exec, exec, s[12:13]
	s_add_i32 s12, s47, 1
	s_cmp_eq_u32 s47, s46
	s_mov_b32 s47, s12
	s_cbranch_scc1 .LBB55_81
.LBB55_68:                              ;   Parent Loop BB55_22 Depth=1
                                        ; =>  This Loop Header: Depth=2
                                        ;       Child Loop BB55_71 Depth 3
	s_and_saveexec_b64 s[12:13], s[0:1]
	s_cbranch_execz .LBB55_67
; %bb.69:                               ;   in Loop: Header=BB55_68 Depth=2
	s_lshl_b32 s31, s47, 2
	v_mov_b32_e32 v3, s31
	ds_read2st64_b32 v[4:5], v3 offset0:34 offset1:36
	s_mov_b64 s[42:43], 0
	v_mov_b32_e32 v39, v1
	s_waitcnt lgkmcnt(0)
	v_add_u32_e32 v3, v5, v17
	v_add_u32_e32 v36, v0, v5
	;; [unrolled: 1-line block ×4, first 2 shown]
	s_branch .LBB55_71
.LBB55_70:                              ;   in Loop: Header=BB55_71 Depth=3
	v_lshlrev_b32_e32 v4, 3, v39
	v_mad_u32_u24 v6, v0, s58, v4
	ds_read_b64 v[4:5], v6 offset:2176
	v_add_u32_e32 v39, 4, v39
	v_cmp_le_i32_e32 vcc, s54, v39
	v_add_u32_e32 v37, 4, v37
	s_or_b64 s[42:43], vcc, s[42:43]
	s_waitcnt lgkmcnt(0)
	v_pk_add_f32 v[4:5], v[10:11], v[4:5]
	v_add_u32_e32 v38, s59, v38
	ds_write_b64 v6, v[4:5] offset:2176
	s_andn2_b64 exec, exec, s[42:43]
	s_cbranch_execz .LBB55_67
.LBB55_71:                              ;   Parent Loop BB55_22 Depth=1
                                        ;     Parent Loop BB55_68 Depth=2
                                        ; =>    This Inner Loop Header: Depth=3
	s_mov_b32 s31, s30
	s_mov_b32 s48, 0
	v_pk_mov_b32 v[8:9], s[30:31], s[30:31] op_sel:[0,1]
	v_mov_b32_e32 v4, v37
	v_mov_b32_e32 v6, v36
	s_and_b64 vcc, exec, s[34:35]
	s_cbranch_vccz .LBB55_75
.LBB55_72:                              ;   in Loop: Header=BB55_71 Depth=3
	v_ashrrev_i32_e32 v5, 31, v4
	v_lshlrev_b64 v[10:11], 3, v[4:5]
	v_mov_b32_e32 v5, s29
	v_add_co_u32_e32 v10, vcc, s28, v10
	v_addc_co_u32_e32 v11, vcc, v5, v11, vcc
	global_load_dwordx2 v[10:11], v[10:11], off
	v_mov_b32_e32 v12, 0
	v_mov_b32_e32 v14, 0
	s_and_saveexec_b64 s[44:45], s[2:3]
	s_cbranch_execz .LBB55_74
; %bb.73:                               ;   in Loop: Header=BB55_71 Depth=3
	v_ashrrev_i32_e32 v7, 31, v6
	v_lshlrev_b64 v[12:13], 3, v[6:7]
	v_mov_b32_e32 v5, s29
	v_add_co_u32_e32 v12, vcc, s28, v12
	v_addc_co_u32_e32 v13, vcc, v5, v13, vcc
	global_load_dwordx2 v[12:13], v[12:13], off
	s_waitcnt vmcnt(0)
	v_mov_b32_e32 v14, v13
.LBB55_74:                              ;   in Loop: Header=BB55_71 Depth=3
	s_or_b64 exec, exec, s[44:45]
	s_waitcnt vmcnt(0)
	v_pk_fma_f32 v[12:13], v[10:11], v[12:13], v[8:9] op_sel_hi:[1,0,1]
	v_pk_fma_f32 v[10:11], v[10:11], v[14:15], v[12:13] op_sel:[1,0,0] op_sel_hi:[0,0,1] neg_hi:[0,1,0]
	s_branch .LBB55_79
.LBB55_75:                              ;   in Loop: Header=BB55_71 Depth=3
                                        ; implicit-def: $vgpr10_vgpr11
	s_cbranch_execz .LBB55_79
; %bb.76:                               ;   in Loop: Header=BB55_71 Depth=3
	v_add_u32_e32 v10, s48, v38
	v_ashrrev_i32_e32 v11, 31, v10
	v_lshlrev_b64 v[10:11], 3, v[10:11]
	v_mov_b32_e32 v5, s29
	v_add_co_u32_e32 v10, vcc, s28, v10
	v_addc_co_u32_e32 v11, vcc, v5, v11, vcc
	global_load_dwordx2 v[10:11], v[10:11], off
	v_mov_b32_e32 v12, 0
	v_mov_b32_e32 v14, 0
	s_and_saveexec_b64 s[44:45], s[2:3]
	s_cbranch_execz .LBB55_78
; %bb.77:                               ;   in Loop: Header=BB55_71 Depth=3
	v_add_u32_e32 v12, s48, v3
	v_ashrrev_i32_e32 v13, 31, v12
	v_lshlrev_b64 v[12:13], 3, v[12:13]
	v_mov_b32_e32 v5, s29
	v_add_co_u32_e32 v12, vcc, s28, v12
	v_addc_co_u32_e32 v13, vcc, v5, v13, vcc
	global_load_dwordx2 v[12:13], v[12:13], off
	s_waitcnt vmcnt(0)
	v_mov_b32_e32 v14, v13
.LBB55_78:                              ;   in Loop: Header=BB55_71 Depth=3
	s_or_b64 exec, exec, s[44:45]
	s_waitcnt vmcnt(0)
	v_pk_fma_f32 v[8:9], v[10:11], v[12:13], v[8:9] op_sel_hi:[1,0,1]
	v_pk_fma_f32 v[10:11], v[10:11], v[14:15], v[8:9] op_sel:[1,0,0] op_sel_hi:[0,0,1] neg_hi:[0,1,0]
.LBB55_79:                              ;   in Loop: Header=BB55_71 Depth=3
	s_add_i32 s48, s48, 1
	v_add_u32_e32 v6, s54, v6
	s_cmp_eq_u32 s54, s48
	v_add_u32_e32 v4, s54, v4
	s_cbranch_scc1 .LBB55_70
; %bb.80:                               ;   in Loop: Header=BB55_71 Depth=3
	v_pk_mov_b32 v[8:9], v[10:11], v[10:11] op_sel:[0,1]
	s_and_b64 vcc, exec, s[34:35]
	s_cbranch_vccnz .LBB55_72
	s_branch .LBB55_75
.LBB55_81:                              ;   in Loop: Header=BB55_22 Depth=1
	s_andn2_b64 vcc, exec, s[36:37]
	s_waitcnt lgkmcnt(0)
	s_cbranch_vccnz .LBB55_101
; %bb.82:                               ;   in Loop: Header=BB55_22 Depth=1
	s_mov_b32 s31, 0
	s_mov_b32 s48, 0
	s_movk_i32 s49, 0x1100
	v_mov_b32_e32 v3, v28
	s_branch .LBB55_84
.LBB55_83:                              ;   in Loop: Header=BB55_84 Depth=2
	s_or_b64 exec, exec, s[12:13]
	s_add_i32 s48, s48, 1
	s_addk_i32 s31, 0x88
	s_add_i32 s49, s49, 8
	s_cmp_eq_u32 s48, s54
	v_add_u32_e32 v3, 8, v3
	s_waitcnt lgkmcnt(0)
	s_cbranch_scc1 .LBB55_101
.LBB55_84:                              ;   Parent Loop BB55_22 Depth=1
                                        ; =>  This Loop Header: Depth=2
                                        ;       Child Loop BB55_90 Depth 3
                                        ;       Child Loop BB55_94 Depth 3
	;; [unrolled: 1-line block ×3, first 2 shown]
	s_lshl_b32 s12, s48, 3
	s_mul_i32 s13, s48, 0x88
	s_add_i32 s13, s12, s13
	v_mov_b32_e32 v4, s13
	ds_read_b64 v[8:9], v4
	v_mov_b32_e32 v4, s12
	v_mad_u32_u24 v7, v0, s58, v4
	ds_read_b64 v[4:5], v7 offset:4352
	s_waitcnt lgkmcnt(1)
	v_cmp_neq_f32_e32 vcc, 0, v8
	v_cmp_neq_f32_e64 s[12:13], 0, v9
	s_or_b64 vcc, vcc, s[12:13]
	s_or_b64 s[12:13], vcc, s[4:5]
	v_cndmask_b32_e32 v6, 1.0, v8, vcc
	s_xor_b64 s[42:43], s[12:13], -1
	v_cndmask_b32_e32 v8, 0, v9, vcc
	s_and_saveexec_b64 s[12:13], s[42:43]
	s_cbranch_execz .LBB55_88
; %bb.85:                               ;   in Loop: Header=BB55_84 Depth=2
	v_mbcnt_lo_u32_b32 v6, exec_lo, 0
	v_mbcnt_hi_u32_b32 v6, exec_hi, v6
	v_cmp_eq_u32_e32 vcc, 0, v6
	s_and_saveexec_b64 s[42:43], vcc
	s_cbranch_execz .LBB55_87
; %bb.86:                               ;   in Loop: Header=BB55_84 Depth=2
	v_mov_b32_e32 v6, s60
	global_atomic_smin v2, v6, s[22:23]
.LBB55_87:                              ;   in Loop: Header=BB55_84 Depth=2
	s_or_b64 exec, exec, s[42:43]
	v_mov_b32_e32 v6, 1.0
	v_mov_b32_e32 v8, 0
.LBB55_88:                              ;   in Loop: Header=BB55_84 Depth=2
	s_or_b64 exec, exec, s[12:13]
	v_lshl_add_u32 v9, s48, 3, v32
	ds_read_b64 v[12:13], v9 offset:2176
	s_cmp_eq_u32 s48, 0
	s_waitcnt lgkmcnt(0)
	v_mov_b32_e32 v10, v13
	v_mov_b32_e32 v11, v12
	s_cbranch_scc1 .LBB55_91
; %bb.89:                               ;   in Loop: Header=BB55_84 Depth=2
	s_mov_b32 s12, 0
	v_mov_b32_e32 v9, v26
	s_mov_b32 s13, s31
.LBB55_90:                              ;   Parent Loop BB55_22 Depth=1
                                        ;     Parent Loop BB55_84 Depth=2
                                        ; =>    This Inner Loop Header: Depth=3
	v_mov_b32_e32 v14, s13
	ds_read_b64 v[12:13], v9
	ds_read_b64 v[36:37], v14
	s_add_i32 s12, s12, 1
	s_add_i32 s13, s13, 8
	v_add_u32_e32 v9, 8, v9
	s_cmp_ge_u32 s12, s48
	s_waitcnt lgkmcnt(0)
	v_pk_fma_f32 v[10:11], v[36:37], v[12:13], v[10:11] op_sel:[1,0,0] op_sel_hi:[0,0,1]
	v_pk_fma_f32 v[10:11], v[36:37], v[12:13], v[10:11] op_sel:[0,1,0] neg_lo:[0,1,0]
	s_cbranch_scc0 .LBB55_90
.LBB55_91:                              ;   in Loop: Header=BB55_84 Depth=2
	v_mul_f32_e32 v9, v8, v8
	v_fmac_f32_e32 v9, v6, v6
	v_div_scale_f32 v12, s[12:13], v9, v9, 1.0
	v_rcp_f32_e32 v13, v12
	v_div_scale_f32 v14, vcc, 1.0, v9, 1.0
	v_add_u32_e32 v7, 0x1100, v7
	v_fma_f32 v36, -v12, v13, 1.0
	v_fmac_f32_e32 v13, v36, v13
	v_mul_f32_e32 v36, v14, v13
	v_fma_f32 v37, -v12, v36, v14
	v_fmac_f32_e32 v36, v37, v13
	v_fma_f32 v12, -v12, v36, v14
	v_div_fmas_f32 v12, v12, v13, v36
	v_mov_b32_e32 v36, v5
	v_mov_b32_e32 v37, v4
	v_pk_add_f32 v[4:5], v[36:37], v[10:11] neg_lo:[0,1] neg_hi:[0,1]
	v_div_fixup_f32 v12, v12, v9, 1.0
	v_pk_mul_f32 v[8:9], v[8:9], v[4:5] op_sel:[0,1] op_sel_hi:[0,0] neg_lo:[0,1]
	v_pk_fma_f32 v[4:5], v[4:5], v[6:7], v[8:9] op_sel_hi:[1,0,1]
	v_pk_mul_f32 v[4:5], v[12:13], v[4:5] op_sel_hi:[0,1]
	v_mov_b32_e32 v8, v5
	v_mov_b32_e32 v9, v4
	ds_write_b64 v7, v[8:9]
	s_waitcnt lgkmcnt(0)
	s_and_saveexec_b64 s[12:13], s[0:1]
	s_cbranch_execz .LBB55_83
; %bb.92:                               ;   in Loop: Header=BB55_84 Depth=2
	s_mov_b64 s[44:45], -1
	v_mov_b32_e32 v8, v1
	v_mov_b32_e32 v9, v27
	v_mov_b32_e32 v10, v18
	s_and_saveexec_b64 s[42:43], s[38:39]
	s_cbranch_execz .LBB55_98
; %bb.93:                               ;   in Loop: Header=BB55_84 Depth=2
	v_mov_b32_e32 v6, v5
	v_mov_b32_e32 v7, v5
	v_mov_b32_e32 v8, v4
	v_mov_b32_e32 v9, v4
	s_mov_b64 s[44:45], 0
	v_mov_b32_e32 v10, v21
	v_mov_b32_e32 v11, v20
	;; [unrolled: 1-line block ×3, first 2 shown]
.LBB55_94:                              ;   Parent Loop BB55_22 Depth=1
                                        ;     Parent Loop BB55_84 Depth=2
                                        ; =>    This Inner Loop Header: Depth=3
	ds_read2_b64 v[36:39], v12 offset1:68
	ds_read2_b64 v[40:43], v11 offset1:4
	v_add_u32_e32 v10, -2, v10
	v_cmp_eq_u32_e32 vcc, 0, v10
	v_add_u32_e32 v12, 0x440, v12
	s_waitcnt lgkmcnt(1)
	v_mov_b32_e32 v44, v36
	v_mov_b32_e32 v45, v38
	;; [unrolled: 1-line block ×3, first 2 shown]
	s_waitcnt lgkmcnt(0)
	v_mov_b32_e32 v36, v40
	v_mov_b32_e32 v37, v42
	;; [unrolled: 1-line block ×3, first 2 shown]
	v_pk_fma_f32 v[36:37], v[6:7], v[44:45], v[36:37]
	v_pk_fma_f32 v[40:41], v[8:9], v[44:45], v[42:43]
	;; [unrolled: 1-line block ×3, first 2 shown]
	v_pk_fma_f32 v[38:39], v[6:7], v[38:39], v[40:41] neg_lo:[0,1,0] neg_hi:[0,1,0]
	v_mov_b32_e32 v40, v36
	v_mov_b32_e32 v41, v38
	;; [unrolled: 1-line block ×3, first 2 shown]
	ds_write2_b64 v11, v[40:41], v[38:39] offset1:4
	s_or_b64 s[44:45], vcc, s[44:45]
	v_add_u32_e32 v11, 64, v11
	s_andn2_b64 exec, exec, s[44:45]
	s_cbranch_execnz .LBB55_94
; %bb.95:                               ;   in Loop: Header=BB55_84 Depth=2
	s_or_b64 exec, exec, s[44:45]
	s_mov_b64 s[44:45], 0
	s_and_saveexec_b64 s[46:47], s[6:7]
	s_xor_b64 s[46:47], exec, s[46:47]
; %bb.96:                               ;   in Loop: Header=BB55_84 Depth=2
	s_mov_b64 s[44:45], exec
; %bb.97:                               ;   in Loop: Header=BB55_84 Depth=2
	s_or_b64 exec, exec, s[46:47]
	s_orn2_b64 s[44:45], s[44:45], exec
	v_mov_b32_e32 v8, v22
	v_mov_b32_e32 v9, v33
	;; [unrolled: 1-line block ×3, first 2 shown]
.LBB55_98:                              ;   in Loop: Header=BB55_84 Depth=2
	s_or_b64 exec, exec, s[42:43]
	s_and_b64 exec, exec, s[44:45]
	s_cbranch_execz .LBB55_83
; %bb.99:                               ;   in Loop: Header=BB55_84 Depth=2
	v_mov_b32_e32 v6, v5
	v_mov_b32_e32 v7, v4
	v_add_u32_e32 v10, v29, v10
	s_mov_b64 s[42:43], 0
	s_mov_b32 s44, s49
.LBB55_100:                             ;   Parent Loop BB55_22 Depth=1
                                        ;     Parent Loop BB55_84 Depth=2
                                        ; =>    This Inner Loop Header: Depth=3
	v_add_u32_e32 v11, s44, v9
	ds_read_b64 v[12:13], v10
	ds_read_b64 v[36:37], v11
	v_add_u32_e32 v8, 4, v8
	s_addk_i32 s44, 0x220
	v_cmp_le_i32_e32 vcc, s54, v8
	s_or_b64 s[42:43], vcc, s[42:43]
	s_waitcnt lgkmcnt(0)
	v_pk_fma_f32 v[12:13], v[6:7], v[36:37], v[12:13] op_sel_hi:[1,0,1]
	v_pk_fma_f32 v[12:13], v[4:5], v[36:37], v[12:13] op_sel:[0,1,0] neg_hi:[0,1,0]
	ds_write_b64 v10, v[12:13]
	v_add_u32_e32 v10, 32, v10
	s_andn2_b64 exec, exec, s[42:43]
	s_cbranch_execnz .LBB55_100
	s_branch .LBB55_83
.LBB55_101:                             ;   in Loop: Header=BB55_22 Depth=1
	s_and_saveexec_b64 s[42:43], s[0:1]
	s_cbranch_execz .LBB55_21
; %bb.102:                              ;   in Loop: Header=BB55_22 Depth=1
	v_mov_b32_e32 v3, v1
	s_and_saveexec_b64 s[12:13], s[8:9]
	s_cbranch_execz .LBB55_113
; %bb.103:                              ;   in Loop: Header=BB55_22 Depth=1
	s_mov_b64 s[44:45], 0
	v_mov_b32_e32 v6, v31
	v_mov_b32_e32 v7, v30
	;; [unrolled: 1-line block ×3, first 2 shown]
	s_branch .LBB55_106
.LBB55_104:                             ;   in Loop: Header=BB55_106 Depth=2
	ds_read_b64 v[8:9], v7
	v_ashrrev_i32_e32 v5, 31, v4
	v_lshlrev_b64 v[4:5], 3, v[4:5]
	v_mov_b32_e32 v10, s29
	v_add_co_u32_e32 v4, vcc, s28, v4
	v_addc_co_u32_e32 v5, vcc, v10, v5, vcc
	s_waitcnt lgkmcnt(0)
	global_store_dwordx2 v[4:5], v[8:9], off
.LBB55_105:                             ;   in Loop: Header=BB55_106 Depth=2
	s_or_b64 exec, exec, s[46:47]
	v_add_u32_e32 v6, -8, v6
	v_cmp_eq_u32_e32 vcc, 0, v6
	v_add_u32_e32 v3, 4, v3
	s_or_b64 s[44:45], vcc, s[44:45]
	v_add_u32_e32 v7, 32, v7
	s_andn2_b64 exec, exec, s[44:45]
	s_cbranch_execz .LBB55_112
.LBB55_106:                             ;   Parent Loop BB55_22 Depth=1
                                        ; =>  This Inner Loop Header: Depth=2
	s_and_saveexec_b64 s[46:47], s[2:3]
	s_cbranch_execz .LBB55_105
; %bb.107:                              ;   in Loop: Header=BB55_106 Depth=2
	s_andn2_b64 vcc, exec, s[34:35]
	s_cbranch_vccnz .LBB55_109
; %bb.108:                              ;   in Loop: Header=BB55_106 Depth=2
	v_add_u32_e32 v4, s41, v3
	v_mad_u64_u32 v[4:5], s[48:49], v4, s54, v[0:1]
	s_cbranch_execnz .LBB55_104
	s_branch .LBB55_110
.LBB55_109:                             ;   in Loop: Header=BB55_106 Depth=2
                                        ; implicit-def: $vgpr4
.LBB55_110:                             ;   in Loop: Header=BB55_106 Depth=2
	v_add_u32_e32 v4, v25, v3
	s_branch .LBB55_104
.LBB55_111:                             ;   in Loop: Header=BB55_22 Depth=1
                                        ; implicit-def: $sgpr40
                                        ; implicit-def: $vgpr25
	s_cbranch_execz .LBB55_22
	s_branch .LBB55_140
.LBB55_112:                             ;   in Loop: Header=BB55_22 Depth=1
	s_or_b64 exec, exec, s[44:45]
.LBB55_113:                             ;   in Loop: Header=BB55_22 Depth=1
	s_or_b64 exec, exec, s[12:13]
	s_and_b64 exec, exec, s[10:11]
	s_cbranch_execz .LBB55_21
; %bb.114:                              ;   in Loop: Header=BB55_22 Depth=1
	v_lshl_add_u32 v6, v3, 3, v26
	s_mov_b64 s[44:45], 0
	s_branch .LBB55_117
.LBB55_115:                             ;   in Loop: Header=BB55_117 Depth=2
	ds_read_b64 v[8:9], v6 offset:96
	v_ashrrev_i32_e32 v5, 31, v4
	v_lshlrev_b64 v[4:5], 3, v[4:5]
	v_mov_b32_e32 v7, s29
	v_add_co_u32_e32 v4, vcc, s28, v4
	v_addc_co_u32_e32 v5, vcc, v7, v5, vcc
	s_waitcnt lgkmcnt(0)
	global_store_dwordx2 v[4:5], v[8:9], off
.LBB55_116:                             ;   in Loop: Header=BB55_117 Depth=2
	s_or_b64 exec, exec, s[46:47]
	v_add_u32_e32 v3, 16, v3
	v_cmp_le_i32_e32 vcc, s54, v3
	s_or_b64 s[44:45], vcc, s[44:45]
	v_add_u32_e32 v6, 0x80, v6
	s_andn2_b64 exec, exec, s[44:45]
	s_cbranch_execz .LBB55_21
.LBB55_117:                             ;   Parent Loop BB55_22 Depth=1
                                        ; =>  This Inner Loop Header: Depth=2
	s_and_saveexec_b64 s[12:13], s[2:3]
	s_cbranch_execnz .LBB55_121
; %bb.118:                              ;   in Loop: Header=BB55_117 Depth=2
	s_or_b64 exec, exec, s[12:13]
	v_cmp_ne_u32_e64 s[12:13], 1, v35
	s_and_saveexec_b64 s[46:47], s[2:3]
	s_cbranch_execnz .LBB55_125
.LBB55_119:                             ;   in Loop: Header=BB55_117 Depth=2
	s_or_b64 exec, exec, s[46:47]
	s_and_saveexec_b64 s[46:47], s[2:3]
	s_cbranch_execnz .LBB55_129
.LBB55_120:                             ;   in Loop: Header=BB55_117 Depth=2
	s_or_b64 exec, exec, s[46:47]
	s_and_saveexec_b64 s[46:47], s[2:3]
	s_cbranch_execz .LBB55_116
	s_branch .LBB55_133
.LBB55_121:                             ;   in Loop: Header=BB55_117 Depth=2
	s_and_b64 vcc, exec, s[34:35]
	s_cbranch_vccz .LBB55_135
; %bb.122:                              ;   in Loop: Header=BB55_117 Depth=2
	v_add_u32_e32 v4, s41, v3
	v_mad_u64_u32 v[4:5], s[46:47], v4, s54, v[0:1]
	s_cbranch_execnz .LBB55_124
.LBB55_123:                             ;   in Loop: Header=BB55_117 Depth=2
	v_add_u32_e32 v4, v25, v3
.LBB55_124:                             ;   in Loop: Header=BB55_117 Depth=2
	ds_read_b64 v[8:9], v6
	v_ashrrev_i32_e32 v5, 31, v4
	v_lshlrev_b64 v[4:5], 3, v[4:5]
	v_mov_b32_e32 v7, s29
	v_add_co_u32_e32 v4, vcc, s28, v4
	v_addc_co_u32_e32 v5, vcc, v7, v5, vcc
	s_waitcnt lgkmcnt(0)
	global_store_dwordx2 v[4:5], v[8:9], off
	s_or_b64 exec, exec, s[12:13]
	v_cmp_ne_u32_e64 s[12:13], 1, v35
	s_and_saveexec_b64 s[46:47], s[2:3]
	s_cbranch_execz .LBB55_119
.LBB55_125:                             ;   in Loop: Header=BB55_117 Depth=2
	s_and_b64 vcc, exec, s[12:13]
	s_cbranch_vccnz .LBB55_136
; %bb.126:                              ;   in Loop: Header=BB55_117 Depth=2
	v_add3_u32 v4, v3, s41, 4
	v_mad_u64_u32 v[4:5], s[48:49], v4, s54, v[0:1]
	s_cbranch_execnz .LBB55_128
.LBB55_127:                             ;   in Loop: Header=BB55_117 Depth=2
	v_add3_u32 v4, v25, v3, 4
.LBB55_128:                             ;   in Loop: Header=BB55_117 Depth=2
	ds_read_b64 v[8:9], v6 offset:32
	v_ashrrev_i32_e32 v5, 31, v4
	v_lshlrev_b64 v[4:5], 3, v[4:5]
	v_mov_b32_e32 v7, s29
	v_add_co_u32_e32 v4, vcc, s28, v4
	v_addc_co_u32_e32 v5, vcc, v7, v5, vcc
	s_waitcnt lgkmcnt(0)
	global_store_dwordx2 v[4:5], v[8:9], off
	s_or_b64 exec, exec, s[46:47]
	s_and_saveexec_b64 s[46:47], s[2:3]
	s_cbranch_execz .LBB55_120
.LBB55_129:                             ;   in Loop: Header=BB55_117 Depth=2
	s_and_b64 vcc, exec, s[12:13]
	s_cbranch_vccnz .LBB55_137
; %bb.130:                              ;   in Loop: Header=BB55_117 Depth=2
	v_add3_u32 v4, v3, s41, 8
	v_mad_u64_u32 v[4:5], s[48:49], v4, s54, v[0:1]
	s_cbranch_execnz .LBB55_132
.LBB55_131:                             ;   in Loop: Header=BB55_117 Depth=2
	v_add3_u32 v4, v25, v3, 8
.LBB55_132:                             ;   in Loop: Header=BB55_117 Depth=2
	ds_read_b64 v[8:9], v6 offset:64
	v_ashrrev_i32_e32 v5, 31, v4
	v_lshlrev_b64 v[4:5], 3, v[4:5]
	v_mov_b32_e32 v7, s29
	v_add_co_u32_e32 v4, vcc, s28, v4
	v_addc_co_u32_e32 v5, vcc, v7, v5, vcc
	s_waitcnt lgkmcnt(0)
	global_store_dwordx2 v[4:5], v[8:9], off
	s_or_b64 exec, exec, s[46:47]
	s_and_saveexec_b64 s[46:47], s[2:3]
	s_cbranch_execz .LBB55_116
.LBB55_133:                             ;   in Loop: Header=BB55_117 Depth=2
	s_and_b64 vcc, exec, s[12:13]
	s_cbranch_vccnz .LBB55_138
; %bb.134:                              ;   in Loop: Header=BB55_117 Depth=2
	v_add3_u32 v4, v3, s41, 12
	v_mad_u64_u32 v[4:5], s[12:13], v4, s54, v[0:1]
	s_cbranch_execnz .LBB55_115
	s_branch .LBB55_139
.LBB55_135:                             ;   in Loop: Header=BB55_117 Depth=2
                                        ; implicit-def: $vgpr4
	s_branch .LBB55_123
.LBB55_136:                             ;   in Loop: Header=BB55_117 Depth=2
                                        ; implicit-def: $vgpr4
	s_branch .LBB55_127
.LBB55_137:                             ;   in Loop: Header=BB55_117 Depth=2
                                        ; implicit-def: $vgpr4
	s_branch .LBB55_131
.LBB55_138:                             ;   in Loop: Header=BB55_117 Depth=2
                                        ; implicit-def: $vgpr4
.LBB55_139:                             ;   in Loop: Header=BB55_117 Depth=2
	v_add3_u32 v4, v25, v3, 12
	s_branch .LBB55_115
.LBB55_140:
	v_cmp_gt_i32_e64 s[0:1], s54, v1
	s_and_saveexec_b64 s[4:5], s[0:1]
	s_cbranch_execz .LBB55_153
; %bb.141:
	s_mul_i32 s24, s33, s54
	v_add_u32_e32 v2, s24, v0
	s_cmp_lg_u32 s55, 0
	v_mul_lo_u32 v6, v2, s54
	v_mul_u32_u24_e32 v2, 0x88, v0
	v_lshlrev_b32_e32 v3, 3, v1
	s_movk_i32 s8, 0x1100
	s_cselect_b64 s[6:7], -1, 0
	v_cmp_gt_i32_e64 s[2:3], s54, v0
	v_add3_u32 v7, v2, v3, s8
	s_mov_b64 s[8:9], 0
	v_mov_b32_e32 v8, v1
	s_branch .LBB55_143
.LBB55_142:                             ;   in Loop: Header=BB55_143 Depth=1
	s_or_b64 exec, exec, s[12:13]
	v_add_u32_e32 v8, 4, v8
	v_cmp_le_i32_e32 vcc, s54, v8
	s_waitcnt vmcnt(0)
	ds_write_b64 v7, v[4:5]
	s_or_b64 s[8:9], vcc, s[8:9]
	v_add_u32_e32 v7, 32, v7
	s_andn2_b64 exec, exec, s[8:9]
	s_cbranch_execz .LBB55_153
.LBB55_143:                             ; =>This Inner Loop Header: Depth=1
	s_and_b64 vcc, exec, s[6:7]
	s_cbranch_vccz .LBB55_148
; %bb.144:                              ;   in Loop: Header=BB55_143 Depth=1
	s_mov_b64 s[12:13], 0
	s_mov_b64 s[10:11], 0
                                        ; implicit-def: $vgpr2
	s_and_saveexec_b64 s[16:17], s[2:3]
	s_xor_b64 s[16:17], exec, s[16:17]
; %bb.145:                              ;   in Loop: Header=BB55_143 Depth=1
	v_add_u32_e32 v2, s24, v8
	s_mov_b64 s[10:11], exec
	v_mad_u64_u32 v[2:3], s[26:27], v2, s54, v[0:1]
; %bb.146:                              ;   in Loop: Header=BB55_143 Depth=1
	s_or_b64 exec, exec, s[16:17]
	s_mov_b32 s16, 0
	s_and_b64 vcc, exec, s[12:13]
	s_cbranch_vccnz .LBB55_149
.LBB55_147:                             ;   in Loop: Header=BB55_143 Depth=1
	v_mov_b32_e32 v4, s16
	v_mov_b32_e32 v5, s16
	s_and_saveexec_b64 s[12:13], s[10:11]
	s_cbranch_execz .LBB55_142
	s_branch .LBB55_152
.LBB55_148:                             ;   in Loop: Header=BB55_143 Depth=1
	s_mov_b64 s[10:11], 0
                                        ; implicit-def: $vgpr2
                                        ; implicit-def: $sgpr16
	s_cbranch_execz .LBB55_147
.LBB55_149:                             ;   in Loop: Header=BB55_143 Depth=1
                                        ; implicit-def: $vgpr2
	s_and_saveexec_b64 s[12:13], s[2:3]
; %bb.150:                              ;   in Loop: Header=BB55_143 Depth=1
	v_add_u32_e32 v2, v6, v8
	s_or_b64 s[10:11], s[10:11], exec
; %bb.151:                              ;   in Loop: Header=BB55_143 Depth=1
	s_or_b64 exec, exec, s[12:13]
	s_mov_b32 s16, 0
	v_mov_b32_e32 v4, s16
	v_mov_b32_e32 v5, s16
	s_and_saveexec_b64 s[12:13], s[10:11]
	s_cbranch_execz .LBB55_142
.LBB55_152:                             ;   in Loop: Header=BB55_143 Depth=1
	v_ashrrev_i32_e32 v3, 31, v2
	v_lshlrev_b64 v[2:3], 3, v[2:3]
	v_mov_b32_e32 v4, s29
	v_add_co_u32_e32 v2, vcc, s28, v2
	v_addc_co_u32_e32 v3, vcc, v4, v3, vcc
	global_load_dwordx2 v[4:5], v[2:3], off
	s_branch .LBB55_142
.LBB55_153:
	s_or_b64 exec, exec, s[4:5]
; %bb.154:
	s_cmp_lt_i32 s54, 1
	s_waitcnt lgkmcnt(0)
	s_cbranch_scc1 .LBB55_185
; %bb.155:
	v_or_b32_e32 v2, v1, v0
	s_movk_i32 s34, 0x88
	v_mov_b32_e32 v3, 0x1980
	v_cmp_ne_u32_e64 s[2:3], 0, v2
	v_lshlrev_b32_e32 v2, 3, v0
	v_mul_u32_u24_e32 v10, 0x88, v0
	s_movk_i32 s35, 0x1100
	v_mad_u32_u24 v12, v0, s34, v3
	v_add3_u32 v11, v10, v2, s35
	v_add_u32_e32 v13, v12, v2
	v_lshrrev_b32_e32 v2, 2, v16
	v_add_u32_e32 v14, v12, v15
	v_add_u32_e32 v4, 1, v2
	v_add_u32_e32 v5, -1, v2
	v_lshl_add_u32 v2, v2, 5, v14
	v_or_b32_e32 v3, 4, v14
	s_movk_i32 s4, 0x53
	v_or_b32_e32 v7, 4, v2
	v_cmp_lt_u32_e32 vcc, s4, v16
	v_cmp_lt_u32_e64 s[4:5], v7, v3
	s_brev_b32 s6, -8
	v_cmp_lt_u32_e64 s[8:9], v2, v14
	v_lshrrev_b32_e32 v6, 1, v5
	v_cmp_lt_u32_e64 s[6:7], s6, v16
	s_or_b64 s[4:5], s[8:9], s[4:5]
	v_add_u32_e32 v6, 1, v6
	s_or_b64 s[4:5], s[4:5], s[6:7]
	v_and_b32_e32 v2, 0x7ffffffe, v4
	s_xor_b64 s[10:11], s[4:5], -1
	v_lshl_add_u32 v16, v2, 2, v1
	v_and_b32_e32 v17, 3, v6
	v_cmp_ne_u32_e64 s[8:9], v4, v2
	v_mov_b32_e32 v2, 0x1100
	s_mov_b32 s30, 0
	s_add_i32 s31, s20, s21
	v_cmp_lt_u32_e64 s[4:5], 5, v5
	v_and_b32_e32 v18, -4, v6
	v_cmp_ne_u32_e64 s[6:7], 0, v17
	s_and_b64 s[12:13], vcc, s[10:11]
	v_mul_u32_u24_e32 v19, 0x88, v1
	v_mad_u32_u24 v20, v1, s34, v2
	s_mov_b32 s36, 0xf800000
	v_mov_b32_e32 v21, 0x260
	v_mov_b32_e32 v3, 0
	s_movk_i32 s37, 0x220
	v_mul_lo_u32 v22, v16, s34
	v_lshlrev_b32_e32 v23, 3, v16
	s_branch .LBB55_157
.LBB55_156:                             ;   in Loop: Header=BB55_157 Depth=1
	s_or_b64 exec, exec, s[10:11]
	s_add_i32 s30, s30, 1
	s_add_i32 s35, s35, 8
	s_cmp_eq_u32 s30, s54
	v_add_u32_e32 v20, 8, v20
	s_waitcnt lgkmcnt(0)
	s_cbranch_scc1 .LBB55_185
.LBB55_157:                             ; =>This Loop Header: Depth=1
                                        ;     Child Loop BB55_174 Depth 2
                                        ;     Child Loop BB55_178 Depth 2
                                        ;     Child Loop BB55_184 Depth 2
	v_cmp_eq_u32_e32 vcc, s30, v0
	s_and_saveexec_b64 s[16:17], vcc
	s_cbranch_execz .LBB55_165
; %bb.158:                              ;   in Loop: Header=BB55_157 Depth=1
	ds_read_b64 v[4:5], v11
	ds_read_b64 v[6:7], v13
	s_waitcnt lgkmcnt(0)
	v_sub_f32_e32 v2, v4, v6
	v_sub_f32_e32 v6, v5, v7
	v_cmp_gt_f32_e32 vcc, 0, v2
	v_cndmask_b32_e64 v2, v2, -v2, vcc
	v_cmp_gt_f32_e32 vcc, 0, v6
	v_cndmask_b32_e64 v4, v6, -v6, vcc
	v_cmp_ngt_f32_e32 vcc, v2, v4
                                        ; implicit-def: $vgpr5
	s_and_saveexec_b64 s[10:11], vcc
	s_xor_b64 s[24:25], exec, s[10:11]
	s_cbranch_execz .LBB55_162
; %bb.159:                              ;   in Loop: Header=BB55_157 Depth=1
	v_cmp_neq_f32_e32 vcc, 0, v6
	v_mov_b32_e32 v5, 0
	s_and_saveexec_b64 s[26:27], vcc
	s_cbranch_execz .LBB55_161
; %bb.160:                              ;   in Loop: Header=BB55_157 Depth=1
	v_div_scale_f32 v5, s[10:11], v4, v4, v2
	v_rcp_f32_e32 v6, v5
	v_div_scale_f32 v7, vcc, v2, v4, v2
	v_fma_f32 v8, -v5, v6, 1.0
	v_fmac_f32_e32 v6, v8, v6
	v_mul_f32_e32 v8, v7, v6
	v_fma_f32 v9, -v5, v8, v7
	v_fmac_f32_e32 v8, v9, v6
	v_fma_f32 v5, -v5, v8, v7
	v_div_fmas_f32 v5, v5, v6, v8
	v_div_fixup_f32 v2, v5, v4, v2
	v_fma_f32 v2, v2, v2, 1.0
	v_mul_f32_e32 v5, 0x4f800000, v2
	v_cmp_gt_f32_e32 vcc, s36, v2
	v_cndmask_b32_e32 v2, v2, v5, vcc
	v_sqrt_f32_e32 v5, v2
	v_add_u32_e32 v6, -1, v5
	v_fma_f32 v7, -v6, v5, v2
	v_cmp_ge_f32_e64 s[10:11], 0, v7
	v_add_u32_e32 v7, 1, v5
	v_cndmask_b32_e64 v6, v5, v6, s[10:11]
	v_fma_f32 v5, -v7, v5, v2
	v_cmp_lt_f32_e64 s[10:11], 0, v5
	v_cndmask_b32_e64 v5, v6, v7, s[10:11]
	v_mul_f32_e32 v6, 0x37800000, v5
	v_cndmask_b32_e32 v5, v5, v6, vcc
	v_cmp_class_f32_e32 vcc, v2, v21
	v_cndmask_b32_e32 v2, v5, v2, vcc
	v_mul_f32_e32 v5, v4, v2
.LBB55_161:                             ;   in Loop: Header=BB55_157 Depth=1
	s_or_b64 exec, exec, s[26:27]
                                        ; implicit-def: $vgpr2
                                        ; implicit-def: $vgpr4
.LBB55_162:                             ;   in Loop: Header=BB55_157 Depth=1
	s_andn2_saveexec_b64 s[24:25], s[24:25]
	s_cbranch_execz .LBB55_164
; %bb.163:                              ;   in Loop: Header=BB55_157 Depth=1
	v_div_scale_f32 v5, s[10:11], v2, v2, v4
	v_rcp_f32_e32 v6, v5
	v_div_scale_f32 v7, vcc, v4, v2, v4
	v_fma_f32 v8, -v5, v6, 1.0
	v_fmac_f32_e32 v6, v8, v6
	v_mul_f32_e32 v8, v7, v6
	v_fma_f32 v9, -v5, v8, v7
	v_fmac_f32_e32 v8, v9, v6
	v_fma_f32 v5, -v5, v8, v7
	v_div_fmas_f32 v5, v5, v6, v8
	v_div_fixup_f32 v4, v5, v2, v4
	v_fma_f32 v4, v4, v4, 1.0
	v_mul_f32_e32 v5, 0x4f800000, v4
	v_cmp_gt_f32_e32 vcc, s36, v4
	v_cndmask_b32_e32 v4, v4, v5, vcc
	v_sqrt_f32_e32 v5, v4
	v_add_u32_e32 v6, -1, v5
	v_fma_f32 v7, -v6, v5, v4
	v_cmp_ge_f32_e64 s[10:11], 0, v7
	v_add_u32_e32 v7, 1, v5
	v_cndmask_b32_e64 v6, v5, v6, s[10:11]
	v_fma_f32 v5, -v7, v5, v4
	v_cmp_lt_f32_e64 s[10:11], 0, v5
	v_cndmask_b32_e64 v5, v6, v7, s[10:11]
	v_mul_f32_e32 v6, 0x37800000, v5
	v_cndmask_b32_e32 v5, v5, v6, vcc
	v_cmp_class_f32_e32 vcc, v4, v21
	v_cndmask_b32_e32 v4, v5, v4, vcc
	v_mul_f32_e32 v5, v2, v4
.LBB55_164:                             ;   in Loop: Header=BB55_157 Depth=1
	s_or_b64 exec, exec, s[24:25]
	v_mul_f32_e32 v2, 0x4f800000, v5
	v_cmp_gt_f32_e32 vcc, s36, v5
	v_cndmask_b32_e32 v2, v5, v2, vcc
	v_sqrt_f32_e32 v4, v2
	v_add_u32_e32 v5, -1, v4
	v_fma_f32 v7, -v5, v4, v2
	v_add_u32_e32 v6, 1, v4
	v_cmp_ge_f32_e64 s[10:11], 0, v7
	v_cndmask_b32_e64 v5, v4, v5, s[10:11]
	v_fma_f32 v4, -v6, v4, v2
	v_cmp_lt_f32_e64 s[10:11], 0, v4
	v_cndmask_b32_e64 v4, v5, v6, s[10:11]
	v_mul_f32_e32 v5, 0x37800000, v4
	v_cndmask_b32_e32 v4, v4, v5, vcc
	v_cmp_class_f32_e32 vcc, v2, v21
	v_cndmask_b32_e32 v2, v4, v2, vcc
	ds_write_b64 v11, v[2:3]
.LBB55_165:                             ;   in Loop: Header=BB55_157 Depth=1
	s_or_b64 exec, exec, s[16:17]
	s_lshl_b32 s10, s30, 3
	s_mul_i32 s11, s30, 0x88
	s_add_i32 s11, s11, s10
	v_mov_b32_e32 v2, s11
	s_waitcnt lgkmcnt(0)
	ds_read_b64 v[8:9], v2 offset:4352
	v_mov_b32_e32 v2, s10
	v_mad_u32_u24 v7, v0, s34, v2
	ds_read_b64 v[4:5], v7 offset:4352
	s_waitcnt lgkmcnt(1)
	v_cmp_neq_f32_e32 vcc, 0, v8
	v_cmp_neq_f32_e64 s[10:11], 0, v9
	s_or_b64 vcc, vcc, s[10:11]
	s_or_b64 s[10:11], vcc, s[2:3]
	v_cndmask_b32_e32 v2, 0, v9, vcc
	s_xor_b64 s[16:17], s[10:11], -1
	v_cndmask_b32_e32 v6, 1.0, v8, vcc
	s_and_saveexec_b64 s[10:11], s[16:17]
	s_cbranch_execz .LBB55_169
; %bb.166:                              ;   in Loop: Header=BB55_157 Depth=1
	v_mbcnt_lo_u32_b32 v2, exec_lo, 0
	v_mbcnt_hi_u32_b32 v2, exec_hi, v2
	v_cmp_eq_u32_e32 vcc, 0, v2
	s_and_saveexec_b64 s[16:17], vcc
	s_cbranch_execz .LBB55_168
; %bb.167:                              ;   in Loop: Header=BB55_157 Depth=1
	v_mov_b32_e32 v2, s31
	global_atomic_smin v3, v2, s[22:23]
.LBB55_168:                             ;   in Loop: Header=BB55_157 Depth=1
	s_or_b64 exec, exec, s[16:17]
	v_mov_b32_e32 v2, 0
	v_mov_b32_e32 v6, 1.0
.LBB55_169:                             ;   in Loop: Header=BB55_157 Depth=1
	s_or_b64 exec, exec, s[10:11]
	v_cmp_lt_u32_e32 vcc, s30, v0
	s_and_saveexec_b64 s[10:11], vcc
	s_cbranch_execz .LBB55_156
; %bb.170:                              ;   in Loop: Header=BB55_157 Depth=1
	v_mul_f32_e32 v24, v2, v2
	v_fmac_f32_e32 v24, v6, v6
	v_div_scale_f32 v8, s[16:17], v24, v24, 1.0
	v_rcp_f32_e32 v25, v8
	v_add_u32_e32 v28, 0x1100, v7
	v_lshl_add_u32 v7, s30, 3, v10
	v_fma_f32 v9, -v8, v25, 1.0
	v_fmac_f32_e32 v25, v9, v25
	v_div_scale_f32 v9, vcc, 1.0, v24, 1.0
	v_mul_f32_e32 v26, v9, v25
	v_fma_f32 v27, -v8, v26, v9
	v_fmac_f32_e32 v26, v27, v25
	v_fma_f32 v27, -v8, v26, v9
	ds_read_b64 v[8:9], v7 offset:6528
	v_div_fmas_f32 v7, v27, v25, v26
	s_waitcnt lgkmcnt(1)
	v_mov_b32_e32 v26, v5
	v_mov_b32_e32 v27, v4
	v_div_fixup_f32 v24, v7, v24, 1.0
	s_waitcnt lgkmcnt(0)
	v_pk_add_f32 v[4:5], v[26:27], v[8:9] op_sel:[0,1] op_sel_hi:[1,0] neg_lo:[0,1] neg_hi:[0,1]
	v_pk_mul_f32 v[8:9], v[2:3], v[4:5] op_sel:[0,1] op_sel_hi:[0,0] neg_lo:[0,1]
	v_pk_fma_f32 v[4:5], v[4:5], v[6:7], v[8:9] op_sel_hi:[1,0,1]
	v_pk_mul_f32 v[4:5], v[24:25], v[4:5] op_sel_hi:[0,1]
	v_mov_b32_e32 v6, v5
	v_mov_b32_e32 v7, v4
	ds_write_b64 v28, v[6:7]
	s_waitcnt lgkmcnt(0)
	s_and_b64 exec, exec, s[0:1]
	s_cbranch_execz .LBB55_156
; %bb.171:                              ;   in Loop: Header=BB55_157 Depth=1
	s_mov_b64 s[24:25], -1
	v_mov_b32_e32 v2, v1
	v_mov_b32_e32 v8, v19
	;; [unrolled: 1-line block ×3, first 2 shown]
	s_and_saveexec_b64 s[16:17], s[12:13]
	s_cbranch_execz .LBB55_182
; %bb.172:                              ;   in Loop: Header=BB55_157 Depth=1
	v_mov_b32_e32 v6, v5
	v_mov_b32_e32 v7, v5
	;; [unrolled: 1-line block ×5, first 2 shown]
	s_and_saveexec_b64 s[24:25], s[4:5]
	s_cbranch_execz .LBB55_176
; %bb.173:                              ;   in Loop: Header=BB55_157 Depth=1
	s_mov_b32 s38, 0
	s_mov_b64 s[26:27], 0
	v_mov_b32_e32 v2, v18
	v_mov_b32_e32 v24, v14
	;; [unrolled: 1-line block ×3, first 2 shown]
.LBB55_174:                             ;   Parent Loop BB55_157 Depth=1
                                        ; =>  This Inner Loop Header: Depth=2
	ds_read2_b64 v[26:29], v25 offset1:68
	ds_read2_b64 v[30:33], v24 offset1:4
	v_add_u32_e32 v38, 0x800, v25
	v_add_u32_e32 v2, -4, v2
	s_add_i32 s38, s38, 8
	s_waitcnt lgkmcnt(1)
	v_mov_b32_e32 v34, v26
	v_mov_b32_e32 v35, v28
	;; [unrolled: 1-line block ×3, first 2 shown]
	s_waitcnt lgkmcnt(0)
	v_mov_b32_e32 v26, v30
	v_mov_b32_e32 v27, v32
	v_mov_b32_e32 v32, v31
	v_pk_fma_f32 v[26:27], v[6:7], v[34:35], v[26:27]
	v_pk_fma_f32 v[30:31], v[8:9], v[28:29], v[26:27]
	;; [unrolled: 1-line block ×3, first 2 shown]
	v_pk_fma_f32 v[34:35], v[6:7], v[28:29], v[26:27] neg_lo:[0,1,0] neg_hi:[0,1,0]
	v_mov_b32_e32 v36, v30
	ds_read2_b64 v[26:29], v25 offset0:136 offset1:204
	v_mov_b32_e32 v37, v34
	v_mov_b32_e32 v34, v31
	ds_read2_b64 v[30:33], v24 offset0:8 offset1:12
	ds_write2_b64 v24, v[36:37], v[34:35] offset1:4
	s_waitcnt lgkmcnt(2)
	v_mov_b32_e32 v34, v26
	v_mov_b32_e32 v35, v28
	;; [unrolled: 1-line block ×3, first 2 shown]
	s_waitcnt lgkmcnt(1)
	v_mov_b32_e32 v26, v30
	v_mov_b32_e32 v27, v32
	;; [unrolled: 1-line block ×3, first 2 shown]
	v_pk_fma_f32 v[26:27], v[6:7], v[34:35], v[26:27]
	v_pk_fma_f32 v[30:31], v[8:9], v[28:29], v[26:27]
	;; [unrolled: 1-line block ×3, first 2 shown]
	v_pk_fma_f32 v[34:35], v[6:7], v[28:29], v[26:27] neg_lo:[0,1,0] neg_hi:[0,1,0]
	v_mov_b32_e32 v36, v30
	ds_read2_b64 v[26:29], v38 offset0:16 offset1:84
	v_mov_b32_e32 v37, v34
	v_mov_b32_e32 v34, v31
	ds_read2_b64 v[30:33], v24 offset0:16 offset1:20
	ds_write2_b64 v24, v[36:37], v[34:35] offset0:8 offset1:12
	s_waitcnt lgkmcnt(2)
	v_mov_b32_e32 v34, v26
	v_mov_b32_e32 v35, v28
	;; [unrolled: 1-line block ×3, first 2 shown]
	s_waitcnt lgkmcnt(1)
	v_mov_b32_e32 v26, v30
	v_mov_b32_e32 v27, v32
	v_mov_b32_e32 v32, v31
	v_pk_fma_f32 v[26:27], v[6:7], v[34:35], v[26:27]
	v_pk_fma_f32 v[30:31], v[8:9], v[28:29], v[26:27]
	;; [unrolled: 1-line block ×3, first 2 shown]
	v_pk_fma_f32 v[34:35], v[6:7], v[28:29], v[26:27] neg_lo:[0,1,0] neg_hi:[0,1,0]
	v_mov_b32_e32 v36, v30
	ds_read2_b64 v[26:29], v38 offset0:152 offset1:220
	v_mov_b32_e32 v37, v34
	v_mov_b32_e32 v34, v31
	ds_read2_b64 v[30:33], v24 offset0:24 offset1:28
	ds_write2_b64 v24, v[36:37], v[34:35] offset0:16 offset1:20
	s_waitcnt lgkmcnt(2)
	v_mov_b32_e32 v34, v26
	v_mov_b32_e32 v35, v28
	;; [unrolled: 1-line block ×3, first 2 shown]
	s_waitcnt lgkmcnt(1)
	v_mov_b32_e32 v26, v30
	v_mov_b32_e32 v27, v32
	;; [unrolled: 1-line block ×3, first 2 shown]
	v_pk_fma_f32 v[26:27], v[6:7], v[34:35], v[26:27]
	v_pk_fma_f32 v[30:31], v[8:9], v[34:35], v[32:33]
	v_pk_fma_f32 v[26:27], v[8:9], v[28:29], v[26:27]
	v_pk_fma_f32 v[28:29], v[6:7], v[28:29], v[30:31] neg_lo:[0,1,0] neg_hi:[0,1,0]
	v_mov_b32_e32 v30, v26
	v_mov_b32_e32 v31, v28
	;; [unrolled: 1-line block ×3, first 2 shown]
	v_cmp_eq_u32_e32 vcc, 0, v2
	ds_write2_b64 v24, v[30:31], v[28:29] offset0:24 offset1:28
	v_add_u32_e32 v25, 0x1100, v25
	v_add_u32_e32 v24, 0x100, v24
	s_or_b64 s[26:27], vcc, s[26:27]
	v_mov_b32_e32 v26, s38
	s_andn2_b64 exec, exec, s[26:27]
	s_cbranch_execnz .LBB55_174
; %bb.175:                              ;   in Loop: Header=BB55_157 Depth=1
	s_or_b64 exec, exec, s[26:27]
.LBB55_176:                             ;   in Loop: Header=BB55_157 Depth=1
	s_or_b64 exec, exec, s[24:25]
	s_and_saveexec_b64 s[24:25], s[6:7]
	s_cbranch_execz .LBB55_179
; %bb.177:                              ;   in Loop: Header=BB55_157 Depth=1
	v_lshl_add_u32 v2, v26, 5, v14
	v_mul_lo_u32 v24, v26, s37
	s_mov_b64 s[26:27], 0
	v_mov_b32_e32 v25, v17
.LBB55_178:                             ;   Parent Loop BB55_157 Depth=1
                                        ; =>  This Inner Loop Header: Depth=2
	v_add_u32_e32 v30, v20, v24
	ds_read2_b64 v[26:29], v2 offset1:4
	ds_read2_b64 v[30:33], v30 offset1:68
	v_add_u32_e32 v25, -1, v25
	v_cmp_eq_u32_e32 vcc, 0, v25
	s_or_b64 s[26:27], vcc, s[26:27]
	s_waitcnt lgkmcnt(1)
	v_mov_b32_e32 v34, v26
	s_waitcnt lgkmcnt(0)
	v_mov_b32_e32 v36, v30
	v_mov_b32_e32 v37, v32
	;; [unrolled: 1-line block ×5, first 2 shown]
	v_pk_fma_f32 v[26:27], v[6:7], v[36:37], v[34:35]
	v_pk_fma_f32 v[28:29], v[8:9], v[36:37], v[28:29]
	;; [unrolled: 1-line block ×3, first 2 shown]
	v_pk_fma_f32 v[28:29], v[6:7], v[32:33], v[28:29] neg_lo:[0,1,0] neg_hi:[0,1,0]
	v_mov_b32_e32 v30, v26
	v_mov_b32_e32 v31, v28
	;; [unrolled: 1-line block ×3, first 2 shown]
	ds_write2_b64 v2, v[30:31], v[28:29] offset1:4
	v_add_u32_e32 v2, 64, v2
	v_add_u32_e32 v24, 0x440, v24
	s_andn2_b64 exec, exec, s[26:27]
	s_cbranch_execnz .LBB55_178
.LBB55_179:                             ;   in Loop: Header=BB55_157 Depth=1
	s_or_b64 exec, exec, s[24:25]
	s_mov_b64 s[24:25], 0
	s_and_saveexec_b64 s[26:27], s[8:9]
; %bb.180:                              ;   in Loop: Header=BB55_157 Depth=1
	s_mov_b64 s[24:25], exec
; %bb.181:                              ;   in Loop: Header=BB55_157 Depth=1
	s_or_b64 exec, exec, s[26:27]
	s_orn2_b64 s[24:25], s[24:25], exec
	v_mov_b32_e32 v2, v16
	v_mov_b32_e32 v8, v22
	;; [unrolled: 1-line block ×3, first 2 shown]
.LBB55_182:                             ;   in Loop: Header=BB55_157 Depth=1
	s_or_b64 exec, exec, s[16:17]
	s_and_b64 exec, exec, s[24:25]
	s_cbranch_execz .LBB55_156
; %bb.183:                              ;   in Loop: Header=BB55_157 Depth=1
	v_mov_b32_e32 v6, v5
	v_mov_b32_e32 v7, v4
	v_add_u32_e32 v9, v12, v9
	s_mov_b64 s[16:17], 0
	s_mov_b32 s24, s35
.LBB55_184:                             ;   Parent Loop BB55_157 Depth=1
                                        ; =>  This Inner Loop Header: Depth=2
	v_add_u32_e32 v26, s24, v8
	ds_read_b64 v[24:25], v9
	ds_read_b64 v[26:27], v26
	v_add_u32_e32 v2, 4, v2
	s_addk_i32 s24, 0x220
	v_cmp_le_i32_e32 vcc, s54, v2
	s_or_b64 s[16:17], vcc, s[16:17]
	s_waitcnt lgkmcnt(0)
	v_pk_fma_f32 v[24:25], v[6:7], v[26:27], v[24:25] op_sel_hi:[1,0,1]
	v_pk_fma_f32 v[24:25], v[4:5], v[26:27], v[24:25] op_sel:[0,1,0] neg_hi:[0,1,0]
	ds_write_b64 v9, v[24:25]
	v_add_u32_e32 v9, 32, v9
	s_andn2_b64 exec, exec, s[16:17]
	s_cbranch_execnz .LBB55_184
	s_branch .LBB55_156
.LBB55_185:
	s_and_saveexec_b64 s[2:3], s[0:1]
	s_cbranch_execz .LBB55_194
; %bb.186:
	s_mul_i32 s33, s33, s54
	v_add_u32_e32 v2, s33, v0
	s_cmp_lg_u32 s55, 0
	v_mul_lo_u32 v4, v2, s54
	v_mul_u32_u24_e32 v2, 0x88, v0
	s_movk_i32 s6, 0x1100
	v_cmp_gt_i32_e64 s[0:1], s54, v0
	s_cselect_b64 s[4:5], -1, 0
	v_add3_u32 v5, v2, v15, s6
	s_mov_b64 s[6:7], 0
	v_mov_b32_e32 v6, v1
	s_branch .LBB55_189
.LBB55_187:                             ;   in Loop: Header=BB55_189 Depth=1
	ds_read_b64 v[8:9], v5
	v_ashrrev_i32_e32 v3, 31, v2
	v_lshlrev_b64 v[2:3], 3, v[2:3]
	v_mov_b32_e32 v7, s29
	v_add_co_u32_e32 v2, vcc, s28, v2
	v_addc_co_u32_e32 v3, vcc, v7, v3, vcc
	s_waitcnt lgkmcnt(0)
	global_store_dwordx2 v[2:3], v[8:9], off
.LBB55_188:                             ;   in Loop: Header=BB55_189 Depth=1
	s_or_b64 exec, exec, s[8:9]
	v_add_u32_e32 v6, 4, v6
	v_cmp_le_i32_e32 vcc, s54, v6
	s_or_b64 s[6:7], vcc, s[6:7]
	v_add_u32_e32 v5, 32, v5
	s_andn2_b64 exec, exec, s[6:7]
	s_cbranch_execz .LBB55_194
.LBB55_189:                             ; =>This Inner Loop Header: Depth=1
	s_and_saveexec_b64 s[8:9], s[0:1]
	s_cbranch_execz .LBB55_188
; %bb.190:                              ;   in Loop: Header=BB55_189 Depth=1
	s_and_b64 vcc, exec, s[4:5]
	s_cbranch_vccz .LBB55_192
; %bb.191:                              ;   in Loop: Header=BB55_189 Depth=1
	v_add_u32_e32 v2, s33, v6
	v_mad_u64_u32 v[2:3], s[10:11], v2, s54, v[0:1]
	s_cbranch_execnz .LBB55_187
	s_branch .LBB55_193
.LBB55_192:                             ;   in Loop: Header=BB55_189 Depth=1
                                        ; implicit-def: $vgpr2
.LBB55_193:                             ;   in Loop: Header=BB55_189 Depth=1
	v_add_u32_e32 v2, v4, v6
	s_branch .LBB55_187
.LBB55_194:
	s_or_b64 exec, exec, s[2:3]
	v_or_b32_e32 v2, v1, v0
	v_cmp_eq_u32_e64 s[0:1], 0, v2
.LBB55_195:
	s_and_saveexec_b64 s[2:3], s[0:1]
	s_cbranch_execnz .LBB55_203
.LBB55_196:
	s_endpgm
.LBB55_197:
	s_mov_b64 s[0:1], 0
	s_cbranch_execz .LBB55_195
; %bb.198:
	v_or_b32_e32 v0, v1, v0
	v_cmp_eq_u32_e32 vcc, 0, v0
	s_and_saveexec_b64 s[2:3], vcc
	s_cbranch_execz .LBB55_202
; %bb.199:
	v_mbcnt_lo_u32_b32 v0, exec_lo, 0
	v_mbcnt_hi_u32_b32 v0, exec_hi, v0
	v_cmp_eq_u32_e32 vcc, 0, v0
	s_and_saveexec_b64 s[4:5], vcc
	s_cbranch_execz .LBB55_201
; %bb.200:
	s_add_i32 s6, s20, s21
	v_mov_b32_e32 v0, 0
	v_mov_b32_e32 v1, s6
	global_atomic_smin v0, v1, s[22:23]
.LBB55_201:
	s_or_b64 exec, exec, s[4:5]
	s_or_b64 s[0:1], s[0:1], exec
.LBB55_202:
	s_or_b64 exec, exec, s[2:3]
	s_and_saveexec_b64 s[2:3], s[0:1]
	s_cbranch_execz .LBB55_196
.LBB55_203:
	s_add_u32 s0, s18, s14
	s_addc_u32 s1, s19, s15
	v_mov_b32_e32 v0, 0
	v_mov_b32_e32 v1, 1
	s_waitcnt vmcnt(0)
	global_store_dword v0, v1, s[0:1]
	s_endpgm
	.section	.rodata,"a",@progbits
	.p2align	6, 0x0
	.amdhsa_kernel _ZN9rocsparseL18bsric0_9_16_kernelILi64ELi128ELi16E21rocsparse_complex_numIfEEEv20rocsparse_direction_iiPKiS5_PT2_S5_PiS5_S8_21rocsparse_index_base_
		.amdhsa_group_segment_fixed_size 10240
		.amdhsa_private_segment_fixed_size 0
		.amdhsa_kernarg_size 76
		.amdhsa_user_sgpr_count 6
		.amdhsa_user_sgpr_private_segment_buffer 1
		.amdhsa_user_sgpr_dispatch_ptr 0
		.amdhsa_user_sgpr_queue_ptr 0
		.amdhsa_user_sgpr_kernarg_segment_ptr 1
		.amdhsa_user_sgpr_dispatch_id 0
		.amdhsa_user_sgpr_flat_scratch_init 0
		.amdhsa_user_sgpr_kernarg_preload_length 0
		.amdhsa_user_sgpr_kernarg_preload_offset 0
		.amdhsa_user_sgpr_private_segment_size 0
		.amdhsa_uses_dynamic_stack 0
		.amdhsa_system_sgpr_private_segment_wavefront_offset 0
		.amdhsa_system_sgpr_workgroup_id_x 1
		.amdhsa_system_sgpr_workgroup_id_y 0
		.amdhsa_system_sgpr_workgroup_id_z 0
		.amdhsa_system_sgpr_workgroup_info 0
		.amdhsa_system_vgpr_workitem_id 1
		.amdhsa_next_free_vgpr 70
		.amdhsa_next_free_sgpr 64
		.amdhsa_accum_offset 72
		.amdhsa_reserve_vcc 1
		.amdhsa_reserve_flat_scratch 0
		.amdhsa_float_round_mode_32 0
		.amdhsa_float_round_mode_16_64 0
		.amdhsa_float_denorm_mode_32 3
		.amdhsa_float_denorm_mode_16_64 3
		.amdhsa_dx10_clamp 1
		.amdhsa_ieee_mode 1
		.amdhsa_fp16_overflow 0
		.amdhsa_tg_split 0
		.amdhsa_exception_fp_ieee_invalid_op 0
		.amdhsa_exception_fp_denorm_src 0
		.amdhsa_exception_fp_ieee_div_zero 0
		.amdhsa_exception_fp_ieee_overflow 0
		.amdhsa_exception_fp_ieee_underflow 0
		.amdhsa_exception_fp_ieee_inexact 0
		.amdhsa_exception_int_div_zero 0
	.end_amdhsa_kernel
	.section	.text._ZN9rocsparseL18bsric0_9_16_kernelILi64ELi128ELi16E21rocsparse_complex_numIfEEEv20rocsparse_direction_iiPKiS5_PT2_S5_PiS5_S8_21rocsparse_index_base_,"axG",@progbits,_ZN9rocsparseL18bsric0_9_16_kernelILi64ELi128ELi16E21rocsparse_complex_numIfEEEv20rocsparse_direction_iiPKiS5_PT2_S5_PiS5_S8_21rocsparse_index_base_,comdat
.Lfunc_end55:
	.size	_ZN9rocsparseL18bsric0_9_16_kernelILi64ELi128ELi16E21rocsparse_complex_numIfEEEv20rocsparse_direction_iiPKiS5_PT2_S5_PiS5_S8_21rocsparse_index_base_, .Lfunc_end55-_ZN9rocsparseL18bsric0_9_16_kernelILi64ELi128ELi16E21rocsparse_complex_numIfEEEv20rocsparse_direction_iiPKiS5_PT2_S5_PiS5_S8_21rocsparse_index_base_
                                        ; -- End function
	.section	.AMDGPU.csdata,"",@progbits
; Kernel info:
; codeLenInByte = 7868
; NumSgprs: 68
; NumVgprs: 70
; NumAgprs: 0
; TotalNumVgprs: 70
; ScratchSize: 0
; MemoryBound: 0
; FloatMode: 240
; IeeeMode: 1
; LDSByteSize: 10240 bytes/workgroup (compile time only)
; SGPRBlocks: 8
; VGPRBlocks: 8
; NumSGPRsForWavesPerEU: 68
; NumVGPRsForWavesPerEU: 70
; AccumOffset: 72
; Occupancy: 2
; WaveLimiterHint : 1
; COMPUTE_PGM_RSRC2:SCRATCH_EN: 0
; COMPUTE_PGM_RSRC2:USER_SGPR: 6
; COMPUTE_PGM_RSRC2:TRAP_HANDLER: 0
; COMPUTE_PGM_RSRC2:TGID_X_EN: 1
; COMPUTE_PGM_RSRC2:TGID_Y_EN: 0
; COMPUTE_PGM_RSRC2:TGID_Z_EN: 0
; COMPUTE_PGM_RSRC2:TIDIG_COMP_CNT: 1
; COMPUTE_PGM_RSRC3_GFX90A:ACCUM_OFFSET: 17
; COMPUTE_PGM_RSRC3_GFX90A:TG_SPLIT: 0
	.section	.text._ZN9rocsparseL19bsric0_17_32_kernelILi64ELi128ELi32E21rocsparse_complex_numIfEEEv20rocsparse_direction_iiPKiS5_PT2_S5_PiS5_S8_21rocsparse_index_base_,"axG",@progbits,_ZN9rocsparseL19bsric0_17_32_kernelILi64ELi128ELi32E21rocsparse_complex_numIfEEEv20rocsparse_direction_iiPKiS5_PT2_S5_PiS5_S8_21rocsparse_index_base_,comdat
	.globl	_ZN9rocsparseL19bsric0_17_32_kernelILi64ELi128ELi32E21rocsparse_complex_numIfEEEv20rocsparse_direction_iiPKiS5_PT2_S5_PiS5_S8_21rocsparse_index_base_ ; -- Begin function _ZN9rocsparseL19bsric0_17_32_kernelILi64ELi128ELi32E21rocsparse_complex_numIfEEEv20rocsparse_direction_iiPKiS5_PT2_S5_PiS5_S8_21rocsparse_index_base_
	.p2align	8
	.type	_ZN9rocsparseL19bsric0_17_32_kernelILi64ELi128ELi32E21rocsparse_complex_numIfEEEv20rocsparse_direction_iiPKiS5_PT2_S5_PiS5_S8_21rocsparse_index_base_,@function
_ZN9rocsparseL19bsric0_17_32_kernelILi64ELi128ELi32E21rocsparse_complex_numIfEEEv20rocsparse_direction_iiPKiS5_PT2_S5_PiS5_S8_21rocsparse_index_base_: ; @_ZN9rocsparseL19bsric0_17_32_kernelILi64ELi128ELi32E21rocsparse_complex_numIfEEEv20rocsparse_direction_iiPKiS5_PT2_S5_PiS5_S8_21rocsparse_index_base_
; %bb.0:
	s_load_dwordx8 s[16:23], s[4:5], 0x28
	s_mov_b32 s7, 0
	s_lshl_b64 s[0:1], s[6:7], 2
	v_and_b32_e32 v1, 0x3ff, v0
	v_bfe_u32 v0, v0, 10, 10
	s_waitcnt lgkmcnt(0)
	s_add_u32 s0, s20, s0
	s_addc_u32 s1, s21, s1
	s_load_dword s20, s[0:1], 0x0
	s_waitcnt lgkmcnt(0)
	s_ashr_i32 s21, s20, 31
	s_lshl_b64 s[14:15], s[20:21], 2
	s_add_u32 s0, s16, s14
	s_addc_u32 s1, s17, s15
	s_load_dword s33, s[0:1], 0x0
	s_load_dword s21, s[4:5], 0x48
	s_waitcnt lgkmcnt(0)
	s_cmp_lg_u32 s33, -1
	s_cbranch_scc0 .LBB56_185
; %bb.1:
	s_load_dwordx4 s[24:27], s[4:5], 0x10
	v_lshlrev_b32_e32 v3, 1, v0
	v_add_u32_e32 v4, v3, v1
	s_waitcnt lgkmcnt(0)
	s_add_u32 s0, s24, s14
	s_addc_u32 s1, s25, s15
	s_load_dword s28, s[0:1], 0x0
	s_waitcnt lgkmcnt(0)
	s_sub_i32 s58, s28, s21
	v_add_u32_e32 v2, s58, v4
	v_cmp_ge_i32_e32 vcc, s33, v2
	s_and_saveexec_b64 s[2:3], vcc
	s_cbranch_execz .LBB56_16
; %bb.2:
	v_add_u32_e32 v4, s28, v4
	v_subrev_u32_e32 v4, s21, v4
	v_add_u32_e32 v4, 64, v4
	s_add_i32 s0, s33, 1
	v_max_i32_e32 v4, s0, v4
	v_not_b32_e32 v5, v1
	v_add3_u32 v4, v4, s21, v5
	v_add_u32_e32 v3, s28, v3
	v_sub_u32_e32 v3, v4, v3
	s_movk_i32 s0, 0x640
	v_cmp_gt_u32_e32 vcc, s0, v3
	s_movk_i32 s0, 0x63f
	v_cmp_lt_u32_e64 s[0:1], s0, v3
	s_and_saveexec_b64 s[6:7], s[0:1]
	s_cbranch_execz .LBB56_13
; %bb.3:
	v_and_b32_e32 v4, 0xffffffc0, v3
	v_add_u32_e32 v4, v2, v4
	v_cmp_ge_i32_e64 s[0:1], v4, v2
	s_mov_b64 s[10:11], -1
	s_and_saveexec_b64 s[8:9], s[0:1]
	s_cbranch_execz .LBB56_12
; %bb.4:
	v_lshrrev_b32_e32 v14, 6, v3
	v_add_u32_e32 v4, -1, v14
	v_add_u32_e32 v3, 64, v2
	v_lshrrev_b32_e32 v5, 1, v4
	v_add_u32_e32 v15, 1, v5
	v_cmp_lt_u32_e64 s[0:1], 13, v4
	v_pk_mov_b32 v[4:5], v[2:3], v[2:3] op_sel:[0,1]
	s_and_saveexec_b64 s[10:11], s[0:1]
	s_cbranch_execz .LBB56_8
; %bb.5:
	v_and_b32_e32 v16, -8, v15
	s_mov_b64 s[12:13], 0
	v_mov_b32_e32 v17, s27
	v_pk_mov_b32 v[4:5], v[2:3], v[2:3] op_sel:[0,1]
.LBB56_6:                               ; =>This Inner Loop Header: Depth=1
	v_ashrrev_i32_e32 v21, 31, v4
	v_mov_b32_e32 v20, v4
	v_lshlrev_b64 v[20:21], 2, v[20:21]
	v_ashrrev_i32_e32 v19, 31, v5
	v_mov_b32_e32 v18, v5
	v_add_co_u32_e64 v20, s[0:1], s26, v20
	v_add_u32_e32 v6, 0x80, v4
	v_lshlrev_b64 v[18:19], 2, v[18:19]
	v_addc_co_u32_e64 v21, s[0:1], v17, v21, s[0:1]
	v_ashrrev_i32_e32 v7, 31, v6
	v_add_co_u32_e64 v18, s[0:1], s26, v18
	v_add_u32_e32 v8, 0x80, v5
	v_addc_co_u32_e64 v19, s[0:1], v17, v19, s[0:1]
	v_lshlrev_b64 v[42:43], 2, v[6:7]
	v_ashrrev_i32_e32 v9, 31, v8
	global_load_dword v3, v[20:21], off
	global_load_dword v7, v[18:19], off
	v_add_co_u32_e64 v18, s[0:1], s26, v42
	v_add_u32_e32 v10, 0x100, v4
	v_lshlrev_b64 v[44:45], 2, v[8:9]
	v_addc_co_u32_e64 v19, s[0:1], v17, v43, s[0:1]
	v_ashrrev_i32_e32 v11, 31, v10
	v_add_co_u32_e64 v20, s[0:1], s26, v44
	v_add_u32_e32 v12, 0x100, v5
	v_lshlrev_b64 v[46:47], 2, v[10:11]
	v_addc_co_u32_e64 v21, s[0:1], v17, v45, s[0:1]
	v_ashrrev_i32_e32 v13, 31, v12
	;; [unrolled: 5-line block ×12, first 2 shown]
	v_add_co_u32_e64 v62, s[0:1], s26, v66
	v_lshlrev_b64 v[68:69], 2, v[40:41]
	v_addc_co_u32_e64 v63, s[0:1], v17, v67, s[0:1]
	v_add_co_u32_e64 v64, s[0:1], s26, v68
	v_addc_co_u32_e64 v65, s[0:1], v17, v69, s[0:1]
	global_load_dword v9, v[20:21], off
	global_load_dword v11, v[18:19], off
	global_load_dword v13, v[44:45], off
	global_load_dword v23, v[42:43], off
	global_load_dword v25, v[48:49], off
	global_load_dword v27, v[46:47], off
	global_load_dword v29, v[52:53], off
	global_load_dword v31, v[50:51], off
	global_load_dword v33, v[56:57], off
	global_load_dword v35, v[54:55], off
	global_load_dword v37, v[60:61], off
	global_load_dword v39, v[58:59], off
	global_load_dword v41, v[64:65], off
	global_load_dword v66, v[62:63], off
	v_subrev_u32_e32 v19, s58, v4
	v_add_u32_e32 v16, -8, v16
	v_subrev_u32_e32 v18, s58, v5
	v_lshlrev_b32_e32 v19, 2, v19
	v_subrev_u32_e32 v6, s58, v6
	v_cmp_eq_u32_e64 s[0:1], 0, v16
	s_waitcnt vmcnt(14)
	v_subrev_u32_e32 v7, s21, v7
	v_subrev_u32_e32 v3, s21, v3
	v_add_u32_e32 v5, 0x400, v5
	v_add_u32_e32 v4, 0x400, v4
	v_lshlrev_b32_e32 v18, 2, v18
	v_subrev_u32_e32 v8, s58, v8
	v_subrev_u32_e32 v12, s58, v12
	;; [unrolled: 1-line block ×13, first 2 shown]
	v_lshlrev_b32_e32 v6, 2, v6
	s_or_b64 s[12:13], s[0:1], s[12:13]
	ds_write_b32 v19, v3 offset:26368
	ds_write_b32 v18, v7 offset:26368
	v_lshlrev_b32_e32 v8, 2, v8
	v_lshlrev_b32_e32 v10, 2, v10
	;; [unrolled: 1-line block ×13, first 2 shown]
	s_waitcnt vmcnt(13)
	v_subrev_u32_e32 v3, s21, v9
	s_waitcnt vmcnt(12)
	v_subrev_u32_e32 v7, s21, v11
	;; [unrolled: 2-line block ×14, first 2 shown]
	ds_write_b32 v6, v7 offset:26368
	ds_write_b32 v8, v3 offset:26368
	;; [unrolled: 1-line block ×14, first 2 shown]
	s_andn2_b64 exec, exec, s[12:13]
	s_cbranch_execnz .LBB56_6
; %bb.7:
	s_or_b64 exec, exec, s[12:13]
.LBB56_8:
	s_or_b64 exec, exec, s[10:11]
	v_and_b32_e32 v3, 7, v15
	v_cmp_ne_u32_e64 s[0:1], 0, v3
	s_and_saveexec_b64 s[10:11], s[0:1]
	s_cbranch_execz .LBB56_11
; %bb.9:
	s_mov_b64 s[12:13], 0
	v_mov_b32_e32 v6, s27
.LBB56_10:                              ; =>This Inner Loop Header: Depth=1
	v_ashrrev_i32_e32 v11, 31, v4
	v_mov_b32_e32 v10, v4
	v_lshlrev_b64 v[10:11], 2, v[10:11]
	v_ashrrev_i32_e32 v9, 31, v5
	v_mov_b32_e32 v8, v5
	v_add_co_u32_e64 v10, s[0:1], s26, v10
	v_lshlrev_b64 v[8:9], 2, v[8:9]
	v_addc_co_u32_e64 v11, s[0:1], v6, v11, s[0:1]
	v_add_co_u32_e64 v8, s[0:1], s26, v8
	v_addc_co_u32_e64 v9, s[0:1], v6, v9, s[0:1]
	global_load_dword v7, v[8:9], off
	global_load_dword v12, v[10:11], off
	v_add_u32_e32 v3, -1, v3
	v_subrev_u32_e32 v9, s58, v4
	v_cmp_eq_u32_e64 s[0:1], 0, v3
	v_subrev_u32_e32 v8, s58, v5
	v_add_u32_e32 v5, 0x80, v5
	v_add_u32_e32 v4, 0x80, v4
	v_lshlrev_b32_e32 v9, 2, v9
	s_or_b64 s[12:13], s[0:1], s[12:13]
	v_lshlrev_b32_e32 v8, 2, v8
	s_waitcnt vmcnt(1)
	v_subrev_u32_e32 v7, s21, v7
	s_waitcnt vmcnt(0)
	v_subrev_u32_e32 v10, s21, v12
	ds_write_b32 v9, v10 offset:26368
	ds_write_b32 v8, v7 offset:26368
	s_andn2_b64 exec, exec, s[12:13]
	s_cbranch_execnz .LBB56_10
.LBB56_11:
	s_or_b64 exec, exec, s[10:11]
	v_add_u32_e32 v3, 1, v14
	v_and_b32_e32 v4, 0x7fffffe, v3
	v_cmp_ne_u32_e64 s[0:1], v3, v4
	v_lshl_add_u32 v2, v4, 6, v2
	s_orn2_b64 s[10:11], s[0:1], exec
.LBB56_12:
	s_or_b64 exec, exec, s[8:9]
	s_andn2_b64 s[0:1], vcc, exec
	s_and_b64 s[8:9], s[10:11], exec
	s_or_b64 vcc, s[0:1], s[8:9]
.LBB56_13:
	s_or_b64 exec, exec, s[6:7]
	s_and_b64 exec, exec, vcc
	s_cbranch_execz .LBB56_16
; %bb.14:
	v_add_u32_e32 v3, s21, v2
	v_subrev_u32_e32 v3, s28, v3
	v_mov_b32_e32 v4, 0x6700
	v_lshl_add_u32 v4, v3, 2, v4
	s_mov_b64 s[0:1], 0
	v_mov_b32_e32 v5, s27
.LBB56_15:                              ; =>This Inner Loop Header: Depth=1
	v_ashrrev_i32_e32 v3, 31, v2
	v_lshlrev_b64 v[6:7], 2, v[2:3]
	v_add_co_u32_e32 v6, vcc, s26, v6
	v_addc_co_u32_e32 v7, vcc, v5, v7, vcc
	global_load_dword v3, v[6:7], off
	v_add_u32_e32 v2, 64, v2
	v_cmp_lt_i32_e32 vcc, s33, v2
	s_or_b64 s[0:1], vcc, s[0:1]
	s_waitcnt vmcnt(0)
	v_subrev_u32_e32 v3, s21, v3
	ds_write_b32 v4, v3
	v_add_u32_e32 v4, 0x100, v4
	s_andn2_b64 exec, exec, s[0:1]
	s_cbranch_execnz .LBB56_15
.LBB56_16:
	s_or_b64 exec, exec, s[2:3]
	s_load_dwordx2 s[28:29], s[4:5], 0x20
	v_cmp_gt_u32_e32 vcc, 32, v1
	v_lshlrev_b32_e32 v15, 3, v1
	s_and_saveexec_b64 s[0:1], vcc
	s_cbranch_execz .LBB56_19
; %bb.17:
	v_mul_u32_u24_e32 v2, 0x108, v0
	v_lshlrev_b32_e32 v3, 3, v1
	s_movk_i32 s2, 0x4200
	v_add3_u32 v5, v2, v3, s2
	v_mov_b32_e32 v2, 0
	v_add_u32_e32 v4, -2, v1
	s_mov_b64 s[2:3], 0
	v_mov_b32_e32 v3, v2
.LBB56_18:                              ; =>This Inner Loop Header: Depth=1
	v_add_u32_e32 v4, 2, v4
	v_cmp_lt_u32_e32 vcc, 29, v4
	ds_write_b64 v5, v[2:3]
	s_or_b64 s[2:3], vcc, s[2:3]
	v_add_u32_e32 v5, 16, v5
	s_andn2_b64 exec, exec, s[2:3]
	s_cbranch_execnz .LBB56_18
.LBB56_19:
	s_or_b64 exec, exec, s[0:1]
	s_load_dword s56, s[4:5], 0x8
	s_load_dword s57, s[4:5], 0x0
	s_cmp_ge_i32 s58, s33
	s_waitcnt lgkmcnt(0)
	v_cmp_gt_i32_e64 s[0:1], s56, v1
	v_xad_u32 v16, v1, -1, s56
	s_cbranch_scc1 .LBB56_128
; %bb.20:
	v_lshlrev_b32_e32 v18, 3, v1
	s_movk_i32 s60, 0x108
	v_or_b32_e32 v2, v1, v0
	v_mad_u32_u24 v19, v0, s60, v18
	v_cmp_ne_u32_e64 s[4:5], 0, v2
	v_lshrrev_b32_e32 v2, 1, v16
	v_add_u32_e32 v20, 0x4200, v19
	s_cmp_eq_u32 s57, 0
	v_add_u32_e32 v4, 1, v2
	v_lshl_add_u32 v2, v2, 4, v20
	s_cselect_b64 s[34:35], -1, 0
	s_cmp_lg_u32 s57, 0
	v_add_u32_e32 v3, 0x4204, v19
	v_or_b32_e32 v5, 4, v2
	s_cselect_b64 s[36:37], -1, 0
	s_cmp_gt_i32 s56, 0
	v_cmp_lt_u32_e64 s[6:7], v5, v3
	s_brev_b32 s8, -8
	v_cmp_lt_u32_e64 s[10:11], v2, v20
	v_cmp_lt_u32_e64 s[8:9], s8, v16
	s_cselect_b64 s[38:39], -1, 0
	s_or_b64 s[6:7], s[10:11], s[6:7]
	s_or_b64 s[6:7], s[6:7], s[8:9]
	v_cmp_lt_u32_e32 vcc, 41, v16
	s_xor_b64 s[12:13], s[6:7], -1
	s_and_b64 s[40:41], vcc, s[12:13]
	s_mul_i32 s12, s56, s58
	v_add_u32_e32 v3, s12, v0
	v_and_b32_e32 v21, -2, v4
	v_mul_lo_u32 v24, s56, v3
	v_mov_b32_e32 v3, 0x2100
	v_lshl_add_u32 v22, v21, 1, v1
	v_and_b32_e32 v2, 3, v4
	v_mad_u32_u24 v25, v0, s60, v3
	v_mad_u32_u24 v27, v1, s60, v3
	v_mov_b32_e32 v3, 0x4200
	s_mul_i32 s59, s56, s56
	s_mov_b32 s30, 0
	v_cmp_gt_i32_e64 s[2:3], s56, v0
	v_mul_lo_u32 v17, v0, s56
	v_cmp_ne_u32_e64 s[6:7], v4, v21
	v_cmp_ne_u32_e64 s[8:9], 0, v2
	v_cmp_lt_u32_e64 s[10:11], 5, v16
	v_mul_lo_u32 v23, v1, s56
	s_lshl_b32 s61, s56, 1
	v_mul_u32_u24_e32 v26, 0x108, v1
	v_mad_u32_u24 v28, v0, s60, v3
	v_add_u32_e32 v29, 0x2100, v19
	v_lshlrev_b32_e32 v30, 3, v2
	v_mov_b32_e32 v2, 0
	v_mul_u32_u24_e32 v31, 0x108, v0
	v_mul_lo_u32 v32, v22, s60
	v_lshlrev_b32_e32 v33, 3, v22
	v_cndmask_b32_e64 v34, 0, 1, s[36:37]
	s_mov_b32 s42, s58
	s_branch .LBB56_22
.LBB56_21:                              ;   in Loop: Header=BB56_22 Depth=1
	s_or_b64 exec, exec, s[44:45]
	s_add_i32 s42, s42, 1
	s_cmp_ge_i32 s42, s33
	s_waitcnt vmcnt(0)
	buffer_wbinvl1_vol
	v_add_u32_e32 v24, s59, v24
	s_cselect_b64 s[12:13], -1, 0
	s_and_b64 vcc, exec, s[12:13]
	s_cbranch_vccnz .LBB56_128
.LBB56_22:                              ; =>This Loop Header: Depth=1
                                        ;     Child Loop BB56_26 Depth 2
                                        ;     Child Loop BB56_39 Depth 2
	;; [unrolled: 1-line block ×4, first 2 shown]
                                        ;       Child Loop BB56_57 Depth 3
                                        ;     Child Loop BB56_70 Depth 2
                                        ;       Child Loop BB56_77 Depth 3
                                        ;       Child Loop BB56_82 Depth 3
	;; [unrolled: 1-line block ×3, first 2 shown]
                                        ;     Child Loop BB56_94 Depth 2
                                        ;     Child Loop BB56_105 Depth 2
	s_ashr_i32 s43, s42, 31
	s_lshl_b64 s[12:13], s[42:43], 2
	s_add_u32 s12, s26, s12
	s_addc_u32 s13, s27, s13
	s_load_dword s62, s[12:13], 0x0
	s_waitcnt lgkmcnt(0)
	s_sub_i32 s44, s62, s21
	s_ashr_i32 s45, s44, 31
	s_lshl_b64 s[12:13], s[44:45], 2
	s_add_u32 s46, s16, s12
	s_addc_u32 s47, s17, s13
	s_load_dword s63, s[46:47], 0x0
	s_waitcnt lgkmcnt(0)
	s_cmp_eq_u32 s63, -1
	s_cbranch_scc1 .LBB56_99
; %bb.23:                               ;   in Loop: Header=BB56_22 Depth=1
	s_add_u32 s46, s24, s12
	s_addc_u32 s47, s25, s13
	s_load_dword s31, s[46:47], 0x0
	s_mul_i32 s43, s42, s56
	s_and_saveexec_b64 s[46:47], s[0:1]
	s_cbranch_execz .LBB56_36
; %bb.24:                               ;   in Loop: Header=BB56_22 Depth=1
	s_mov_b64 s[48:49], 0
	v_mov_b32_e32 v8, v19
	v_mov_b32_e32 v9, v1
	s_branch .LBB56_26
.LBB56_25:                              ;   in Loop: Header=BB56_26 Depth=2
	s_or_b64 exec, exec, s[52:53]
	v_add_u32_e32 v9, 2, v9
	v_mov_b32_e32 v3, v2
	v_cmp_le_i32_e32 vcc, s56, v9
	s_waitcnt vmcnt(0)
	ds_write_b64 v8, v[6:7] offset:8448
	ds_write_b64 v8, v[2:3]
	s_or_b64 s[48:49], vcc, s[48:49]
	v_add_u32_e32 v8, 16, v8
	s_andn2_b64 exec, exec, s[48:49]
	s_cbranch_execz .LBB56_36
.LBB56_26:                              ;   Parent Loop BB56_22 Depth=1
                                        ; =>  This Inner Loop Header: Depth=2
	s_and_b64 vcc, exec, s[36:37]
	s_cbranch_vccz .LBB56_30
; %bb.27:                               ;   in Loop: Header=BB56_26 Depth=2
	s_mov_b64 s[52:53], 0
	s_mov_b64 s[50:51], 0
                                        ; implicit-def: $vgpr4
	s_and_saveexec_b64 s[54:55], s[2:3]
	s_xor_b64 s[54:55], exec, s[54:55]
; %bb.28:                               ;   in Loop: Header=BB56_26 Depth=2
	v_add_u32_e32 v3, s43, v9
	s_mov_b64 s[50:51], exec
	v_mad_u64_u32 v[4:5], s[64:65], v3, s56, v[0:1]
; %bb.29:                               ;   in Loop: Header=BB56_26 Depth=2
	s_or_b64 exec, exec, s[54:55]
	s_mov_b32 s45, 0
	s_and_b64 vcc, exec, s[52:53]
	s_cbranch_vccnz .LBB56_31
	s_branch .LBB56_34
.LBB56_30:                              ;   in Loop: Header=BB56_26 Depth=2
	s_mov_b64 s[50:51], 0
                                        ; implicit-def: $vgpr4
                                        ; implicit-def: $sgpr45
	s_cbranch_execz .LBB56_34
.LBB56_31:                              ;   in Loop: Header=BB56_26 Depth=2
                                        ; implicit-def: $vgpr4
	s_and_saveexec_b64 s[52:53], s[2:3]
; %bb.32:                               ;   in Loop: Header=BB56_26 Depth=2
	v_add_u32_e32 v4, v24, v9
	s_or_b64 s[50:51], s[50:51], exec
; %bb.33:                               ;   in Loop: Header=BB56_26 Depth=2
	s_or_b64 exec, exec, s[52:53]
	s_mov_b32 s45, 0
.LBB56_34:                              ;   in Loop: Header=BB56_26 Depth=2
	v_mov_b32_e32 v6, s45
	v_mov_b32_e32 v7, s45
	s_and_saveexec_b64 s[52:53], s[50:51]
	s_cbranch_execz .LBB56_25
; %bb.35:                               ;   in Loop: Header=BB56_26 Depth=2
	v_ashrrev_i32_e32 v5, 31, v4
	v_lshlrev_b64 v[4:5], 3, v[4:5]
	v_mov_b32_e32 v3, s29
	v_add_co_u32_e32 v4, vcc, s28, v4
	v_addc_co_u32_e32 v5, vcc, v3, v5, vcc
	global_load_dwordx2 v[6:7], v[4:5], off
	s_branch .LBB56_25
.LBB56_36:                              ;   in Loop: Header=BB56_22 Depth=1
	s_or_b64 exec, exec, s[46:47]
; %bb.37:                               ;   in Loop: Header=BB56_22 Depth=1
	ds_read_b32 v3, v2 offset:26368
	s_waitcnt lgkmcnt(0)
	s_sub_i32 s46, s31, s21
	s_cmp_le_i32 s46, s63
	s_cselect_b64 s[48:49], -1, 0
	s_mov_b32 s47, 0
	v_cmp_ge_i32_e32 vcc, s44, v3
	s_and_b64 s[48:49], s[48:49], vcc
	s_andn2_b64 vcc, exec, s[48:49]
	s_cbranch_vccnz .LBB56_49
; %bb.38:                               ;   in Loop: Header=BB56_22 Depth=1
	s_mov_b32 s31, 0
	s_mov_b32 s45, 0
.LBB56_39:                              ;   Parent Loop BB56_22 Depth=1
                                        ; =>  This Inner Loop Header: Depth=2
	s_ashr_i32 s47, s46, 31
	s_lshl_b64 s[48:49], s[46:47], 2
	s_add_u32 s48, s26, s48
	s_addc_u32 s49, s27, s49
	s_load_dword s47, s[48:49], 0x0
	s_lshl_b32 s48, s45, 2
	v_mov_b32_e32 v3, s48
	ds_read_b32 v3, v3 offset:26368
	s_mov_b64 s[48:49], -1
	s_waitcnt lgkmcnt(0)
	s_sub_i32 s53, s47, s21
                                        ; implicit-def: $sgpr47
                                        ; implicit-def: $sgpr52
                                        ; implicit-def: $sgpr51
	v_cmp_ge_i32_e32 vcc, s53, v3
	v_readfirstlane_b32 s50, v3
	s_cbranch_vccz .LBB56_45
; %bb.40:                               ;   in Loop: Header=BB56_39 Depth=2
	s_cmp_le_i32 s53, s50
                                        ; implicit-def: $sgpr47
                                        ; implicit-def: $sgpr52
                                        ; implicit-def: $sgpr51
	s_cbranch_scc0 .LBB56_42
; %bb.41:                               ;   in Loop: Header=BB56_39 Depth=2
	s_add_i32 s47, s45, s58
	s_mul_i32 s47, s47, s59
	s_lshl_b32 s48, s31, 2
	v_mov_b32_e32 v4, s47
	s_mul_i32 s47, s46, s59
	v_mov_b32_e32 v3, s48
	v_mov_b32_e32 v5, s47
	ds_write2st64_b32 v3, v5, v4 offset0:99 offset1:101
	s_add_i32 s51, s45, 1
	s_add_i32 s52, s46, 1
	;; [unrolled: 1-line block ×3, first 2 shown]
	s_mov_b64 s[48:49], 0
.LBB56_42:                              ;   in Loop: Header=BB56_39 Depth=2
	s_andn2_b64 vcc, exec, s[48:49]
	s_cbranch_vccnz .LBB56_44
; %bb.43:                               ;   in Loop: Header=BB56_39 Depth=2
	s_add_i32 s51, s45, 1
	s_mov_b32 s47, s31
	s_mov_b32 s52, s46
.LBB56_44:                              ;   in Loop: Header=BB56_39 Depth=2
	s_mov_b64 s[48:49], 0
.LBB56_45:                              ;   in Loop: Header=BB56_39 Depth=2
	s_andn2_b64 vcc, exec, s[48:49]
	s_cbranch_vccnz .LBB56_47
; %bb.46:                               ;   in Loop: Header=BB56_39 Depth=2
	s_add_i32 s52, s46, 1
	s_mov_b32 s51, s45
	s_mov_b32 s47, s31
.LBB56_47:                              ;   in Loop: Header=BB56_39 Depth=2
	s_cmp_le_i32 s52, s63
	s_cselect_b64 s[48:49], -1, 0
	s_cmp_le_i32 s50, s44
	s_cselect_b64 s[54:55], -1, 0
	s_and_b64 s[48:49], s[48:49], s[54:55]
	s_and_b64 vcc, exec, s[48:49]
	s_cbranch_vccz .LBB56_49
; %bb.48:                               ;   in Loop: Header=BB56_39 Depth=2
	s_mov_b32 s31, s47
	s_mov_b32 s46, s52
	s_mov_b32 s45, s51
	s_branch .LBB56_39
.LBB56_49:                              ;   in Loop: Header=BB56_22 Depth=1
	s_add_u32 s12, s18, s12
	s_addc_u32 s13, s19, s13
	s_waitcnt lgkmcnt(0)
.LBB56_50:                              ;   Parent Loop BB56_22 Depth=1
                                        ; =>  This Inner Loop Header: Depth=2
	global_load_dword v3, v2, s[12:13] glc
	s_waitcnt vmcnt(0)
	v_cmp_eq_u32_e32 vcc, 0, v3
	s_cbranch_vccnz .LBB56_50
; %bb.51:                               ;   in Loop: Header=BB56_22 Depth=1
	s_cmp_lt_i32 s47, 2
	buffer_wbinvl1_vol
	s_cbranch_scc1 .LBB56_67
; %bb.52:                               ;   in Loop: Header=BB56_22 Depth=1
	s_add_i32 s48, s47, -2
	s_mov_b32 s49, 0
	s_branch .LBB56_54
.LBB56_53:                              ;   in Loop: Header=BB56_54 Depth=2
	s_or_b64 exec, exec, s[12:13]
	s_add_i32 s12, s49, 1
	s_cmp_eq_u32 s49, s48
	s_mov_b32 s49, s12
	s_cbranch_scc1 .LBB56_67
.LBB56_54:                              ;   Parent Loop BB56_22 Depth=1
                                        ; =>  This Loop Header: Depth=2
                                        ;       Child Loop BB56_57 Depth 3
	s_and_saveexec_b64 s[12:13], s[0:1]
	s_cbranch_execz .LBB56_53
; %bb.55:                               ;   in Loop: Header=BB56_54 Depth=2
	s_lshl_b32 s31, s49, 2
	v_mov_b32_e32 v3, s31
	ds_read2st64_b32 v[4:5], v3 offset0:99 offset1:101
	s_mov_b64 s[44:45], 0
	v_mov_b32_e32 v38, v1
	s_waitcnt lgkmcnt(0)
	v_add_u32_e32 v3, v5, v17
	v_add_u32_e32 v35, v0, v5
	;; [unrolled: 1-line block ×4, first 2 shown]
	s_branch .LBB56_57
.LBB56_56:                              ;   in Loop: Header=BB56_57 Depth=3
	v_lshlrev_b32_e32 v4, 3, v38
	v_mad_u32_u24 v6, v0, s60, v4
	ds_read_b64 v[4:5], v6
	v_add_u32_e32 v38, 2, v38
	v_cmp_le_i32_e32 vcc, s56, v38
	v_add_u32_e32 v36, 2, v36
	s_or_b64 s[44:45], vcc, s[44:45]
	s_waitcnt lgkmcnt(0)
	v_pk_add_f32 v[4:5], v[10:11], v[4:5]
	v_add_u32_e32 v37, s61, v37
	ds_write_b64 v6, v[4:5]
	s_andn2_b64 exec, exec, s[44:45]
	s_cbranch_execz .LBB56_53
.LBB56_57:                              ;   Parent Loop BB56_22 Depth=1
                                        ;     Parent Loop BB56_54 Depth=2
                                        ; =>    This Inner Loop Header: Depth=3
	s_mov_b32 s31, s30
	s_mov_b32 s50, 0
	v_pk_mov_b32 v[8:9], s[30:31], s[30:31] op_sel:[0,1]
	v_mov_b32_e32 v4, v36
	v_mov_b32_e32 v6, v35
	s_and_b64 vcc, exec, s[36:37]
	s_cbranch_vccz .LBB56_61
.LBB56_58:                              ;   in Loop: Header=BB56_57 Depth=3
	v_ashrrev_i32_e32 v5, 31, v4
	v_lshlrev_b64 v[10:11], 3, v[4:5]
	v_mov_b32_e32 v5, s29
	v_add_co_u32_e32 v10, vcc, s28, v10
	v_addc_co_u32_e32 v11, vcc, v5, v11, vcc
	global_load_dwordx2 v[10:11], v[10:11], off
	v_mov_b32_e32 v12, 0
	v_mov_b32_e32 v14, 0
	s_and_saveexec_b64 s[46:47], s[2:3]
	s_cbranch_execz .LBB56_60
; %bb.59:                               ;   in Loop: Header=BB56_57 Depth=3
	v_ashrrev_i32_e32 v7, 31, v6
	v_lshlrev_b64 v[12:13], 3, v[6:7]
	v_mov_b32_e32 v5, s29
	v_add_co_u32_e32 v12, vcc, s28, v12
	v_addc_co_u32_e32 v13, vcc, v5, v13, vcc
	global_load_dwordx2 v[12:13], v[12:13], off
	s_waitcnt vmcnt(0)
	v_mov_b32_e32 v14, v13
.LBB56_60:                              ;   in Loop: Header=BB56_57 Depth=3
	s_or_b64 exec, exec, s[46:47]
	s_waitcnt vmcnt(0)
	v_pk_fma_f32 v[12:13], v[10:11], v[12:13], v[8:9] op_sel_hi:[1,0,1]
	v_pk_fma_f32 v[10:11], v[10:11], v[14:15], v[12:13] op_sel:[1,0,0] op_sel_hi:[0,0,1] neg_hi:[0,1,0]
	s_branch .LBB56_65
.LBB56_61:                              ;   in Loop: Header=BB56_57 Depth=3
                                        ; implicit-def: $vgpr10_vgpr11
	s_cbranch_execz .LBB56_65
; %bb.62:                               ;   in Loop: Header=BB56_57 Depth=3
	v_add_u32_e32 v10, s50, v37
	v_ashrrev_i32_e32 v11, 31, v10
	v_lshlrev_b64 v[10:11], 3, v[10:11]
	v_mov_b32_e32 v5, s29
	v_add_co_u32_e32 v10, vcc, s28, v10
	v_addc_co_u32_e32 v11, vcc, v5, v11, vcc
	global_load_dwordx2 v[10:11], v[10:11], off
	v_mov_b32_e32 v12, 0
	v_mov_b32_e32 v14, 0
	s_and_saveexec_b64 s[46:47], s[2:3]
	s_cbranch_execz .LBB56_64
; %bb.63:                               ;   in Loop: Header=BB56_57 Depth=3
	v_add_u32_e32 v12, s50, v3
	v_ashrrev_i32_e32 v13, 31, v12
	v_lshlrev_b64 v[12:13], 3, v[12:13]
	v_mov_b32_e32 v5, s29
	v_add_co_u32_e32 v12, vcc, s28, v12
	v_addc_co_u32_e32 v13, vcc, v5, v13, vcc
	global_load_dwordx2 v[12:13], v[12:13], off
	s_waitcnt vmcnt(0)
	v_mov_b32_e32 v14, v13
.LBB56_64:                              ;   in Loop: Header=BB56_57 Depth=3
	s_or_b64 exec, exec, s[46:47]
	s_waitcnt vmcnt(0)
	v_pk_fma_f32 v[8:9], v[10:11], v[12:13], v[8:9] op_sel_hi:[1,0,1]
	v_pk_fma_f32 v[10:11], v[10:11], v[14:15], v[8:9] op_sel:[1,0,0] op_sel_hi:[0,0,1] neg_hi:[0,1,0]
.LBB56_65:                              ;   in Loop: Header=BB56_57 Depth=3
	s_add_i32 s50, s50, 1
	v_add_u32_e32 v6, s56, v6
	s_cmp_eq_u32 s56, s50
	v_add_u32_e32 v4, s56, v4
	s_cbranch_scc1 .LBB56_56
; %bb.66:                               ;   in Loop: Header=BB56_57 Depth=3
	v_pk_mov_b32 v[8:9], v[10:11], v[10:11] op_sel:[0,1]
	s_and_b64 vcc, exec, s[36:37]
	s_cbranch_vccz .LBB56_61
	s_branch .LBB56_58
.LBB56_67:                              ;   in Loop: Header=BB56_22 Depth=1
	s_andn2_b64 vcc, exec, s[38:39]
	s_waitcnt lgkmcnt(0)
	s_cbranch_vccnz .LBB56_89
; %bb.68:                               ;   in Loop: Header=BB56_22 Depth=1
	s_mul_i32 s31, s59, s63
	s_mov_b32 s50, 0
	s_movk_i32 s51, 0x2100
	v_mov_b32_e32 v3, v27
	s_mov_b32 s52, s31
	s_branch .LBB56_70
.LBB56_69:                              ;   in Loop: Header=BB56_70 Depth=2
	s_or_b64 exec, exec, s[12:13]
	s_add_i32 s50, s50, 1
	s_add_i32 s52, s52, 1
	;; [unrolled: 1-line block ×3, first 2 shown]
	s_cmp_eq_u32 s50, s56
	v_add_u32_e32 v3, 8, v3
	s_waitcnt lgkmcnt(0)
	s_cbranch_scc1 .LBB56_89
.LBB56_70:                              ;   Parent Loop BB56_22 Depth=1
                                        ; =>  This Loop Header: Depth=2
                                        ;       Child Loop BB56_77 Depth 3
                                        ;       Child Loop BB56_82 Depth 3
	;; [unrolled: 1-line block ×3, first 2 shown]
	s_mul_i32 s46, s50, s56
	s_add_i32 s46, s46, s31
	s_add_i32 s12, s46, s50
	s_ashr_i32 s13, s12, 31
	s_lshl_b64 s[12:13], s[12:13], 3
	s_add_u32 s12, s28, s12
	s_addc_u32 s13, s29, s13
	global_load_dwordx2 v[8:9], v2, s[12:13]
	v_lshl_add_u32 v7, s50, 3, v31
	ds_read_b64 v[4:5], v7 offset:8448
	s_waitcnt vmcnt(0)
	v_cmp_neq_f32_e32 vcc, 0, v8
	v_cmp_neq_f32_e64 s[12:13], 0, v9
	s_or_b64 vcc, vcc, s[12:13]
	s_or_b64 s[12:13], vcc, s[4:5]
	v_cndmask_b32_e32 v6, 1.0, v8, vcc
	s_xor_b64 s[44:45], s[12:13], -1
	v_cndmask_b32_e32 v8, 0, v9, vcc
	s_and_saveexec_b64 s[12:13], s[44:45]
	s_cbranch_execz .LBB56_74
; %bb.71:                               ;   in Loop: Header=BB56_70 Depth=2
	v_mbcnt_lo_u32_b32 v6, exec_lo, 0
	v_mbcnt_hi_u32_b32 v6, exec_hi, v6
	v_cmp_eq_u32_e32 vcc, 0, v6
	s_and_saveexec_b64 s[44:45], vcc
	s_cbranch_execz .LBB56_73
; %bb.72:                               ;   in Loop: Header=BB56_70 Depth=2
	v_mov_b32_e32 v6, s62
	global_atomic_smin v2, v6, s[22:23]
.LBB56_73:                              ;   in Loop: Header=BB56_70 Depth=2
	s_or_b64 exec, exec, s[44:45]
	v_mov_b32_e32 v6, 1.0
	v_mov_b32_e32 v8, 0
.LBB56_74:                              ;   in Loop: Header=BB56_70 Depth=2
	s_or_b64 exec, exec, s[12:13]
	ds_read_b64 v[12:13], v7
	s_cmp_eq_u32 s50, 0
	s_waitcnt lgkmcnt(0)
	v_mov_b32_e32 v10, v13
	v_mov_b32_e32 v11, v12
	s_cbranch_scc1 .LBB56_79
; %bb.75:                               ;   in Loop: Header=BB56_70 Depth=2
	s_mov_b32 s44, 0
	s_mov_b32 s45, s52
	v_mov_b32_e32 v9, v25
	s_branch .LBB56_77
.LBB56_76:                              ;   in Loop: Header=BB56_77 Depth=3
	s_ashr_i32 s13, s12, 31
	s_lshl_b64 s[12:13], s[12:13], 3
	s_add_u32 s12, s28, s12
	s_addc_u32 s13, s29, s13
	global_load_dwordx2 v[12:13], v2, s[12:13]
	ds_read_b64 v[36:37], v9
	s_add_i32 s44, s44, 1
	s_add_i32 s45, s45, s56
	s_cmp_ge_u32 s44, s50
	v_add_u32_e32 v9, 8, v9
	s_waitcnt vmcnt(0) lgkmcnt(0)
	v_pk_fma_f32 v[10:11], v[12:13], v[36:37], v[10:11] op_sel:[1,0,0] op_sel_hi:[0,0,1]
	v_pk_fma_f32 v[10:11], v[12:13], v[36:37], v[10:11] op_sel:[0,1,0] neg_lo:[0,1,0]
	s_cbranch_scc1 .LBB56_79
.LBB56_77:                              ;   Parent Loop BB56_22 Depth=1
                                        ;     Parent Loop BB56_70 Depth=2
                                        ; =>    This Inner Loop Header: Depth=3
	s_andn2_b64 vcc, exec, s[34:35]
	s_mov_b32 s12, s45
	s_cbranch_vccnz .LBB56_76
; %bb.78:                               ;   in Loop: Header=BB56_77 Depth=3
	s_add_i32 s12, s44, s46
	s_branch .LBB56_76
.LBB56_79:                              ;   in Loop: Header=BB56_70 Depth=2
	v_mul_f32_e32 v9, v8, v8
	v_fmac_f32_e32 v9, v6, v6
	v_div_scale_f32 v12, s[12:13], v9, v9, 1.0
	v_rcp_f32_e32 v13, v12
	v_div_scale_f32 v14, vcc, 1.0, v9, 1.0
	v_mov_b32_e32 v37, v4
	v_fma_f32 v35, -v12, v13, 1.0
	v_fmac_f32_e32 v13, v35, v13
	v_mul_f32_e32 v35, v14, v13
	v_fma_f32 v36, -v12, v35, v14
	v_fmac_f32_e32 v35, v36, v13
	v_fma_f32 v12, -v12, v35, v14
	v_mov_b32_e32 v36, v5
	v_div_fmas_f32 v12, v12, v13, v35
	v_pk_add_f32 v[4:5], v[36:37], v[10:11] neg_lo:[0,1] neg_hi:[0,1]
	v_add_u32_e32 v7, 0x2100, v7
	v_div_fixup_f32 v12, v12, v9, 1.0
	v_pk_mul_f32 v[8:9], v[8:9], v[4:5] op_sel:[0,1] op_sel_hi:[0,0] neg_lo:[0,1]
	v_pk_fma_f32 v[4:5], v[4:5], v[6:7], v[8:9] op_sel_hi:[1,0,1]
	v_pk_mul_f32 v[4:5], v[12:13], v[4:5] op_sel_hi:[0,1]
	v_mov_b32_e32 v8, v5
	v_mov_b32_e32 v9, v4
	ds_write_b64 v7, v[8:9]
	s_waitcnt lgkmcnt(0)
	s_and_saveexec_b64 s[12:13], s[0:1]
	s_cbranch_execz .LBB56_69
; %bb.80:                               ;   in Loop: Header=BB56_70 Depth=2
	s_mov_b64 s[46:47], -1
	v_mov_b32_e32 v8, v1
	v_mov_b32_e32 v9, v26
	;; [unrolled: 1-line block ×3, first 2 shown]
	s_and_saveexec_b64 s[44:45], s[40:41]
	s_cbranch_execz .LBB56_86
; %bb.81:                               ;   in Loop: Header=BB56_70 Depth=2
	v_mov_b32_e32 v6, v5
	v_mov_b32_e32 v7, v5
	;; [unrolled: 1-line block ×4, first 2 shown]
	s_mov_b64 s[46:47], 0
	v_mov_b32_e32 v10, v21
	v_mov_b32_e32 v11, v20
	;; [unrolled: 1-line block ×3, first 2 shown]
.LBB56_82:                              ;   Parent Loop BB56_22 Depth=1
                                        ;     Parent Loop BB56_70 Depth=2
                                        ; =>    This Inner Loop Header: Depth=3
	ds_read2_b64 v[36:39], v12 offset1:66
	ds_read2_b64 v[40:43], v11 offset1:2
	v_add_u32_e32 v10, -2, v10
	v_cmp_eq_u32_e32 vcc, 0, v10
	v_add_u32_e32 v12, 0x420, v12
	s_waitcnt lgkmcnt(1)
	v_mov_b32_e32 v44, v36
	v_mov_b32_e32 v45, v38
	;; [unrolled: 1-line block ×3, first 2 shown]
	s_waitcnt lgkmcnt(0)
	v_mov_b32_e32 v36, v40
	v_mov_b32_e32 v37, v42
	;; [unrolled: 1-line block ×3, first 2 shown]
	v_pk_fma_f32 v[36:37], v[6:7], v[44:45], v[36:37]
	v_pk_fma_f32 v[40:41], v[8:9], v[44:45], v[42:43]
	;; [unrolled: 1-line block ×3, first 2 shown]
	v_pk_fma_f32 v[38:39], v[6:7], v[38:39], v[40:41] neg_lo:[0,1,0] neg_hi:[0,1,0]
	v_mov_b32_e32 v40, v36
	v_mov_b32_e32 v41, v38
	v_mov_b32_e32 v38, v37
	ds_write2_b64 v11, v[40:41], v[38:39] offset1:2
	s_or_b64 s[46:47], vcc, s[46:47]
	v_add_u32_e32 v11, 32, v11
	s_andn2_b64 exec, exec, s[46:47]
	s_cbranch_execnz .LBB56_82
; %bb.83:                               ;   in Loop: Header=BB56_70 Depth=2
	s_or_b64 exec, exec, s[46:47]
	s_mov_b64 s[46:47], 0
	s_and_saveexec_b64 s[48:49], s[6:7]
	s_xor_b64 s[48:49], exec, s[48:49]
; %bb.84:                               ;   in Loop: Header=BB56_70 Depth=2
	s_mov_b64 s[46:47], exec
; %bb.85:                               ;   in Loop: Header=BB56_70 Depth=2
	s_or_b64 exec, exec, s[48:49]
	s_orn2_b64 s[46:47], s[46:47], exec
	v_mov_b32_e32 v8, v22
	v_mov_b32_e32 v9, v32
	;; [unrolled: 1-line block ×3, first 2 shown]
.LBB56_86:                              ;   in Loop: Header=BB56_70 Depth=2
	s_or_b64 exec, exec, s[44:45]
	s_and_b64 exec, exec, s[46:47]
	s_cbranch_execz .LBB56_69
; %bb.87:                               ;   in Loop: Header=BB56_70 Depth=2
	v_mov_b32_e32 v6, v5
	v_mov_b32_e32 v7, v4
	v_add_u32_e32 v10, v28, v10
	s_mov_b64 s[44:45], 0
	s_mov_b32 s46, s51
.LBB56_88:                              ;   Parent Loop BB56_22 Depth=1
                                        ;     Parent Loop BB56_70 Depth=2
                                        ; =>    This Inner Loop Header: Depth=3
	v_add_u32_e32 v11, s46, v9
	ds_read_b64 v[12:13], v10
	ds_read_b64 v[36:37], v11
	v_add_u32_e32 v8, 2, v8
	s_addk_i32 s46, 0x210
	v_cmp_le_i32_e32 vcc, s56, v8
	s_or_b64 s[44:45], vcc, s[44:45]
	s_waitcnt lgkmcnt(0)
	v_pk_fma_f32 v[12:13], v[6:7], v[36:37], v[12:13] op_sel_hi:[1,0,1]
	v_pk_fma_f32 v[12:13], v[4:5], v[36:37], v[12:13] op_sel:[0,1,0] neg_hi:[0,1,0]
	ds_write_b64 v10, v[12:13]
	v_add_u32_e32 v10, 16, v10
	s_andn2_b64 exec, exec, s[44:45]
	s_cbranch_execnz .LBB56_88
	s_branch .LBB56_69
.LBB56_89:                              ;   in Loop: Header=BB56_22 Depth=1
	s_and_saveexec_b64 s[44:45], s[0:1]
	s_cbranch_execz .LBB56_21
; %bb.90:                               ;   in Loop: Header=BB56_22 Depth=1
	v_mov_b32_e32 v3, v1
	s_and_saveexec_b64 s[12:13], s[8:9]
	s_cbranch_execz .LBB56_101
; %bb.91:                               ;   in Loop: Header=BB56_22 Depth=1
	s_mov_b64 s[46:47], 0
	v_mov_b32_e32 v6, v30
	v_mov_b32_e32 v7, v29
	v_mov_b32_e32 v3, v1
	s_branch .LBB56_94
.LBB56_92:                              ;   in Loop: Header=BB56_94 Depth=2
	ds_read_b64 v[8:9], v7
	v_ashrrev_i32_e32 v5, 31, v4
	v_lshlrev_b64 v[4:5], 3, v[4:5]
	v_mov_b32_e32 v10, s29
	v_add_co_u32_e32 v4, vcc, s28, v4
	v_addc_co_u32_e32 v5, vcc, v10, v5, vcc
	s_waitcnt lgkmcnt(0)
	global_store_dwordx2 v[4:5], v[8:9], off
.LBB56_93:                              ;   in Loop: Header=BB56_94 Depth=2
	s_or_b64 exec, exec, s[48:49]
	v_add_u32_e32 v6, -8, v6
	v_cmp_eq_u32_e32 vcc, 0, v6
	v_add_u32_e32 v3, 2, v3
	s_or_b64 s[46:47], vcc, s[46:47]
	v_add_u32_e32 v7, 16, v7
	s_andn2_b64 exec, exec, s[46:47]
	s_cbranch_execz .LBB56_100
.LBB56_94:                              ;   Parent Loop BB56_22 Depth=1
                                        ; =>  This Inner Loop Header: Depth=2
	s_and_saveexec_b64 s[48:49], s[2:3]
	s_cbranch_execz .LBB56_93
; %bb.95:                               ;   in Loop: Header=BB56_94 Depth=2
	s_andn2_b64 vcc, exec, s[36:37]
	s_cbranch_vccnz .LBB56_97
; %bb.96:                               ;   in Loop: Header=BB56_94 Depth=2
	v_add_u32_e32 v4, s43, v3
	v_mad_u64_u32 v[4:5], s[50:51], v4, s56, v[0:1]
	s_cbranch_execnz .LBB56_92
	s_branch .LBB56_98
.LBB56_97:                              ;   in Loop: Header=BB56_94 Depth=2
                                        ; implicit-def: $vgpr4
.LBB56_98:                              ;   in Loop: Header=BB56_94 Depth=2
	v_add_u32_e32 v4, v24, v3
	s_branch .LBB56_92
.LBB56_99:                              ;   in Loop: Header=BB56_22 Depth=1
                                        ; implicit-def: $sgpr42
                                        ; implicit-def: $vgpr24
	s_cbranch_execz .LBB56_22
	s_branch .LBB56_128
.LBB56_100:                             ;   in Loop: Header=BB56_22 Depth=1
	s_or_b64 exec, exec, s[46:47]
.LBB56_101:                             ;   in Loop: Header=BB56_22 Depth=1
	s_or_b64 exec, exec, s[12:13]
	s_and_b64 exec, exec, s[10:11]
	s_cbranch_execz .LBB56_21
; %bb.102:                              ;   in Loop: Header=BB56_22 Depth=1
	v_lshl_add_u32 v6, v3, 3, v25
	s_mov_b64 s[46:47], 0
	s_branch .LBB56_105
.LBB56_103:                             ;   in Loop: Header=BB56_105 Depth=2
	ds_read_b64 v[8:9], v6 offset:48
	v_ashrrev_i32_e32 v5, 31, v4
	v_lshlrev_b64 v[4:5], 3, v[4:5]
	v_mov_b32_e32 v7, s29
	v_add_co_u32_e32 v4, vcc, s28, v4
	v_addc_co_u32_e32 v5, vcc, v7, v5, vcc
	s_waitcnt lgkmcnt(0)
	global_store_dwordx2 v[4:5], v[8:9], off
.LBB56_104:                             ;   in Loop: Header=BB56_105 Depth=2
	s_or_b64 exec, exec, s[48:49]
	v_add_u32_e32 v3, 8, v3
	v_cmp_le_i32_e32 vcc, s56, v3
	s_or_b64 s[46:47], vcc, s[46:47]
	v_add_u32_e32 v6, 64, v6
	s_andn2_b64 exec, exec, s[46:47]
	s_cbranch_execz .LBB56_21
.LBB56_105:                             ;   Parent Loop BB56_22 Depth=1
                                        ; =>  This Inner Loop Header: Depth=2
	s_and_saveexec_b64 s[12:13], s[2:3]
	s_cbranch_execnz .LBB56_109
; %bb.106:                              ;   in Loop: Header=BB56_105 Depth=2
	s_or_b64 exec, exec, s[12:13]
	v_cmp_ne_u32_e64 s[12:13], 1, v34
	s_and_saveexec_b64 s[48:49], s[2:3]
	s_cbranch_execnz .LBB56_114
.LBB56_107:                             ;   in Loop: Header=BB56_105 Depth=2
	s_or_b64 exec, exec, s[48:49]
	s_and_saveexec_b64 s[48:49], s[2:3]
	s_cbranch_execnz .LBB56_119
.LBB56_108:                             ;   in Loop: Header=BB56_105 Depth=2
	s_or_b64 exec, exec, s[48:49]
	s_and_saveexec_b64 s[48:49], s[2:3]
	s_cbranch_execz .LBB56_104
	s_branch .LBB56_124
.LBB56_109:                             ;   in Loop: Header=BB56_105 Depth=2
	s_and_b64 vcc, exec, s[36:37]
	s_cbranch_vccz .LBB56_111
; %bb.110:                              ;   in Loop: Header=BB56_105 Depth=2
	v_add_u32_e32 v4, s43, v3
	v_mad_u64_u32 v[4:5], s[48:49], v4, s56, v[0:1]
	s_cbranch_execz .LBB56_112
	s_branch .LBB56_113
.LBB56_111:                             ;   in Loop: Header=BB56_105 Depth=2
                                        ; implicit-def: $vgpr4
.LBB56_112:                             ;   in Loop: Header=BB56_105 Depth=2
	v_add_u32_e32 v4, v24, v3
.LBB56_113:                             ;   in Loop: Header=BB56_105 Depth=2
	ds_read_b64 v[8:9], v6
	v_ashrrev_i32_e32 v5, 31, v4
	v_lshlrev_b64 v[4:5], 3, v[4:5]
	v_mov_b32_e32 v7, s29
	v_add_co_u32_e32 v4, vcc, s28, v4
	v_addc_co_u32_e32 v5, vcc, v7, v5, vcc
	s_waitcnt lgkmcnt(0)
	global_store_dwordx2 v[4:5], v[8:9], off
	s_or_b64 exec, exec, s[12:13]
	v_cmp_ne_u32_e64 s[12:13], 1, v34
	s_and_saveexec_b64 s[48:49], s[2:3]
	s_cbranch_execz .LBB56_107
.LBB56_114:                             ;   in Loop: Header=BB56_105 Depth=2
	s_and_b64 vcc, exec, s[12:13]
	s_cbranch_vccnz .LBB56_116
; %bb.115:                              ;   in Loop: Header=BB56_105 Depth=2
	v_add3_u32 v4, v3, s43, 2
	v_mad_u64_u32 v[4:5], s[50:51], v4, s56, v[0:1]
	s_cbranch_execz .LBB56_117
	s_branch .LBB56_118
.LBB56_116:                             ;   in Loop: Header=BB56_105 Depth=2
                                        ; implicit-def: $vgpr4
.LBB56_117:                             ;   in Loop: Header=BB56_105 Depth=2
	v_add3_u32 v4, v24, v3, 2
.LBB56_118:                             ;   in Loop: Header=BB56_105 Depth=2
	ds_read_b64 v[8:9], v6 offset:16
	v_ashrrev_i32_e32 v5, 31, v4
	v_lshlrev_b64 v[4:5], 3, v[4:5]
	v_mov_b32_e32 v7, s29
	v_add_co_u32_e32 v4, vcc, s28, v4
	v_addc_co_u32_e32 v5, vcc, v7, v5, vcc
	s_waitcnt lgkmcnt(0)
	global_store_dwordx2 v[4:5], v[8:9], off
	s_or_b64 exec, exec, s[48:49]
	s_and_saveexec_b64 s[48:49], s[2:3]
	s_cbranch_execz .LBB56_108
.LBB56_119:                             ;   in Loop: Header=BB56_105 Depth=2
	s_and_b64 vcc, exec, s[12:13]
	s_cbranch_vccnz .LBB56_121
; %bb.120:                              ;   in Loop: Header=BB56_105 Depth=2
	v_add3_u32 v4, v3, s43, 4
	v_mad_u64_u32 v[4:5], s[50:51], v4, s56, v[0:1]
	s_cbranch_execz .LBB56_122
	s_branch .LBB56_123
.LBB56_121:                             ;   in Loop: Header=BB56_105 Depth=2
                                        ; implicit-def: $vgpr4
.LBB56_122:                             ;   in Loop: Header=BB56_105 Depth=2
	v_add3_u32 v4, v24, v3, 4
.LBB56_123:                             ;   in Loop: Header=BB56_105 Depth=2
	ds_read_b64 v[8:9], v6 offset:32
	v_ashrrev_i32_e32 v5, 31, v4
	v_lshlrev_b64 v[4:5], 3, v[4:5]
	v_mov_b32_e32 v7, s29
	v_add_co_u32_e32 v4, vcc, s28, v4
	v_addc_co_u32_e32 v5, vcc, v7, v5, vcc
	s_waitcnt lgkmcnt(0)
	global_store_dwordx2 v[4:5], v[8:9], off
	s_or_b64 exec, exec, s[48:49]
	s_and_saveexec_b64 s[48:49], s[2:3]
	s_cbranch_execz .LBB56_104
.LBB56_124:                             ;   in Loop: Header=BB56_105 Depth=2
	s_and_b64 vcc, exec, s[12:13]
	s_cbranch_vccnz .LBB56_126
; %bb.125:                              ;   in Loop: Header=BB56_105 Depth=2
	v_add3_u32 v4, v3, s43, 6
	v_mad_u64_u32 v[4:5], s[12:13], v4, s56, v[0:1]
	s_cbranch_execnz .LBB56_103
	s_branch .LBB56_127
.LBB56_126:                             ;   in Loop: Header=BB56_105 Depth=2
                                        ; implicit-def: $vgpr4
.LBB56_127:                             ;   in Loop: Header=BB56_105 Depth=2
	v_add3_u32 v4, v24, v3, 6
	s_branch .LBB56_103
.LBB56_128:
	v_cmp_gt_i32_e64 s[0:1], s56, v1
	s_and_saveexec_b64 s[4:5], s[0:1]
	s_cbranch_execz .LBB56_141
; %bb.129:
	s_mul_i32 s24, s33, s56
	v_add_u32_e32 v2, s24, v0
	s_cmp_lg_u32 s57, 0
	v_mul_lo_u32 v6, v2, s56
	v_mul_u32_u24_e32 v2, 0x108, v0
	v_lshlrev_b32_e32 v3, 3, v1
	s_movk_i32 s8, 0x2100
	s_cselect_b64 s[6:7], -1, 0
	v_cmp_gt_i32_e64 s[2:3], s56, v0
	v_add3_u32 v7, v2, v3, s8
	s_mov_b64 s[8:9], 0
	v_mov_b32_e32 v8, v1
	s_branch .LBB56_131
.LBB56_130:                             ;   in Loop: Header=BB56_131 Depth=1
	s_or_b64 exec, exec, s[12:13]
	v_add_u32_e32 v8, 2, v8
	v_cmp_le_i32_e32 vcc, s56, v8
	s_waitcnt vmcnt(0)
	ds_write_b64 v7, v[4:5]
	s_or_b64 s[8:9], vcc, s[8:9]
	v_add_u32_e32 v7, 16, v7
	s_andn2_b64 exec, exec, s[8:9]
	s_cbranch_execz .LBB56_141
.LBB56_131:                             ; =>This Inner Loop Header: Depth=1
	s_and_b64 vcc, exec, s[6:7]
	s_cbranch_vccz .LBB56_136
; %bb.132:                              ;   in Loop: Header=BB56_131 Depth=1
	s_mov_b64 s[12:13], 0
	s_mov_b64 s[10:11], 0
                                        ; implicit-def: $vgpr2
	s_and_saveexec_b64 s[16:17], s[2:3]
	s_xor_b64 s[16:17], exec, s[16:17]
; %bb.133:                              ;   in Loop: Header=BB56_131 Depth=1
	v_add_u32_e32 v2, s24, v8
	s_mov_b64 s[10:11], exec
	v_mad_u64_u32 v[2:3], s[26:27], v2, s56, v[0:1]
; %bb.134:                              ;   in Loop: Header=BB56_131 Depth=1
	s_or_b64 exec, exec, s[16:17]
	s_mov_b32 s16, 0
	s_and_b64 vcc, exec, s[12:13]
	s_cbranch_vccnz .LBB56_137
.LBB56_135:                             ;   in Loop: Header=BB56_131 Depth=1
	v_mov_b32_e32 v4, s16
	v_mov_b32_e32 v5, s16
	s_and_saveexec_b64 s[12:13], s[10:11]
	s_cbranch_execz .LBB56_130
	s_branch .LBB56_140
.LBB56_136:                             ;   in Loop: Header=BB56_131 Depth=1
	s_mov_b64 s[10:11], 0
                                        ; implicit-def: $vgpr2
                                        ; implicit-def: $sgpr16
	s_cbranch_execz .LBB56_135
.LBB56_137:                             ;   in Loop: Header=BB56_131 Depth=1
                                        ; implicit-def: $vgpr2
	s_and_saveexec_b64 s[12:13], s[2:3]
; %bb.138:                              ;   in Loop: Header=BB56_131 Depth=1
	v_add_u32_e32 v2, v6, v8
	s_or_b64 s[10:11], s[10:11], exec
; %bb.139:                              ;   in Loop: Header=BB56_131 Depth=1
	s_or_b64 exec, exec, s[12:13]
	s_mov_b32 s16, 0
	v_mov_b32_e32 v4, s16
	v_mov_b32_e32 v5, s16
	s_and_saveexec_b64 s[12:13], s[10:11]
	s_cbranch_execz .LBB56_130
.LBB56_140:                             ;   in Loop: Header=BB56_131 Depth=1
	v_ashrrev_i32_e32 v3, 31, v2
	v_lshlrev_b64 v[2:3], 3, v[2:3]
	v_mov_b32_e32 v4, s29
	v_add_co_u32_e32 v2, vcc, s28, v2
	v_addc_co_u32_e32 v3, vcc, v4, v3, vcc
	global_load_dwordx2 v[4:5], v[2:3], off
	s_branch .LBB56_130
.LBB56_141:
	s_or_b64 exec, exec, s[4:5]
; %bb.142:
	s_cmp_lt_i32 s56, 1
	s_waitcnt lgkmcnt(0)
	s_cbranch_scc1 .LBB56_173
; %bb.143:
	v_or_b32_e32 v2, v1, v0
	s_movk_i32 s34, 0x108
	v_mov_b32_e32 v3, 0x4200
	v_cmp_ne_u32_e64 s[2:3], 0, v2
	v_lshlrev_b32_e32 v2, 3, v0
	v_mul_u32_u24_e32 v10, 0x108, v0
	s_movk_i32 s35, 0x2100
	v_mad_u32_u24 v12, v0, s34, v3
	v_add3_u32 v11, v10, v2, s35
	v_add_u32_e32 v13, v12, v2
	v_lshrrev_b32_e32 v2, 1, v16
	v_add_u32_e32 v14, v12, v15
	v_add_u32_e32 v4, 1, v2
	v_add_u32_e32 v5, -1, v2
	v_lshl_add_u32 v2, v2, 4, v14
	v_or_b32_e32 v3, 4, v14
	v_or_b32_e32 v7, 4, v2
	v_cmp_lt_u32_e64 s[4:5], v7, v3
	s_brev_b32 s6, -8
	v_cmp_lt_u32_e64 s[8:9], v2, v14
	v_lshrrev_b32_e32 v6, 1, v5
	v_cmp_lt_u32_e64 s[6:7], s6, v16
	s_or_b64 s[4:5], s[8:9], s[4:5]
	v_add_u32_e32 v6, 1, v6
	s_or_b64 s[4:5], s[4:5], s[6:7]
	v_and_b32_e32 v2, -2, v4
	v_cmp_lt_u32_e32 vcc, 41, v16
	s_xor_b64 s[10:11], s[4:5], -1
	v_lshl_add_u32 v16, v2, 1, v1
	v_and_b32_e32 v17, 3, v6
	v_cmp_ne_u32_e64 s[8:9], v4, v2
	v_mov_b32_e32 v2, 0x2100
	s_mov_b32 s30, 0
	s_add_i32 s31, s20, s21
	v_cmp_lt_u32_e64 s[4:5], 5, v5
	v_and_b32_e32 v18, -4, v6
	v_cmp_ne_u32_e64 s[6:7], 0, v17
	s_and_b64 s[12:13], vcc, s[10:11]
	v_mul_u32_u24_e32 v19, 0x108, v1
	v_mad_u32_u24 v20, v1, s34, v2
	s_mov_b32 s36, 0xf800000
	v_mov_b32_e32 v21, 0x260
	v_mov_b32_e32 v3, 0
	s_movk_i32 s37, 0x210
	v_mul_lo_u32 v22, v16, s34
	v_lshlrev_b32_e32 v23, 3, v16
	s_branch .LBB56_145
.LBB56_144:                             ;   in Loop: Header=BB56_145 Depth=1
	s_or_b64 exec, exec, s[10:11]
	s_add_i32 s30, s30, 1
	s_add_i32 s35, s35, 8
	s_cmp_eq_u32 s30, s56
	v_add_u32_e32 v20, 8, v20
	s_waitcnt lgkmcnt(0)
	s_cbranch_scc1 .LBB56_173
.LBB56_145:                             ; =>This Loop Header: Depth=1
                                        ;     Child Loop BB56_162 Depth 2
                                        ;     Child Loop BB56_166 Depth 2
                                        ;     Child Loop BB56_172 Depth 2
	v_cmp_eq_u32_e32 vcc, s30, v0
	s_and_saveexec_b64 s[16:17], vcc
	s_cbranch_execz .LBB56_153
; %bb.146:                              ;   in Loop: Header=BB56_145 Depth=1
	ds_read_b64 v[4:5], v11
	ds_read_b64 v[6:7], v13
	s_waitcnt lgkmcnt(0)
	v_sub_f32_e32 v2, v4, v6
	v_sub_f32_e32 v6, v5, v7
	v_cmp_gt_f32_e32 vcc, 0, v2
	v_cndmask_b32_e64 v2, v2, -v2, vcc
	v_cmp_gt_f32_e32 vcc, 0, v6
	v_cndmask_b32_e64 v4, v6, -v6, vcc
	v_cmp_ngt_f32_e32 vcc, v2, v4
                                        ; implicit-def: $vgpr5
	s_and_saveexec_b64 s[10:11], vcc
	s_xor_b64 s[24:25], exec, s[10:11]
	s_cbranch_execz .LBB56_150
; %bb.147:                              ;   in Loop: Header=BB56_145 Depth=1
	v_cmp_neq_f32_e32 vcc, 0, v6
	v_mov_b32_e32 v5, 0
	s_and_saveexec_b64 s[26:27], vcc
	s_cbranch_execz .LBB56_149
; %bb.148:                              ;   in Loop: Header=BB56_145 Depth=1
	v_div_scale_f32 v5, s[10:11], v4, v4, v2
	v_rcp_f32_e32 v6, v5
	v_div_scale_f32 v7, vcc, v2, v4, v2
	v_fma_f32 v8, -v5, v6, 1.0
	v_fmac_f32_e32 v6, v8, v6
	v_mul_f32_e32 v8, v7, v6
	v_fma_f32 v9, -v5, v8, v7
	v_fmac_f32_e32 v8, v9, v6
	v_fma_f32 v5, -v5, v8, v7
	v_div_fmas_f32 v5, v5, v6, v8
	v_div_fixup_f32 v2, v5, v4, v2
	v_fma_f32 v2, v2, v2, 1.0
	v_mul_f32_e32 v5, 0x4f800000, v2
	v_cmp_gt_f32_e32 vcc, s36, v2
	v_cndmask_b32_e32 v2, v2, v5, vcc
	v_sqrt_f32_e32 v5, v2
	v_add_u32_e32 v6, -1, v5
	v_fma_f32 v7, -v6, v5, v2
	v_cmp_ge_f32_e64 s[10:11], 0, v7
	v_add_u32_e32 v7, 1, v5
	v_cndmask_b32_e64 v6, v5, v6, s[10:11]
	v_fma_f32 v5, -v7, v5, v2
	v_cmp_lt_f32_e64 s[10:11], 0, v5
	v_cndmask_b32_e64 v5, v6, v7, s[10:11]
	v_mul_f32_e32 v6, 0x37800000, v5
	v_cndmask_b32_e32 v5, v5, v6, vcc
	v_cmp_class_f32_e32 vcc, v2, v21
	v_cndmask_b32_e32 v2, v5, v2, vcc
	v_mul_f32_e32 v5, v4, v2
.LBB56_149:                             ;   in Loop: Header=BB56_145 Depth=1
	s_or_b64 exec, exec, s[26:27]
                                        ; implicit-def: $vgpr2
                                        ; implicit-def: $vgpr4
.LBB56_150:                             ;   in Loop: Header=BB56_145 Depth=1
	s_andn2_saveexec_b64 s[24:25], s[24:25]
	s_cbranch_execz .LBB56_152
; %bb.151:                              ;   in Loop: Header=BB56_145 Depth=1
	v_div_scale_f32 v5, s[10:11], v2, v2, v4
	v_rcp_f32_e32 v6, v5
	v_div_scale_f32 v7, vcc, v4, v2, v4
	v_fma_f32 v8, -v5, v6, 1.0
	v_fmac_f32_e32 v6, v8, v6
	v_mul_f32_e32 v8, v7, v6
	v_fma_f32 v9, -v5, v8, v7
	v_fmac_f32_e32 v8, v9, v6
	v_fma_f32 v5, -v5, v8, v7
	v_div_fmas_f32 v5, v5, v6, v8
	v_div_fixup_f32 v4, v5, v2, v4
	v_fma_f32 v4, v4, v4, 1.0
	v_mul_f32_e32 v5, 0x4f800000, v4
	v_cmp_gt_f32_e32 vcc, s36, v4
	v_cndmask_b32_e32 v4, v4, v5, vcc
	v_sqrt_f32_e32 v5, v4
	v_add_u32_e32 v6, -1, v5
	v_fma_f32 v7, -v6, v5, v4
	v_cmp_ge_f32_e64 s[10:11], 0, v7
	v_add_u32_e32 v7, 1, v5
	v_cndmask_b32_e64 v6, v5, v6, s[10:11]
	v_fma_f32 v5, -v7, v5, v4
	v_cmp_lt_f32_e64 s[10:11], 0, v5
	v_cndmask_b32_e64 v5, v6, v7, s[10:11]
	v_mul_f32_e32 v6, 0x37800000, v5
	v_cndmask_b32_e32 v5, v5, v6, vcc
	v_cmp_class_f32_e32 vcc, v4, v21
	v_cndmask_b32_e32 v4, v5, v4, vcc
	v_mul_f32_e32 v5, v2, v4
.LBB56_152:                             ;   in Loop: Header=BB56_145 Depth=1
	s_or_b64 exec, exec, s[24:25]
	v_mul_f32_e32 v2, 0x4f800000, v5
	v_cmp_gt_f32_e32 vcc, s36, v5
	v_cndmask_b32_e32 v2, v5, v2, vcc
	v_sqrt_f32_e32 v4, v2
	v_add_u32_e32 v5, -1, v4
	v_fma_f32 v7, -v5, v4, v2
	v_add_u32_e32 v6, 1, v4
	v_cmp_ge_f32_e64 s[10:11], 0, v7
	v_cndmask_b32_e64 v5, v4, v5, s[10:11]
	v_fma_f32 v4, -v6, v4, v2
	v_cmp_lt_f32_e64 s[10:11], 0, v4
	v_cndmask_b32_e64 v4, v5, v6, s[10:11]
	v_mul_f32_e32 v5, 0x37800000, v4
	v_cndmask_b32_e32 v4, v4, v5, vcc
	v_cmp_class_f32_e32 vcc, v2, v21
	v_cndmask_b32_e32 v2, v4, v2, vcc
	ds_write_b64 v11, v[2:3]
.LBB56_153:                             ;   in Loop: Header=BB56_145 Depth=1
	s_or_b64 exec, exec, s[16:17]
	s_lshl_b32 s10, s30, 3
	s_mul_i32 s11, s30, 0x108
	s_add_i32 s11, s11, s10
	v_mov_b32_e32 v2, s11
	s_waitcnt lgkmcnt(0)
	ds_read_b64 v[8:9], v2 offset:8448
	v_mov_b32_e32 v2, s10
	v_mad_u32_u24 v7, v0, s34, v2
	ds_read_b64 v[4:5], v7 offset:8448
	s_waitcnt lgkmcnt(1)
	v_cmp_neq_f32_e32 vcc, 0, v8
	v_cmp_neq_f32_e64 s[10:11], 0, v9
	s_or_b64 vcc, vcc, s[10:11]
	s_or_b64 s[10:11], vcc, s[2:3]
	v_cndmask_b32_e32 v2, 0, v9, vcc
	s_xor_b64 s[16:17], s[10:11], -1
	v_cndmask_b32_e32 v6, 1.0, v8, vcc
	s_and_saveexec_b64 s[10:11], s[16:17]
	s_cbranch_execz .LBB56_157
; %bb.154:                              ;   in Loop: Header=BB56_145 Depth=1
	v_mbcnt_lo_u32_b32 v2, exec_lo, 0
	v_mbcnt_hi_u32_b32 v2, exec_hi, v2
	v_cmp_eq_u32_e32 vcc, 0, v2
	s_and_saveexec_b64 s[16:17], vcc
	s_cbranch_execz .LBB56_156
; %bb.155:                              ;   in Loop: Header=BB56_145 Depth=1
	v_mov_b32_e32 v2, s31
	global_atomic_smin v3, v2, s[22:23]
.LBB56_156:                             ;   in Loop: Header=BB56_145 Depth=1
	s_or_b64 exec, exec, s[16:17]
	v_mov_b32_e32 v2, 0
	v_mov_b32_e32 v6, 1.0
.LBB56_157:                             ;   in Loop: Header=BB56_145 Depth=1
	s_or_b64 exec, exec, s[10:11]
	v_cmp_lt_u32_e32 vcc, s30, v0
	s_and_saveexec_b64 s[10:11], vcc
	s_cbranch_execz .LBB56_144
; %bb.158:                              ;   in Loop: Header=BB56_145 Depth=1
	v_mul_f32_e32 v24, v2, v2
	v_fmac_f32_e32 v24, v6, v6
	v_div_scale_f32 v8, s[16:17], v24, v24, 1.0
	v_rcp_f32_e32 v25, v8
	v_add_u32_e32 v28, 0x2100, v7
	v_lshl_add_u32 v7, s30, 3, v10
	v_fma_f32 v9, -v8, v25, 1.0
	v_fmac_f32_e32 v25, v9, v25
	v_div_scale_f32 v9, vcc, 1.0, v24, 1.0
	v_mul_f32_e32 v26, v9, v25
	v_fma_f32 v27, -v8, v26, v9
	v_fmac_f32_e32 v26, v27, v25
	v_fma_f32 v27, -v8, v26, v9
	ds_read_b64 v[8:9], v7 offset:16896
	v_div_fmas_f32 v7, v27, v25, v26
	s_waitcnt lgkmcnt(1)
	v_mov_b32_e32 v26, v5
	v_mov_b32_e32 v27, v4
	v_div_fixup_f32 v24, v7, v24, 1.0
	s_waitcnt lgkmcnt(0)
	v_pk_add_f32 v[4:5], v[26:27], v[8:9] op_sel:[0,1] op_sel_hi:[1,0] neg_lo:[0,1] neg_hi:[0,1]
	v_pk_mul_f32 v[8:9], v[2:3], v[4:5] op_sel:[0,1] op_sel_hi:[0,0] neg_lo:[0,1]
	v_pk_fma_f32 v[4:5], v[4:5], v[6:7], v[8:9] op_sel_hi:[1,0,1]
	v_pk_mul_f32 v[4:5], v[24:25], v[4:5] op_sel_hi:[0,1]
	v_mov_b32_e32 v6, v5
	v_mov_b32_e32 v7, v4
	ds_write_b64 v28, v[6:7]
	s_waitcnt lgkmcnt(0)
	s_and_b64 exec, exec, s[0:1]
	s_cbranch_execz .LBB56_144
; %bb.159:                              ;   in Loop: Header=BB56_145 Depth=1
	s_mov_b64 s[24:25], -1
	v_mov_b32_e32 v2, v1
	v_mov_b32_e32 v8, v19
	;; [unrolled: 1-line block ×3, first 2 shown]
	s_and_saveexec_b64 s[16:17], s[12:13]
	s_cbranch_execz .LBB56_170
; %bb.160:                              ;   in Loop: Header=BB56_145 Depth=1
	v_mov_b32_e32 v6, v5
	v_mov_b32_e32 v7, v5
	;; [unrolled: 1-line block ×5, first 2 shown]
	s_and_saveexec_b64 s[24:25], s[4:5]
	s_cbranch_execz .LBB56_164
; %bb.161:                              ;   in Loop: Header=BB56_145 Depth=1
	s_mov_b32 s38, 0
	s_mov_b64 s[26:27], 0
	v_mov_b32_e32 v2, v18
	v_mov_b32_e32 v24, v14
	;; [unrolled: 1-line block ×3, first 2 shown]
.LBB56_162:                             ;   Parent Loop BB56_145 Depth=1
                                        ; =>  This Inner Loop Header: Depth=2
	ds_read2_b64 v[26:29], v25 offset1:66
	ds_read2_b64 v[30:33], v24 offset1:2
	ds_read2_b64 v[34:37], v24 offset0:4 offset1:6
	v_add_u32_e32 v2, -4, v2
	s_add_i32 s38, s38, 8
	s_waitcnt lgkmcnt(2)
	v_mov_b32_e32 v38, v26
	v_mov_b32_e32 v39, v28
	;; [unrolled: 1-line block ×3, first 2 shown]
	s_waitcnt lgkmcnt(1)
	v_mov_b32_e32 v26, v30
	v_mov_b32_e32 v27, v32
	v_mov_b32_e32 v32, v31
	v_pk_fma_f32 v[26:27], v[6:7], v[38:39], v[26:27]
	v_pk_fma_f32 v[30:31], v[8:9], v[28:29], v[26:27]
	;; [unrolled: 1-line block ×3, first 2 shown]
	v_pk_fma_f32 v[32:33], v[6:7], v[28:29], v[26:27] neg_lo:[0,1,0] neg_hi:[0,1,0]
	ds_read2_b64 v[26:29], v25 offset0:132 offset1:198
	v_mov_b32_e32 v38, v30
	v_mov_b32_e32 v39, v32
	;; [unrolled: 1-line block ×3, first 2 shown]
	ds_write2_b64 v24, v[38:39], v[32:33] offset1:2
	s_waitcnt lgkmcnt(1)
	v_mov_b32_e32 v30, v26
	v_mov_b32_e32 v31, v28
	;; [unrolled: 1-line block ×6, first 2 shown]
	v_pk_fma_f32 v[26:27], v[6:7], v[30:31], v[26:27]
	v_pk_fma_f32 v[32:33], v[8:9], v[28:29], v[26:27]
	;; [unrolled: 1-line block ×3, first 2 shown]
	v_pk_fma_f32 v[34:35], v[6:7], v[28:29], v[26:27] neg_lo:[0,1,0] neg_hi:[0,1,0]
	v_add_u32_e32 v38, 0x800, v25
	v_mov_b32_e32 v36, v32
	ds_read2_b64 v[26:29], v38 offset0:8 offset1:74
	v_mov_b32_e32 v37, v34
	v_mov_b32_e32 v34, v33
	ds_read2_b64 v[30:33], v24 offset0:8 offset1:10
	ds_write2_b64 v24, v[36:37], v[34:35] offset0:4 offset1:6
	s_waitcnt lgkmcnt(2)
	v_mov_b32_e32 v34, v26
	v_mov_b32_e32 v35, v28
	;; [unrolled: 1-line block ×3, first 2 shown]
	s_waitcnt lgkmcnt(1)
	v_mov_b32_e32 v26, v30
	v_mov_b32_e32 v27, v32
	;; [unrolled: 1-line block ×3, first 2 shown]
	v_pk_fma_f32 v[26:27], v[6:7], v[34:35], v[26:27]
	v_pk_fma_f32 v[30:31], v[8:9], v[28:29], v[26:27]
	;; [unrolled: 1-line block ×3, first 2 shown]
	v_pk_fma_f32 v[34:35], v[6:7], v[28:29], v[26:27] neg_lo:[0,1,0] neg_hi:[0,1,0]
	v_mov_b32_e32 v36, v30
	ds_read2_b64 v[26:29], v38 offset0:140 offset1:206
	v_mov_b32_e32 v37, v34
	v_mov_b32_e32 v34, v31
	ds_read2_b64 v[30:33], v24 offset0:12 offset1:14
	ds_write2_b64 v24, v[36:37], v[34:35] offset0:8 offset1:10
	s_waitcnt lgkmcnt(2)
	v_mov_b32_e32 v34, v26
	v_mov_b32_e32 v35, v28
	;; [unrolled: 1-line block ×3, first 2 shown]
	s_waitcnt lgkmcnt(1)
	v_mov_b32_e32 v26, v30
	v_mov_b32_e32 v27, v32
	;; [unrolled: 1-line block ×3, first 2 shown]
	v_pk_fma_f32 v[26:27], v[6:7], v[34:35], v[26:27]
	v_pk_fma_f32 v[30:31], v[8:9], v[34:35], v[32:33]
	;; [unrolled: 1-line block ×3, first 2 shown]
	v_pk_fma_f32 v[28:29], v[6:7], v[28:29], v[30:31] neg_lo:[0,1,0] neg_hi:[0,1,0]
	v_mov_b32_e32 v30, v26
	v_mov_b32_e32 v31, v28
	;; [unrolled: 1-line block ×3, first 2 shown]
	v_cmp_eq_u32_e32 vcc, 0, v2
	ds_write2_b64 v24, v[30:31], v[28:29] offset0:12 offset1:14
	v_add_u32_e32 v25, 0x1080, v25
	v_add_u32_e32 v24, 0x80, v24
	s_or_b64 s[26:27], vcc, s[26:27]
	v_mov_b32_e32 v26, s38
	s_andn2_b64 exec, exec, s[26:27]
	s_cbranch_execnz .LBB56_162
; %bb.163:                              ;   in Loop: Header=BB56_145 Depth=1
	s_or_b64 exec, exec, s[26:27]
.LBB56_164:                             ;   in Loop: Header=BB56_145 Depth=1
	s_or_b64 exec, exec, s[24:25]
	s_and_saveexec_b64 s[24:25], s[6:7]
	s_cbranch_execz .LBB56_167
; %bb.165:                              ;   in Loop: Header=BB56_145 Depth=1
	v_lshl_add_u32 v2, v26, 4, v14
	v_mul_lo_u32 v24, v26, s37
	s_mov_b64 s[26:27], 0
	v_mov_b32_e32 v25, v17
.LBB56_166:                             ;   Parent Loop BB56_145 Depth=1
                                        ; =>  This Inner Loop Header: Depth=2
	v_add_u32_e32 v30, v20, v24
	ds_read2_b64 v[26:29], v2 offset1:2
	ds_read2_b64 v[30:33], v30 offset1:66
	v_add_u32_e32 v25, -1, v25
	v_cmp_eq_u32_e32 vcc, 0, v25
	s_or_b64 s[26:27], vcc, s[26:27]
	s_waitcnt lgkmcnt(1)
	v_mov_b32_e32 v34, v26
	s_waitcnt lgkmcnt(0)
	v_mov_b32_e32 v36, v30
	v_mov_b32_e32 v37, v32
	;; [unrolled: 1-line block ×5, first 2 shown]
	v_pk_fma_f32 v[26:27], v[6:7], v[36:37], v[34:35]
	v_pk_fma_f32 v[28:29], v[8:9], v[36:37], v[28:29]
	;; [unrolled: 1-line block ×3, first 2 shown]
	v_pk_fma_f32 v[28:29], v[6:7], v[32:33], v[28:29] neg_lo:[0,1,0] neg_hi:[0,1,0]
	v_mov_b32_e32 v30, v26
	v_mov_b32_e32 v31, v28
	;; [unrolled: 1-line block ×3, first 2 shown]
	ds_write2_b64 v2, v[30:31], v[28:29] offset1:2
	v_add_u32_e32 v2, 32, v2
	v_add_u32_e32 v24, 0x420, v24
	s_andn2_b64 exec, exec, s[26:27]
	s_cbranch_execnz .LBB56_166
.LBB56_167:                             ;   in Loop: Header=BB56_145 Depth=1
	s_or_b64 exec, exec, s[24:25]
	s_mov_b64 s[24:25], 0
	s_and_saveexec_b64 s[26:27], s[8:9]
; %bb.168:                              ;   in Loop: Header=BB56_145 Depth=1
	s_mov_b64 s[24:25], exec
; %bb.169:                              ;   in Loop: Header=BB56_145 Depth=1
	s_or_b64 exec, exec, s[26:27]
	s_orn2_b64 s[24:25], s[24:25], exec
	v_mov_b32_e32 v2, v16
	v_mov_b32_e32 v8, v22
	;; [unrolled: 1-line block ×3, first 2 shown]
.LBB56_170:                             ;   in Loop: Header=BB56_145 Depth=1
	s_or_b64 exec, exec, s[16:17]
	s_and_b64 exec, exec, s[24:25]
	s_cbranch_execz .LBB56_144
; %bb.171:                              ;   in Loop: Header=BB56_145 Depth=1
	v_mov_b32_e32 v6, v5
	v_mov_b32_e32 v7, v4
	v_add_u32_e32 v9, v12, v9
	s_mov_b64 s[16:17], 0
	s_mov_b32 s24, s35
.LBB56_172:                             ;   Parent Loop BB56_145 Depth=1
                                        ; =>  This Inner Loop Header: Depth=2
	v_add_u32_e32 v26, s24, v8
	ds_read_b64 v[24:25], v9
	ds_read_b64 v[26:27], v26
	v_add_u32_e32 v2, 2, v2
	s_addk_i32 s24, 0x210
	v_cmp_le_i32_e32 vcc, s56, v2
	s_or_b64 s[16:17], vcc, s[16:17]
	s_waitcnt lgkmcnt(0)
	v_pk_fma_f32 v[24:25], v[6:7], v[26:27], v[24:25] op_sel_hi:[1,0,1]
	v_pk_fma_f32 v[24:25], v[4:5], v[26:27], v[24:25] op_sel:[0,1,0] neg_hi:[0,1,0]
	ds_write_b64 v9, v[24:25]
	v_add_u32_e32 v9, 16, v9
	s_andn2_b64 exec, exec, s[16:17]
	s_cbranch_execnz .LBB56_172
	s_branch .LBB56_144
.LBB56_173:
	s_and_saveexec_b64 s[2:3], s[0:1]
	s_cbranch_execz .LBB56_182
; %bb.174:
	s_mul_i32 s33, s33, s56
	v_add_u32_e32 v2, s33, v0
	s_cmp_lg_u32 s57, 0
	v_mul_lo_u32 v4, v2, s56
	v_mul_u32_u24_e32 v2, 0x108, v0
	s_movk_i32 s6, 0x2100
	v_cmp_gt_i32_e64 s[0:1], s56, v0
	s_cselect_b64 s[4:5], -1, 0
	v_add3_u32 v5, v2, v15, s6
	s_mov_b64 s[6:7], 0
	v_mov_b32_e32 v6, v1
	s_branch .LBB56_177
.LBB56_175:                             ;   in Loop: Header=BB56_177 Depth=1
	ds_read_b64 v[8:9], v5
	v_ashrrev_i32_e32 v3, 31, v2
	v_lshlrev_b64 v[2:3], 3, v[2:3]
	v_mov_b32_e32 v7, s29
	v_add_co_u32_e32 v2, vcc, s28, v2
	v_addc_co_u32_e32 v3, vcc, v7, v3, vcc
	s_waitcnt lgkmcnt(0)
	global_store_dwordx2 v[2:3], v[8:9], off
.LBB56_176:                             ;   in Loop: Header=BB56_177 Depth=1
	s_or_b64 exec, exec, s[8:9]
	v_add_u32_e32 v6, 2, v6
	v_cmp_le_i32_e32 vcc, s56, v6
	s_or_b64 s[6:7], vcc, s[6:7]
	v_add_u32_e32 v5, 16, v5
	s_andn2_b64 exec, exec, s[6:7]
	s_cbranch_execz .LBB56_182
.LBB56_177:                             ; =>This Inner Loop Header: Depth=1
	s_and_saveexec_b64 s[8:9], s[0:1]
	s_cbranch_execz .LBB56_176
; %bb.178:                              ;   in Loop: Header=BB56_177 Depth=1
	s_and_b64 vcc, exec, s[4:5]
	s_cbranch_vccz .LBB56_180
; %bb.179:                              ;   in Loop: Header=BB56_177 Depth=1
	v_add_u32_e32 v2, s33, v6
	v_mad_u64_u32 v[2:3], s[10:11], v2, s56, v[0:1]
	s_cbranch_execnz .LBB56_175
	s_branch .LBB56_181
.LBB56_180:                             ;   in Loop: Header=BB56_177 Depth=1
                                        ; implicit-def: $vgpr2
.LBB56_181:                             ;   in Loop: Header=BB56_177 Depth=1
	v_add_u32_e32 v2, v4, v6
	s_branch .LBB56_175
.LBB56_182:
	s_or_b64 exec, exec, s[2:3]
	v_or_b32_e32 v2, v1, v0
	v_cmp_eq_u32_e64 s[0:1], 0, v2
.LBB56_183:
	s_and_saveexec_b64 s[2:3], s[0:1]
	s_cbranch_execnz .LBB56_191
.LBB56_184:
	s_endpgm
.LBB56_185:
	s_mov_b64 s[0:1], 0
	s_cbranch_execz .LBB56_183
; %bb.186:
	v_or_b32_e32 v0, v1, v0
	v_cmp_eq_u32_e32 vcc, 0, v0
	s_and_saveexec_b64 s[2:3], vcc
	s_cbranch_execz .LBB56_190
; %bb.187:
	v_mbcnt_lo_u32_b32 v0, exec_lo, 0
	v_mbcnt_hi_u32_b32 v0, exec_hi, v0
	v_cmp_eq_u32_e32 vcc, 0, v0
	s_and_saveexec_b64 s[4:5], vcc
	s_cbranch_execz .LBB56_189
; %bb.188:
	s_add_i32 s6, s20, s21
	v_mov_b32_e32 v0, 0
	v_mov_b32_e32 v1, s6
	global_atomic_smin v0, v1, s[22:23]
.LBB56_189:
	s_or_b64 exec, exec, s[4:5]
	s_or_b64 s[0:1], s[0:1], exec
.LBB56_190:
	s_or_b64 exec, exec, s[2:3]
	s_and_saveexec_b64 s[2:3], s[0:1]
	s_cbranch_execz .LBB56_184
.LBB56_191:
	s_add_u32 s0, s18, s14
	s_addc_u32 s1, s19, s15
	v_mov_b32_e32 v0, 0
	v_mov_b32_e32 v1, 1
	s_waitcnt vmcnt(0)
	global_store_dword v0, v1, s[0:1]
	s_endpgm
	.section	.rodata,"a",@progbits
	.p2align	6, 0x0
	.amdhsa_kernel _ZN9rocsparseL19bsric0_17_32_kernelILi64ELi128ELi32E21rocsparse_complex_numIfEEEv20rocsparse_direction_iiPKiS5_PT2_S5_PiS5_S8_21rocsparse_index_base_
		.amdhsa_group_segment_fixed_size 26880
		.amdhsa_private_segment_fixed_size 0
		.amdhsa_kernarg_size 76
		.amdhsa_user_sgpr_count 6
		.amdhsa_user_sgpr_private_segment_buffer 1
		.amdhsa_user_sgpr_dispatch_ptr 0
		.amdhsa_user_sgpr_queue_ptr 0
		.amdhsa_user_sgpr_kernarg_segment_ptr 1
		.amdhsa_user_sgpr_dispatch_id 0
		.amdhsa_user_sgpr_flat_scratch_init 0
		.amdhsa_user_sgpr_kernarg_preload_length 0
		.amdhsa_user_sgpr_kernarg_preload_offset 0
		.amdhsa_user_sgpr_private_segment_size 0
		.amdhsa_uses_dynamic_stack 0
		.amdhsa_system_sgpr_private_segment_wavefront_offset 0
		.amdhsa_system_sgpr_workgroup_id_x 1
		.amdhsa_system_sgpr_workgroup_id_y 0
		.amdhsa_system_sgpr_workgroup_id_z 0
		.amdhsa_system_sgpr_workgroup_info 0
		.amdhsa_system_vgpr_workitem_id 1
		.amdhsa_next_free_vgpr 70
		.amdhsa_next_free_sgpr 66
		.amdhsa_accum_offset 72
		.amdhsa_reserve_vcc 1
		.amdhsa_reserve_flat_scratch 0
		.amdhsa_float_round_mode_32 0
		.amdhsa_float_round_mode_16_64 0
		.amdhsa_float_denorm_mode_32 3
		.amdhsa_float_denorm_mode_16_64 3
		.amdhsa_dx10_clamp 1
		.amdhsa_ieee_mode 1
		.amdhsa_fp16_overflow 0
		.amdhsa_tg_split 0
		.amdhsa_exception_fp_ieee_invalid_op 0
		.amdhsa_exception_fp_denorm_src 0
		.amdhsa_exception_fp_ieee_div_zero 0
		.amdhsa_exception_fp_ieee_overflow 0
		.amdhsa_exception_fp_ieee_underflow 0
		.amdhsa_exception_fp_ieee_inexact 0
		.amdhsa_exception_int_div_zero 0
	.end_amdhsa_kernel
	.section	.text._ZN9rocsparseL19bsric0_17_32_kernelILi64ELi128ELi32E21rocsparse_complex_numIfEEEv20rocsparse_direction_iiPKiS5_PT2_S5_PiS5_S8_21rocsparse_index_base_,"axG",@progbits,_ZN9rocsparseL19bsric0_17_32_kernelILi64ELi128ELi32E21rocsparse_complex_numIfEEEv20rocsparse_direction_iiPKiS5_PT2_S5_PiS5_S8_21rocsparse_index_base_,comdat
.Lfunc_end56:
	.size	_ZN9rocsparseL19bsric0_17_32_kernelILi64ELi128ELi32E21rocsparse_complex_numIfEEEv20rocsparse_direction_iiPKiS5_PT2_S5_PiS5_S8_21rocsparse_index_base_, .Lfunc_end56-_ZN9rocsparseL19bsric0_17_32_kernelILi64ELi128ELi32E21rocsparse_complex_numIfEEEv20rocsparse_direction_iiPKiS5_PT2_S5_PiS5_S8_21rocsparse_index_base_
                                        ; -- End function
	.section	.AMDGPU.csdata,"",@progbits
; Kernel info:
; codeLenInByte = 7624
; NumSgprs: 70
; NumVgprs: 70
; NumAgprs: 0
; TotalNumVgprs: 70
; ScratchSize: 0
; MemoryBound: 0
; FloatMode: 240
; IeeeMode: 1
; LDSByteSize: 26880 bytes/workgroup (compile time only)
; SGPRBlocks: 8
; VGPRBlocks: 8
; NumSGPRsForWavesPerEU: 70
; NumVGPRsForWavesPerEU: 70
; AccumOffset: 72
; Occupancy: 1
; WaveLimiterHint : 1
; COMPUTE_PGM_RSRC2:SCRATCH_EN: 0
; COMPUTE_PGM_RSRC2:USER_SGPR: 6
; COMPUTE_PGM_RSRC2:TRAP_HANDLER: 0
; COMPUTE_PGM_RSRC2:TGID_X_EN: 1
; COMPUTE_PGM_RSRC2:TGID_Y_EN: 0
; COMPUTE_PGM_RSRC2:TGID_Z_EN: 0
; COMPUTE_PGM_RSRC2:TIDIG_COMP_CNT: 1
; COMPUTE_PGM_RSRC3_GFX90A:ACCUM_OFFSET: 17
; COMPUTE_PGM_RSRC3_GFX90A:TG_SPLIT: 0
	.section	.text._ZN9rocsparseL23bsric0_binsearch_kernelILj32ELj32ELb0E21rocsparse_complex_numIdEEEv20rocsparse_direction_iiPKiS5_PT2_S5_PiS5_S8_21rocsparse_index_base_,"axG",@progbits,_ZN9rocsparseL23bsric0_binsearch_kernelILj32ELj32ELb0E21rocsparse_complex_numIdEEEv20rocsparse_direction_iiPKiS5_PT2_S5_PiS5_S8_21rocsparse_index_base_,comdat
	.globl	_ZN9rocsparseL23bsric0_binsearch_kernelILj32ELj32ELb0E21rocsparse_complex_numIdEEEv20rocsparse_direction_iiPKiS5_PT2_S5_PiS5_S8_21rocsparse_index_base_ ; -- Begin function _ZN9rocsparseL23bsric0_binsearch_kernelILj32ELj32ELb0E21rocsparse_complex_numIdEEEv20rocsparse_direction_iiPKiS5_PT2_S5_PiS5_S8_21rocsparse_index_base_
	.p2align	8
	.type	_ZN9rocsparseL23bsric0_binsearch_kernelILj32ELj32ELb0E21rocsparse_complex_numIdEEEv20rocsparse_direction_iiPKiS5_PT2_S5_PiS5_S8_21rocsparse_index_base_,@function
_ZN9rocsparseL23bsric0_binsearch_kernelILj32ELj32ELb0E21rocsparse_complex_numIdEEEv20rocsparse_direction_iiPKiS5_PT2_S5_PiS5_S8_21rocsparse_index_base_: ; @_ZN9rocsparseL23bsric0_binsearch_kernelILj32ELj32ELb0E21rocsparse_complex_numIdEEEv20rocsparse_direction_iiPKiS5_PT2_S5_PiS5_S8_21rocsparse_index_base_
; %bb.0:
	s_load_dwordx8 s[16:23], s[4:5], 0x28
	s_ashr_i32 s7, s6, 31
	s_lshl_b64 s[0:1], s[6:7], 2
	s_waitcnt lgkmcnt(0)
	s_add_u32 s0, s20, s0
	s_addc_u32 s1, s21, s1
	s_load_dword s14, s[0:1], 0x0
	s_waitcnt lgkmcnt(0)
	s_ashr_i32 s15, s14, 31
	s_lshl_b64 s[0:1], s[14:15], 2
	s_add_u32 s0, s16, s0
	s_addc_u32 s1, s17, s1
	s_load_dword s54, s[0:1], 0x0
	s_load_dword s33, s[4:5], 0x48
	v_pk_mov_b32 v[2:3], s[14:15], s[14:15] op_sel:[0,1]
	s_mov_b64 s[0:1], 0
	s_waitcnt lgkmcnt(0)
	s_cmp_lg_u32 s54, -1
	s_cselect_b64 s[2:3], -1, 0
	s_and_saveexec_b64 s[6:7], s[2:3]
	s_xor_b64 s[20:21], exec, s[6:7]
	s_cbranch_execnz .LBB57_4
; %bb.1:
	s_andn2_saveexec_b64 s[2:3], s[20:21]
	s_cbranch_execnz .LBB57_77
.LBB57_2:
	s_or_b64 exec, exec, s[2:3]
	s_and_saveexec_b64 s[2:3], s[0:1]
	s_cbranch_execnz .LBB57_84
.LBB57_3:
	s_endpgm
.LBB57_4:
	s_load_dword s55, s[4:5], 0x8
	s_waitcnt lgkmcnt(0)
	v_cmp_gt_i32_e32 vcc, s55, v0
	s_and_saveexec_b64 s[28:29], vcc
	s_cbranch_execz .LBB57_76
; %bb.5:
	s_load_dwordx4 s[24:27], s[4:5], 0x10
	s_load_dword s6, s[4:5], 0x0
	v_lshlrev_b64 v[4:5], 2, s[14:15]
	v_add_u32_e32 v34, s33, v2
	s_load_dwordx2 s[30:31], s[4:5], 0x20
	s_waitcnt lgkmcnt(0)
	v_mov_b32_e32 v1, s25
	v_add_co_u32_e32 v4, vcc, s24, v4
	v_addc_co_u32_e32 v5, vcc, v1, v5, vcc
	global_load_dwordx2 v[6:7], v[4:5], off
	v_mov_b32_e32 v3, s54
	s_mul_i32 s25, s55, s55
	v_mul_lo_u32 v38, v3, s25
	s_cmp_eq_u32 s6, 0
	s_mov_b32 s36, 0
	v_mov_b32_e32 v39, s27
	s_cselect_b64 s[2:3], -1, 0
	s_cmp_lg_u32 s6, 0
	v_cmp_ne_u32_e64 s[0:1], 0, v0
	s_mov_b64 s[34:35], 0
	v_mov_b32_e32 v4, 0
	s_brev_b32 s37, 8
	v_mov_b32_e32 v35, 0x260
	v_mov_b32_e32 v36, 0x3ff00000
	;; [unrolled: 1-line block ×3, first 2 shown]
	s_cselect_b64 s[38:39], -1, 0
	s_waitcnt vmcnt(0)
	v_subrev_u32_e32 v40, s33, v6
	v_xad_u32 v41, s33, -1, v7
	v_add_u32_e32 v2, v41, v40
	v_ashrrev_i32_e32 v10, 1, v2
	v_ashrrev_i32_e32 v11, 31, v10
	v_lshlrev_b64 v[2:3], 2, v[10:11]
	v_mul_lo_u32 v42, s25, v40
	v_add_co_u32_e32 v12, vcc, s26, v2
	v_cmp_gt_i32_e64 s[4:5], s54, v40
	v_cmp_le_i32_e64 s[6:7], s54, v40
	v_cmp_lt_i32_e64 s[8:9], v40, v41
	v_add_u32_e32 v43, v42, v0
	v_addc_co_u32_e32 v13, vcc, v39, v3, vcc
	v_mov_b32_e32 v11, v0
	s_branch .LBB57_7
.LBB57_6:                               ;   in Loop: Header=BB57_7 Depth=1
	v_add_u32_e32 v11, 32, v11
	v_cmp_le_i32_e32 vcc, s55, v11
	s_or_b64 s[34:35], vcc, s[34:35]
	v_add_u32_e32 v43, 32, v43
	s_andn2_b64 exec, exec, s[34:35]
	s_cbranch_execz .LBB57_76
.LBB57_7:                               ; =>This Loop Header: Depth=1
                                        ;     Child Loop BB57_13 Depth 2
                                        ;       Child Loop BB57_16 Depth 3
                                        ;       Child Loop BB57_20 Depth 3
                                        ;         Child Loop BB57_22 Depth 4
                                        ;         Child Loop BB57_29 Depth 4
                                        ;           Child Loop BB57_31 Depth 5
                                        ;           Child Loop BB57_37 Depth 5
                                        ;     Child Loop BB57_44 Depth 2
                                        ;       Child Loop BB57_54 Depth 3
                                        ;       Child Loop BB57_62 Depth 3
                                        ;         Child Loop BB57_64 Depth 4
                                        ;       Child Loop BB57_72 Depth 3
	v_mul_lo_u32 v44, v11, s55
                                        ; implicit-def: $sgpr10_sgpr11
	s_and_saveexec_b64 s[12:13], s[6:7]
	s_xor_b64 s[12:13], exec, s[12:13]
; %bb.8:                                ;   in Loop: Header=BB57_7 Depth=1
	v_mul_lo_u32 v44, v11, s55
	s_mov_b64 s[10:11], 0
; %bb.9:                                ;   in Loop: Header=BB57_7 Depth=1
	s_or_saveexec_b64 s[40:41], s[12:13]
	v_pk_mov_b32 v[14:15], s[10:11], s[10:11] op_sel:[0,1]
	v_pk_mov_b32 v[16:17], s[10:11], s[10:11] op_sel:[0,1]
	s_xor_b64 exec, exec, s[40:41]
	s_cbranch_execz .LBB57_41
; %bb.10:                               ;   in Loop: Header=BB57_7 Depth=1
	v_pk_mov_b32 v[14:15], 0, 0
	s_mov_b64 s[42:43], 0
	v_mov_b32_e32 v2, v40
	v_pk_mov_b32 v[16:17], v[14:15], v[14:15] op_sel:[0,1]
                                        ; implicit-def: $sgpr44_sgpr45
	s_branch .LBB57_13
.LBB57_11:                              ;   in Loop: Header=BB57_13 Depth=2
	v_add_u32_e32 v2, 1, v2
	v_cmp_le_i32_e32 vcc, s54, v2
	s_andn2_b64 s[10:11], s[44:45], exec
	s_and_b64 s[12:13], vcc, exec
	s_or_b64 s[44:45], s[10:11], s[12:13]
.LBB57_12:                              ;   in Loop: Header=BB57_13 Depth=2
	s_or_b64 exec, exec, s[46:47]
	s_and_b64 s[10:11], exec, s[44:45]
	s_or_b64 s[42:43], s[10:11], s[42:43]
	s_andn2_b64 exec, exec, s[42:43]
	s_cbranch_execz .LBB57_40
.LBB57_13:                              ;   Parent Loop BB57_7 Depth=1
                                        ; =>  This Loop Header: Depth=2
                                        ;       Child Loop BB57_16 Depth 3
                                        ;       Child Loop BB57_20 Depth 3
                                        ;         Child Loop BB57_22 Depth 4
                                        ;         Child Loop BB57_29 Depth 4
                                        ;           Child Loop BB57_31 Depth 5
                                        ;           Child Loop BB57_37 Depth 5
	v_ashrrev_i32_e32 v3, 31, v2
	v_lshlrev_b64 v[6:7], 2, v[2:3]
	v_add_co_u32_e32 v6, vcc, s26, v6
	v_addc_co_u32_e32 v7, vcc, v39, v7, vcc
	global_load_dword v3, v[6:7], off
	v_mov_b32_e32 v5, s17
	s_or_b64 s[44:45], s[44:45], exec
	s_waitcnt vmcnt(0)
	v_subrev_u32_e32 v6, s33, v3
	v_ashrrev_i32_e32 v7, 31, v6
	v_lshlrev_b64 v[8:9], 2, v[6:7]
	v_add_co_u32_e32 v18, vcc, s16, v8
	v_addc_co_u32_e32 v19, vcc, v5, v9, vcc
	global_load_dword v5, v[18:19], off
	s_waitcnt vmcnt(0)
	v_cmp_ne_u32_e32 vcc, -1, v5
	s_and_saveexec_b64 s[46:47], vcc
	s_cbranch_execz .LBB57_12
; %bb.14:                               ;   in Loop: Header=BB57_13 Depth=2
	v_add_co_u32_e32 v18, vcc, s24, v8
	v_addc_co_u32_e32 v19, vcc, v1, v9, vcc
	global_load_dword v7, v[18:19], off
	v_mov_b32_e32 v18, s19
	v_add_co_u32_e32 v8, vcc, s18, v8
	v_addc_co_u32_e32 v9, vcc, v18, v9, vcc
	global_load_dword v18, v[8:9], off glc
	s_waitcnt vmcnt(0)
	v_cmp_eq_u32_e32 vcc, 0, v18
	s_and_saveexec_b64 s[10:11], vcc
	s_cbranch_execz .LBB57_17
; %bb.15:                               ;   in Loop: Header=BB57_13 Depth=2
	s_mov_b64 s[12:13], 0
.LBB57_16:                              ;   Parent Loop BB57_7 Depth=1
                                        ;     Parent Loop BB57_13 Depth=2
                                        ; =>    This Inner Loop Header: Depth=3
	global_load_dword v18, v[8:9], off glc
	s_waitcnt vmcnt(0)
	v_cmp_ne_u32_e32 vcc, 0, v18
	s_or_b64 s[12:13], vcc, s[12:13]
	s_andn2_b64 exec, exec, s[12:13]
	s_cbranch_execnz .LBB57_16
.LBB57_17:                              ;   in Loop: Header=BB57_13 Depth=2
	s_or_b64 exec, exec, s[10:11]
	v_subrev_u32_e32 v45, s33, v7
	v_mul_lo_u32 v46, v6, s55
	v_mul_lo_u32 v6, v2, s25
	;; [unrolled: 1-line block ×3, first 2 shown]
	v_add_u32_e32 v48, v6, v11
	v_add_u32_e32 v49, v6, v44
	v_cmp_le_i32_e64 s[10:11], v45, v5
	v_mul_lo_u32 v50, s25, v45
	s_mov_b32 s56, 0
	buffer_wbinvl1_vol
	s_branch .LBB57_20
.LBB57_18:                              ;   in Loop: Header=BB57_20 Depth=3
	s_or_b64 exec, exec, s[48:49]
.LBB57_19:                              ;   in Loop: Header=BB57_20 Depth=3
	s_or_b64 exec, exec, s[12:13]
	v_mul_f64 v[28:29], v[20:21], v[20:21]
	v_fmac_f64_e32 v[28:29], v[18:19], v[18:19]
	v_div_scale_f64 v[30:31], s[12:13], v[28:29], v[28:29], 1.0
	v_rcp_f64_e32 v[32:33], v[30:31]
	s_waitcnt vmcnt(0)
	v_add_f64 v[26:27], v[6:7], -v[26:27]
	v_add_f64 v[8:9], v[8:9], -v[24:25]
	s_add_i32 s56, s56, 1
	v_fma_f64 v[6:7], -v[30:31], v[32:33], 1.0
	v_fmac_f64_e32 v[32:33], v[32:33], v[6:7]
	v_fma_f64 v[6:7], -v[30:31], v[32:33], 1.0
	v_fmac_f64_e32 v[32:33], v[32:33], v[6:7]
	v_div_scale_f64 v[6:7], vcc, 1.0, v[28:29], 1.0
	v_mul_f64 v[24:25], v[6:7], v[32:33]
	v_fma_f64 v[6:7], -v[30:31], v[24:25], v[6:7]
	s_cmp_eq_u32 s56, s55
	s_nop 0
	v_div_fmas_f64 v[6:7], v[6:7], v[32:33], v[24:25]
	v_div_fixup_f64 v[24:25], v[6:7], v[28:29], 1.0
	v_mul_f64 v[6:7], v[20:21], v[8:9]
	v_mul_f64 v[20:21], v[20:21], -v[26:27]
	v_fmac_f64_e32 v[6:7], v[26:27], v[18:19]
	v_fmac_f64_e32 v[20:21], v[8:9], v[18:19]
	v_mul_f64 v[6:7], v[24:25], v[6:7]
	v_mul_f64 v[8:9], v[24:25], v[20:21]
	v_fmac_f64_e32 v[16:17], v[6:7], v[6:7]
	v_fmac_f64_e32 v[14:15], v[8:9], v[6:7]
	;; [unrolled: 1-line block ×3, first 2 shown]
	v_fma_f64 v[14:15], v[6:7], -v[8:9], v[14:15]
	v_add_u32_e32 v50, 1, v50
	global_store_dwordx4 v[22:23], v[6:9], off
	s_cbranch_scc1 .LBB57_11
.LBB57_20:                              ;   Parent Loop BB57_7 Depth=1
                                        ;     Parent Loop BB57_13 Depth=2
                                        ; =>    This Loop Header: Depth=3
                                        ;         Child Loop BB57_22 Depth 4
                                        ;         Child Loop BB57_29 Depth 4
                                        ;           Child Loop BB57_31 Depth 5
                                        ;           Child Loop BB57_37 Depth 5
	s_mul_i32 s57, s56, s55
	s_add_i32 s12, s57, s56
	v_add_u32_e32 v6, s12, v47
	v_ashrrev_i32_e32 v7, 31, v6
	v_lshlrev_b64 v[6:7], 4, v[6:7]
	v_mov_b32_e32 v8, s31
	v_add_co_u32_e32 v6, vcc, s30, v6
	v_addc_co_u32_e32 v7, vcc, v8, v7, vcc
	global_load_dwordx4 v[6:9], v[6:7], off
	s_waitcnt vmcnt(0)
	v_cmp_neq_f64_e32 vcc, 0, v[6:7]
	v_cmp_neq_f64_e64 s[12:13], 0, v[8:9]
	s_or_b64 vcc, vcc, s[12:13]
	s_or_b64 s[12:13], vcc, s[0:1]
	v_cndmask_b32_e32 v19, v36, v7, vcc
	v_cndmask_b32_e32 v18, 0, v6, vcc
	v_cndmask_b32_e32 v21, 0, v9, vcc
	s_xor_b64 s[48:49], s[12:13], -1
	v_cndmask_b32_e32 v20, 0, v8, vcc
	s_and_saveexec_b64 s[12:13], s[48:49]
	s_cbranch_execz .LBB57_26
; %bb.21:                               ;   in Loop: Header=BB57_20 Depth=3
	s_mov_b64 s[48:49], exec
	s_brev_b32 s50, -2
.LBB57_22:                              ;   Parent Loop BB57_7 Depth=1
                                        ;     Parent Loop BB57_13 Depth=2
                                        ;       Parent Loop BB57_20 Depth=3
                                        ; =>      This Inner Loop Header: Depth=4
	s_ff1_i32_b64 s51, s[48:49]
	v_readlane_b32 s58, v3, s51
	s_lshl_b64 s[52:53], 1, s51
	s_min_i32 s50, s50, s58
	s_andn2_b64 s[48:49], s[48:49], s[52:53]
	s_cmp_lg_u64 s[48:49], 0
	s_cbranch_scc1 .LBB57_22
; %bb.23:                               ;   in Loop: Header=BB57_20 Depth=3
	v_mbcnt_lo_u32_b32 v6, exec_lo, 0
	v_mbcnt_hi_u32_b32 v6, exec_hi, v6
	v_cmp_eq_u32_e32 vcc, 0, v6
	s_and_saveexec_b64 s[48:49], vcc
	s_xor_b64 s[48:49], exec, s[48:49]
	s_cbranch_execz .LBB57_25
; %bb.24:                               ;   in Loop: Header=BB57_20 Depth=3
	v_mov_b32_e32 v6, s50
	global_atomic_smin v4, v6, s[22:23]
.LBB57_25:                              ;   in Loop: Header=BB57_20 Depth=3
	s_or_b64 exec, exec, s[48:49]
	v_mov_b32_e32 v18, 0
	v_pk_mov_b32 v[20:21], 0, 0
	v_mov_b32_e32 v19, 0x3ff00000
.LBB57_26:                              ;   in Loop: Header=BB57_20 Depth=3
	s_or_b64 exec, exec, s[12:13]
	v_add_u32_e32 v6, s56, v49
	v_add_u32_e32 v7, s57, v48
	v_cndmask_b32_e64 v6, v7, v6, s[2:3]
	v_ashrrev_i32_e32 v7, 31, v6
	v_lshlrev_b64 v[6:7], 4, v[6:7]
	v_mov_b32_e32 v8, s31
	v_add_co_u32_e32 v22, vcc, s30, v6
	v_addc_co_u32_e32 v23, vcc, v8, v7, vcc
	global_load_dwordx4 v[6:9], v[22:23], off
	v_pk_mov_b32 v[24:25], 0, 0
	v_pk_mov_b32 v[26:27], v[24:25], v[24:25] op_sel:[0,1]
	s_and_saveexec_b64 s[12:13], s[10:11]
	s_cbranch_execz .LBB57_19
; %bb.27:                               ;   in Loop: Header=BB57_20 Depth=3
	global_load_dword v51, v[12:13], off
	v_pk_mov_b32 v[24:25], 0, 0
	v_add_u32_e32 v52, s56, v46
	s_mov_b64 s[48:49], 0
	v_mov_b32_e32 v53, v50
	v_mov_b32_e32 v28, v45
	v_pk_mov_b32 v[26:27], v[24:25], v[24:25] op_sel:[0,1]
	s_branch .LBB57_29
.LBB57_28:                              ;   in Loop: Header=BB57_29 Depth=4
	s_or_b64 exec, exec, s[50:51]
	v_add_u32_e32 v29, 1, v28
	v_cmp_ge_i32_e32 vcc, v28, v5
	v_add_u32_e32 v53, s25, v53
	s_or_b64 s[48:49], vcc, s[48:49]
	v_mov_b32_e32 v28, v29
	s_andn2_b64 exec, exec, s[48:49]
	s_cbranch_execz .LBB57_18
.LBB57_29:                              ;   Parent Loop BB57_7 Depth=1
                                        ;     Parent Loop BB57_13 Depth=2
                                        ;       Parent Loop BB57_20 Depth=3
                                        ; =>      This Loop Header: Depth=4
                                        ;           Child Loop BB57_31 Depth 5
                                        ;           Child Loop BB57_37 Depth 5
	v_ashrrev_i32_e32 v29, 31, v28
	v_lshlrev_b64 v[30:31], 2, v[28:29]
	v_mov_b32_e32 v29, s27
	v_add_co_u32_e32 v30, vcc, s26, v30
	v_addc_co_u32_e32 v31, vcc, v29, v31, vcc
	global_load_dword v29, v[30:31], off
	s_waitcnt vmcnt(1)
	v_mov_b32_e32 v31, v51
	v_mov_b32_e32 v30, v10
	s_and_saveexec_b64 s[50:51], s[8:9]
	s_cbranch_execz .LBB57_33
; %bb.30:                               ;   in Loop: Header=BB57_29 Depth=4
	s_mov_b64 s[52:53], 0
	v_mov_b32_e32 v31, v51
	v_mov_b32_e32 v30, v10
	;; [unrolled: 1-line block ×4, first 2 shown]
.LBB57_31:                              ;   Parent Loop BB57_7 Depth=1
                                        ;     Parent Loop BB57_13 Depth=2
                                        ;       Parent Loop BB57_20 Depth=3
                                        ;         Parent Loop BB57_29 Depth=4
                                        ; =>        This Inner Loop Header: Depth=5
	v_add_u32_e32 v54, 1, v30
	s_waitcnt vmcnt(0)
	v_cmp_lt_i32_e32 vcc, v31, v29
	v_cndmask_b32_e32 v33, v30, v33, vcc
	v_cndmask_b32_e32 v32, v32, v54, vcc
	v_add_u32_e32 v30, v33, v32
	v_ashrrev_i32_e32 v30, 1, v30
	v_ashrrev_i32_e32 v31, 31, v30
	v_lshlrev_b64 v[54:55], 2, v[30:31]
	v_mov_b32_e32 v31, s27
	v_add_co_u32_e32 v54, vcc, s26, v54
	v_addc_co_u32_e32 v55, vcc, v31, v55, vcc
	global_load_dword v31, v[54:55], off
	v_cmp_ge_i32_e32 vcc, v32, v33
	s_or_b64 s[52:53], vcc, s[52:53]
	s_andn2_b64 exec, exec, s[52:53]
	s_cbranch_execnz .LBB57_31
; %bb.32:                               ;   in Loop: Header=BB57_29 Depth=4
	s_or_b64 exec, exec, s[52:53]
.LBB57_33:                              ;   in Loop: Header=BB57_29 Depth=4
	s_or_b64 exec, exec, s[50:51]
	s_waitcnt vmcnt(0)
	v_cmp_eq_u32_e32 vcc, v31, v29
	s_and_saveexec_b64 s[50:51], vcc
	s_cbranch_execz .LBB57_28
; %bb.34:                               ;   in Loop: Header=BB57_29 Depth=4
	v_subrev_u32_e32 v29, s33, v29
	v_mul_lo_u32 v31, v28, s25
	v_mul_lo_u32 v30, v30, s25
	;; [unrolled: 1-line block ×3, first 2 shown]
	v_add_u32_e32 v54, s57, v31
	v_add_u32_e32 v55, v30, v44
	;; [unrolled: 1-line block ×3, first 2 shown]
	s_mov_b32 s58, 0
	v_mov_b32_e32 v57, v53
	s_branch .LBB57_37
.LBB57_35:                              ;   in Loop: Header=BB57_37 Depth=5
	v_ashrrev_i32_e32 v33, 31, v32
	v_lshlrev_b64 v[32:33], 4, v[32:33]
	v_mov_b32_e32 v59, s31
	v_add_co_u32_e32 v32, vcc, s30, v32
	v_ashrrev_i32_e32 v31, 31, v30
	v_addc_co_u32_e32 v33, vcc, v59, v33, vcc
	v_lshlrev_b64 v[30:31], 4, v[30:31]
	v_add_co_u32_e32 v58, vcc, s30, v30
	v_addc_co_u32_e32 v59, vcc, v59, v31, vcc
	global_load_dwordx4 v[30:33], v[32:33], off
	s_nop 0
	global_load_dwordx4 v[58:61], v[58:59], off
	s_waitcnt vmcnt(0)
	v_fmac_f64_e32 v[26:27], v[30:31], v[58:59]
	v_fmac_f64_e32 v[24:25], v[32:33], v[58:59]
	;; [unrolled: 1-line block ×3, first 2 shown]
	v_fma_f64 v[24:25], v[30:31], -v[60:61], v[24:25]
.LBB57_36:                              ;   in Loop: Header=BB57_37 Depth=5
	s_or_b64 exec, exec, s[52:53]
	s_add_i32 s58, s58, 1
	v_add_u32_e32 v56, s55, v56
	s_cmp_lg_u32 s55, s58
	v_add_u32_e32 v57, s55, v57
	s_cbranch_scc0 .LBB57_28
.LBB57_37:                              ;   Parent Loop BB57_7 Depth=1
                                        ;     Parent Loop BB57_13 Depth=2
                                        ;       Parent Loop BB57_20 Depth=3
                                        ;         Parent Loop BB57_29 Depth=4
                                        ; =>        This Inner Loop Header: Depth=5
	v_add_u32_e32 v30, s58, v29
	v_cmp_lt_i32_e32 vcc, v30, v52
	s_and_saveexec_b64 s[52:53], vcc
	s_cbranch_execz .LBB57_36
; %bb.38:                               ;   in Loop: Header=BB57_37 Depth=5
	s_andn2_b64 vcc, exec, s[2:3]
	v_mov_b32_e32 v30, v56
	v_mov_b32_e32 v32, v57
	s_cbranch_vccnz .LBB57_35
; %bb.39:                               ;   in Loop: Header=BB57_37 Depth=5
	v_add_u32_e32 v32, s58, v54
	v_add_u32_e32 v30, s58, v55
	s_branch .LBB57_35
.LBB57_40:                              ;   in Loop: Header=BB57_7 Depth=1
	s_or_b64 exec, exec, s[42:43]
.LBB57_41:                              ;   in Loop: Header=BB57_7 Depth=1
	s_or_b64 exec, exec, s[40:41]
	v_add_u32_e32 v30, v44, v38
	s_mov_b32 s44, 0
	v_mov_b32_e32 v31, v42
	s_branch .LBB57_44
.LBB57_42:                              ;   in Loop: Header=BB57_44 Depth=2
	v_mul_f64 v[26:27], v[2:3], v[2:3]
	v_fmac_f64_e32 v[26:27], v[18:19], v[18:19]
	v_div_scale_f64 v[28:29], s[12:13], v[26:27], v[26:27], 1.0
	v_rcp_f64_e32 v[32:33], v[28:29]
	s_waitcnt vmcnt(0)
	v_add_f64 v[22:23], v[6:7], -v[22:23]
	v_add_f64 v[8:9], v[8:9], -v[24:25]
	v_fma_f64 v[6:7], -v[28:29], v[32:33], 1.0
	v_fmac_f64_e32 v[32:33], v[32:33], v[6:7]
	v_fma_f64 v[6:7], -v[28:29], v[32:33], 1.0
	v_fmac_f64_e32 v[32:33], v[32:33], v[6:7]
	v_div_scale_f64 v[6:7], vcc, 1.0, v[26:27], 1.0
	v_mul_f64 v[24:25], v[6:7], v[32:33]
	v_fma_f64 v[6:7], -v[28:29], v[24:25], v[6:7]
	s_nop 1
	v_div_fmas_f64 v[6:7], v[6:7], v[32:33], v[24:25]
	v_div_fixup_f64 v[24:25], v[6:7], v[26:27], 1.0
	v_mul_f64 v[6:7], v[2:3], v[8:9]
	v_mul_f64 v[2:3], v[2:3], -v[22:23]
	v_fmac_f64_e32 v[6:7], v[22:23], v[18:19]
	v_fmac_f64_e32 v[2:3], v[8:9], v[18:19]
	v_mul_f64 v[6:7], v[24:25], v[6:7]
	v_mul_f64 v[8:9], v[24:25], v[2:3]
	v_fmac_f64_e32 v[16:17], v[6:7], v[6:7]
	v_fmac_f64_e32 v[14:15], v[8:9], v[6:7]
	;; [unrolled: 1-line block ×3, first 2 shown]
	v_fma_f64 v[14:15], v[6:7], -v[8:9], v[14:15]
	global_store_dwordx4 v[20:21], v[6:9], off
.LBB57_43:                              ;   in Loop: Header=BB57_44 Depth=2
	s_or_b64 exec, exec, s[10:11]
	s_add_i32 s44, s44, 1
	s_cmp_eq_u32 s44, s55
	v_add_u32_e32 v31, 1, v31
	s_waitcnt vmcnt(0)
	buffer_wbinvl1_vol
	s_cbranch_scc1 .LBB57_6
.LBB57_44:                              ;   Parent Loop BB57_7 Depth=1
                                        ; =>  This Loop Header: Depth=2
                                        ;       Child Loop BB57_54 Depth 3
                                        ;       Child Loop BB57_62 Depth 3
                                        ;         Child Loop BB57_64 Depth 4
                                        ;       Child Loop BB57_72 Depth 3
	s_mul_i32 s45, s44, s55
	v_add_u32_e32 v32, s45, v38
	v_add_u32_e32 v2, s44, v32
	v_ashrrev_i32_e32 v3, 31, v2
	v_cmp_eq_u32_e32 vcc, s44, v11
	v_lshlrev_b64 v[6:7], 4, v[2:3]
	s_and_saveexec_b64 s[10:11], vcc
	s_cbranch_execz .LBB57_52
; %bb.45:                               ;   in Loop: Header=BB57_44 Depth=2
	v_mov_b32_e32 v2, s31
	v_add_co_u32_e32 v8, vcc, s30, v6
	v_addc_co_u32_e32 v9, vcc, v2, v7, vcc
	global_load_dwordx4 v[18:21], v[8:9], off
	s_waitcnt vmcnt(0)
	v_add_f64 v[2:3], v[18:19], -v[16:17]
	v_add_f64 v[22:23], v[20:21], -v[14:15]
	v_xor_b32_e32 v5, 0x80000000, v3
	v_cmp_gt_f64_e32 vcc, 0, v[2:3]
	v_xor_b32_e32 v18, 0x80000000, v23
	v_cndmask_b32_e32 v3, v3, v5, vcc
	v_cndmask_b32_e32 v2, v2, v2, vcc
	v_cmp_gt_f64_e32 vcc, 0, v[22:23]
	v_cndmask_b32_e32 v19, v23, v18, vcc
	v_cndmask_b32_e32 v18, v22, v22, vcc
	v_cmp_ngt_f64_e32 vcc, v[2:3], v[18:19]
                                        ; implicit-def: $vgpr20_vgpr21
	s_and_saveexec_b64 s[12:13], vcc
	s_xor_b64 s[12:13], exec, s[12:13]
	s_cbranch_execz .LBB57_49
; %bb.46:                               ;   in Loop: Header=BB57_44 Depth=2
	v_cmp_neq_f64_e32 vcc, 0, v[22:23]
	v_pk_mov_b32 v[20:21], 0, 0
	s_and_saveexec_b64 s[40:41], vcc
	s_cbranch_execz .LBB57_48
; %bb.47:                               ;   in Loop: Header=BB57_44 Depth=2
	v_div_scale_f64 v[20:21], s[42:43], v[18:19], v[18:19], v[2:3]
	v_rcp_f64_e32 v[22:23], v[20:21]
	v_div_scale_f64 v[24:25], vcc, v[2:3], v[18:19], v[2:3]
	v_fma_f64 v[26:27], -v[20:21], v[22:23], 1.0
	v_fmac_f64_e32 v[22:23], v[22:23], v[26:27]
	v_fma_f64 v[26:27], -v[20:21], v[22:23], 1.0
	v_fmac_f64_e32 v[22:23], v[22:23], v[26:27]
	v_mul_f64 v[26:27], v[24:25], v[22:23]
	v_fma_f64 v[20:21], -v[20:21], v[26:27], v[24:25]
	v_div_fmas_f64 v[20:21], v[20:21], v[22:23], v[26:27]
	v_div_fixup_f64 v[2:3], v[20:21], v[18:19], v[2:3]
	v_fma_f64 v[2:3], v[2:3], v[2:3], 1.0
	v_cmp_gt_f64_e32 vcc, s[36:37], v[2:3]
	v_cndmask_b32_e64 v5, 0, 1, vcc
	v_lshlrev_b32_e32 v5, 8, v5
	v_ldexp_f64 v[2:3], v[2:3], v5
	v_rsq_f64_e32 v[20:21], v[2:3]
	v_cndmask_b32_e32 v5, 0, v37, vcc
	v_cmp_class_f64_e32 vcc, v[2:3], v35
	v_mul_f64 v[22:23], v[2:3], v[20:21]
	v_mul_f64 v[20:21], v[20:21], 0.5
	v_fma_f64 v[24:25], -v[20:21], v[22:23], 0.5
	v_fmac_f64_e32 v[22:23], v[22:23], v[24:25]
	v_fma_f64 v[26:27], -v[22:23], v[22:23], v[2:3]
	v_fmac_f64_e32 v[20:21], v[20:21], v[24:25]
	v_fmac_f64_e32 v[22:23], v[26:27], v[20:21]
	v_fma_f64 v[24:25], -v[22:23], v[22:23], v[2:3]
	v_fmac_f64_e32 v[22:23], v[24:25], v[20:21]
	v_ldexp_f64 v[20:21], v[22:23], v5
	v_cndmask_b32_e32 v3, v21, v3, vcc
	v_cndmask_b32_e32 v2, v20, v2, vcc
	v_mul_f64 v[20:21], v[18:19], v[2:3]
.LBB57_48:                              ;   in Loop: Header=BB57_44 Depth=2
	s_or_b64 exec, exec, s[40:41]
                                        ; implicit-def: $vgpr2_vgpr3
                                        ; implicit-def: $vgpr18_vgpr19
.LBB57_49:                              ;   in Loop: Header=BB57_44 Depth=2
	s_andn2_saveexec_b64 s[12:13], s[12:13]
	s_cbranch_execz .LBB57_51
; %bb.50:                               ;   in Loop: Header=BB57_44 Depth=2
	v_div_scale_f64 v[20:21], s[40:41], v[2:3], v[2:3], v[18:19]
	v_rcp_f64_e32 v[22:23], v[20:21]
	v_div_scale_f64 v[24:25], vcc, v[18:19], v[2:3], v[18:19]
	v_fma_f64 v[26:27], -v[20:21], v[22:23], 1.0
	v_fmac_f64_e32 v[22:23], v[22:23], v[26:27]
	v_fma_f64 v[26:27], -v[20:21], v[22:23], 1.0
	v_fmac_f64_e32 v[22:23], v[22:23], v[26:27]
	v_mul_f64 v[26:27], v[24:25], v[22:23]
	v_fma_f64 v[20:21], -v[20:21], v[26:27], v[24:25]
	v_div_fmas_f64 v[20:21], v[20:21], v[22:23], v[26:27]
	v_div_fixup_f64 v[18:19], v[20:21], v[2:3], v[18:19]
	v_fma_f64 v[18:19], v[18:19], v[18:19], 1.0
	v_cmp_gt_f64_e32 vcc, s[36:37], v[18:19]
	v_cndmask_b32_e64 v5, 0, 1, vcc
	v_lshlrev_b32_e32 v5, 8, v5
	v_ldexp_f64 v[18:19], v[18:19], v5
	v_rsq_f64_e32 v[20:21], v[18:19]
	v_cndmask_b32_e32 v5, 0, v37, vcc
	v_cmp_class_f64_e32 vcc, v[18:19], v35
	v_mul_f64 v[22:23], v[18:19], v[20:21]
	v_mul_f64 v[20:21], v[20:21], 0.5
	v_fma_f64 v[24:25], -v[20:21], v[22:23], 0.5
	v_fmac_f64_e32 v[22:23], v[22:23], v[24:25]
	v_fma_f64 v[26:27], -v[22:23], v[22:23], v[18:19]
	v_fmac_f64_e32 v[20:21], v[20:21], v[24:25]
	v_fmac_f64_e32 v[22:23], v[26:27], v[20:21]
	v_fma_f64 v[24:25], -v[22:23], v[22:23], v[18:19]
	v_fmac_f64_e32 v[22:23], v[24:25], v[20:21]
	v_ldexp_f64 v[20:21], v[22:23], v5
	v_cndmask_b32_e32 v19, v21, v19, vcc
	v_cndmask_b32_e32 v18, v20, v18, vcc
	v_mul_f64 v[20:21], v[2:3], v[18:19]
.LBB57_51:                              ;   in Loop: Header=BB57_44 Depth=2
	s_or_b64 exec, exec, s[12:13]
	v_cmp_gt_f64_e32 vcc, s[36:37], v[20:21]
	v_cndmask_b32_e64 v2, 0, 1, vcc
	v_lshlrev_b32_e32 v2, 8, v2
	v_ldexp_f64 v[2:3], v[20:21], v2
	v_rsq_f64_e32 v[18:19], v[2:3]
	v_cndmask_b32_e32 v5, 0, v37, vcc
	v_cmp_class_f64_e32 vcc, v[2:3], v35
	v_mul_f64 v[20:21], v[2:3], v[18:19]
	v_mul_f64 v[18:19], v[18:19], 0.5
	v_fma_f64 v[22:23], -v[18:19], v[20:21], 0.5
	v_fmac_f64_e32 v[20:21], v[20:21], v[22:23]
	v_fmac_f64_e32 v[18:19], v[18:19], v[22:23]
	v_fma_f64 v[22:23], -v[20:21], v[20:21], v[2:3]
	v_fmac_f64_e32 v[20:21], v[22:23], v[18:19]
	v_fma_f64 v[22:23], -v[20:21], v[20:21], v[2:3]
	v_fmac_f64_e32 v[20:21], v[22:23], v[18:19]
	v_ldexp_f64 v[18:19], v[20:21], v5
	v_cndmask_b32_e32 v3, v19, v3, vcc
	v_cndmask_b32_e32 v2, v18, v2, vcc
	v_mov_b32_e32 v5, v4
	global_store_dwordx4 v[8:9], v[2:5], off
.LBB57_52:                              ;   in Loop: Header=BB57_44 Depth=2
	s_or_b64 exec, exec, s[10:11]
	v_mov_b32_e32 v3, s31
	v_add_co_u32_e32 v2, vcc, s30, v6
	v_addc_co_u32_e32 v3, vcc, v3, v7, vcc
	s_waitcnt vmcnt(0)
	buffer_wbinvl1_vol
	global_load_dwordx4 v[6:9], v[2:3], off
	s_waitcnt vmcnt(0)
	v_cmp_neq_f64_e32 vcc, 0, v[6:7]
	v_cmp_neq_f64_e64 s[10:11], 0, v[8:9]
	s_or_b64 vcc, vcc, s[10:11]
	s_or_b64 s[10:11], vcc, s[0:1]
	v_cndmask_b32_e32 v3, 0, v9, vcc
	v_cndmask_b32_e32 v2, 0, v8, vcc
	;; [unrolled: 1-line block ×3, first 2 shown]
	s_xor_b64 s[12:13], s[10:11], -1
	v_cndmask_b32_e32 v18, 0, v6, vcc
	s_and_saveexec_b64 s[10:11], s[12:13]
	s_cbranch_execz .LBB57_58
; %bb.53:                               ;   in Loop: Header=BB57_44 Depth=2
	s_mov_b64 s[12:13], exec
	s_brev_b32 s40, -2
.LBB57_54:                              ;   Parent Loop BB57_7 Depth=1
                                        ;     Parent Loop BB57_44 Depth=2
                                        ; =>    This Inner Loop Header: Depth=3
	s_ff1_i32_b64 s41, s[12:13]
	v_readlane_b32 s46, v34, s41
	s_lshl_b64 s[42:43], 1, s41
	s_min_i32 s40, s40, s46
	s_andn2_b64 s[12:13], s[12:13], s[42:43]
	s_cmp_lg_u64 s[12:13], 0
	s_cbranch_scc1 .LBB57_54
; %bb.55:                               ;   in Loop: Header=BB57_44 Depth=2
	v_mbcnt_lo_u32_b32 v2, exec_lo, 0
	v_mbcnt_hi_u32_b32 v2, exec_hi, v2
	v_cmp_eq_u32_e32 vcc, 0, v2
	s_and_saveexec_b64 s[12:13], vcc
	s_xor_b64 s[12:13], exec, s[12:13]
	s_cbranch_execz .LBB57_57
; %bb.56:                               ;   in Loop: Header=BB57_44 Depth=2
	v_mov_b32_e32 v2, s40
	global_atomic_smin v4, v2, s[22:23]
.LBB57_57:                              ;   in Loop: Header=BB57_44 Depth=2
	s_or_b64 exec, exec, s[12:13]
	v_mov_b32_e32 v18, 0
	v_mov_b32_e32 v19, 0x3ff00000
	v_pk_mov_b32 v[2:3], 0, 0
.LBB57_58:                              ;   in Loop: Header=BB57_44 Depth=2
	s_or_b64 exec, exec, s[10:11]
	v_cmp_lt_i32_e32 vcc, s44, v11
	s_and_saveexec_b64 s[10:11], vcc
	s_cbranch_execz .LBB57_43
; %bb.59:                               ;   in Loop: Header=BB57_44 Depth=2
	v_add_u32_e32 v5, s44, v30
	v_add_u32_e32 v6, v32, v11
	v_cndmask_b32_e64 v6, v6, v5, s[2:3]
	v_ashrrev_i32_e32 v7, 31, v6
	v_lshlrev_b64 v[6:7], 4, v[6:7]
	v_mov_b32_e32 v5, s31
	v_add_co_u32_e32 v20, vcc, s30, v6
	v_addc_co_u32_e32 v21, vcc, v5, v7, vcc
	global_load_dwordx4 v[6:9], v[20:21], off
	v_pk_mov_b32 v[22:23], 0, 0
	v_pk_mov_b32 v[24:25], v[22:23], v[22:23] op_sel:[0,1]
	s_and_saveexec_b64 s[12:13], s[4:5]
	s_cbranch_execz .LBB57_69
; %bb.60:                               ;   in Loop: Header=BB57_44 Depth=2
	v_pk_mov_b32 v[22:23], 0, 0
	s_mov_b64 s[40:41], 0
	v_mov_b32_e32 v5, v31
	v_mov_b32_e32 v33, v43
	;; [unrolled: 1-line block ×3, first 2 shown]
	v_pk_mov_b32 v[24:25], v[22:23], v[22:23] op_sel:[0,1]
	s_branch .LBB57_62
.LBB57_61:                              ;   in Loop: Header=BB57_62 Depth=3
	v_add_u32_e32 v45, 1, v45
	v_cmp_le_i32_e32 vcc, s54, v45
	v_add_u32_e32 v33, s25, v33
	s_or_b64 s[40:41], vcc, s[40:41]
	v_add_u32_e32 v5, s25, v5
	s_andn2_b64 exec, exec, s[40:41]
	s_cbranch_execz .LBB57_68
.LBB57_62:                              ;   Parent Loop BB57_7 Depth=1
                                        ;     Parent Loop BB57_44 Depth=2
                                        ; =>    This Loop Header: Depth=3
                                        ;         Child Loop BB57_64 Depth 4
	v_mul_lo_u32 v26, v45, s25
	v_add_u32_e32 v46, s45, v26
	v_add_u32_e32 v47, v26, v44
	s_mov_b32 s46, 0
	s_mov_b32 s47, s55
	;; [unrolled: 1-line block ×3, first 2 shown]
	s_branch .LBB57_64
.LBB57_63:                              ;   in Loop: Header=BB57_64 Depth=4
	v_ashrrev_i32_e32 v29, 31, v28
	v_lshlrev_b64 v[28:29], 4, v[28:29]
	v_mov_b32_e32 v49, s31
	v_add_co_u32_e32 v28, vcc, s30, v28
	v_ashrrev_i32_e32 v27, 31, v26
	v_addc_co_u32_e32 v29, vcc, v49, v29, vcc
	v_lshlrev_b64 v[26:27], 4, v[26:27]
	v_add_co_u32_e32 v48, vcc, s30, v26
	v_addc_co_u32_e32 v49, vcc, v49, v27, vcc
	global_load_dwordx4 v[26:29], v[28:29], off
	s_nop 0
	global_load_dwordx4 v[48:51], v[48:49], off
	s_add_i32 s48, s48, 1
	s_add_i32 s46, s46, s55
	s_add_i32 s47, s47, -1
	s_cmp_eq_u32 s47, 0
	s_waitcnt vmcnt(0)
	v_fmac_f64_e32 v[22:23], v[48:49], v[26:27]
	v_fmac_f64_e32 v[24:25], v[50:51], v[26:27]
	;; [unrolled: 1-line block ×3, first 2 shown]
	v_fma_f64 v[24:25], v[48:49], -v[28:29], v[24:25]
	s_cbranch_scc1 .LBB57_61
.LBB57_64:                              ;   Parent Loop BB57_7 Depth=1
                                        ;     Parent Loop BB57_44 Depth=2
                                        ;       Parent Loop BB57_62 Depth=3
                                        ; =>      This Inner Loop Header: Depth=4
	s_and_b64 vcc, exec, s[38:39]
	s_cbranch_vccz .LBB57_66
; %bb.65:                               ;   in Loop: Header=BB57_64 Depth=4
	v_add_u32_e32 v26, s46, v5
	v_add_u32_e32 v28, s46, v33
	s_cbranch_execnz .LBB57_63
	s_branch .LBB57_67
.LBB57_66:                              ;   in Loop: Header=BB57_64 Depth=4
                                        ; implicit-def: $vgpr28
                                        ; implicit-def: $vgpr26
.LBB57_67:                              ;   in Loop: Header=BB57_64 Depth=4
	v_add_u32_e32 v26, s48, v46
	v_add_u32_e32 v28, s48, v47
	s_branch .LBB57_63
.LBB57_68:                              ;   in Loop: Header=BB57_44 Depth=2
	s_or_b64 exec, exec, s[40:41]
.LBB57_69:                              ;   in Loop: Header=BB57_44 Depth=2
	s_or_b64 exec, exec, s[12:13]
	s_cmp_eq_u32 s44, 0
	s_cbranch_scc1 .LBB57_42
; %bb.70:                               ;   in Loop: Header=BB57_44 Depth=2
	s_mov_b32 s40, 0
	v_mov_b32_e32 v5, v38
	s_branch .LBB57_72
.LBB57_71:                              ;   in Loop: Header=BB57_72 Depth=3
	v_ashrrev_i32_e32 v29, 31, v28
	v_lshlrev_b64 v[28:29], 4, v[28:29]
	v_mov_b32_e32 v33, s31
	v_add_co_u32_e32 v50, vcc, s30, v28
	v_ashrrev_i32_e32 v27, 31, v26
	v_addc_co_u32_e32 v51, vcc, v33, v29, vcc
	v_lshlrev_b64 v[26:27], 4, v[26:27]
	v_add_co_u32_e32 v52, vcc, s30, v26
	v_addc_co_u32_e32 v53, vcc, v33, v27, vcc
	global_load_dwordx4 v[26:29], v[50:51], off
	global_load_dwordx4 v[46:49], v[52:53], off
	s_add_i32 s40, s40, 1
	s_cmp_ge_u32 s40, s44
	v_add_u32_e32 v5, s55, v5
	s_waitcnt vmcnt(0)
	v_fmac_f64_e32 v[22:23], v[46:47], v[26:27]
	v_fmac_f64_e32 v[24:25], v[48:49], v[26:27]
	;; [unrolled: 1-line block ×3, first 2 shown]
	v_fma_f64 v[24:25], v[46:47], -v[28:29], v[24:25]
	s_cbranch_scc1 .LBB57_42
.LBB57_72:                              ;   Parent Loop BB57_7 Depth=1
                                        ;     Parent Loop BB57_44 Depth=2
                                        ; =>    This Inner Loop Header: Depth=3
	s_and_b64 vcc, exec, s[38:39]
	s_cbranch_vccz .LBB57_74
; %bb.73:                               ;   in Loop: Header=BB57_72 Depth=3
	v_add_u32_e32 v26, s44, v5
	v_add_u32_e32 v28, v11, v5
	s_cbranch_execnz .LBB57_71
	s_branch .LBB57_75
.LBB57_74:                              ;   in Loop: Header=BB57_72 Depth=3
                                        ; implicit-def: $vgpr28
                                        ; implicit-def: $vgpr26
.LBB57_75:                              ;   in Loop: Header=BB57_72 Depth=3
	v_add_u32_e32 v26, s40, v32
	v_add_u32_e32 v28, s40, v30
	s_branch .LBB57_71
.LBB57_76:
	s_or_b64 exec, exec, s[28:29]
	v_cmp_eq_u32_e32 vcc, 31, v0
	s_and_b64 s[0:1], vcc, exec
                                        ; implicit-def: $vgpr0
                                        ; implicit-def: $vgpr2_vgpr3
	s_andn2_saveexec_b64 s[2:3], s[20:21]
	s_cbranch_execz .LBB57_2
.LBB57_77:
	v_cmp_eq_u32_e32 vcc, 31, v0
	s_mov_b64 s[6:7], s[0:1]
	s_and_saveexec_b64 s[4:5], vcc
	s_cbranch_execz .LBB57_83
; %bb.78:
	s_mov_b64 s[6:7], exec
	v_add_u32_e32 v0, s33, v2
	s_brev_b32 s8, -2
.LBB57_79:                              ; =>This Inner Loop Header: Depth=1
	s_ff1_i32_b64 s9, s[6:7]
	v_readlane_b32 s12, v0, s9
	s_lshl_b64 s[10:11], 1, s9
	s_min_i32 s8, s8, s12
	s_andn2_b64 s[6:7], s[6:7], s[10:11]
	s_cmp_lg_u64 s[6:7], 0
	s_cbranch_scc1 .LBB57_79
; %bb.80:
	v_mbcnt_lo_u32_b32 v0, exec_lo, 0
	v_mbcnt_hi_u32_b32 v0, exec_hi, v0
	v_cmp_eq_u32_e32 vcc, 0, v0
	s_and_saveexec_b64 s[6:7], vcc
	s_xor_b64 s[6:7], exec, s[6:7]
	s_cbranch_execz .LBB57_82
; %bb.81:
	v_mov_b32_e32 v0, 0
	v_mov_b32_e32 v1, s8
	global_atomic_smin v0, v1, s[22:23]
.LBB57_82:
	s_or_b64 exec, exec, s[6:7]
	s_or_b64 s[6:7], s[0:1], exec
.LBB57_83:
	s_or_b64 exec, exec, s[4:5]
	s_andn2_b64 s[0:1], s[0:1], exec
	s_and_b64 s[4:5], s[6:7], exec
	s_or_b64 s[0:1], s[0:1], s[4:5]
	s_or_b64 exec, exec, s[2:3]
	s_and_saveexec_b64 s[2:3], s[0:1]
	s_cbranch_execz .LBB57_3
.LBB57_84:
	v_lshlrev_b64 v[0:1], 2, s[14:15]
	v_mov_b32_e32 v2, s19
	v_add_co_u32_e32 v0, vcc, s18, v0
	v_addc_co_u32_e32 v1, vcc, v2, v1, vcc
	v_mov_b32_e32 v2, 1
	s_waitcnt vmcnt(0)
	global_store_dword v[0:1], v2, off
	s_endpgm
	.section	.rodata,"a",@progbits
	.p2align	6, 0x0
	.amdhsa_kernel _ZN9rocsparseL23bsric0_binsearch_kernelILj32ELj32ELb0E21rocsparse_complex_numIdEEEv20rocsparse_direction_iiPKiS5_PT2_S5_PiS5_S8_21rocsparse_index_base_
		.amdhsa_group_segment_fixed_size 0
		.amdhsa_private_segment_fixed_size 0
		.amdhsa_kernarg_size 76
		.amdhsa_user_sgpr_count 6
		.amdhsa_user_sgpr_private_segment_buffer 1
		.amdhsa_user_sgpr_dispatch_ptr 0
		.amdhsa_user_sgpr_queue_ptr 0
		.amdhsa_user_sgpr_kernarg_segment_ptr 1
		.amdhsa_user_sgpr_dispatch_id 0
		.amdhsa_user_sgpr_flat_scratch_init 0
		.amdhsa_user_sgpr_kernarg_preload_length 0
		.amdhsa_user_sgpr_kernarg_preload_offset 0
		.amdhsa_user_sgpr_private_segment_size 0
		.amdhsa_uses_dynamic_stack 0
		.amdhsa_system_sgpr_private_segment_wavefront_offset 0
		.amdhsa_system_sgpr_workgroup_id_x 1
		.amdhsa_system_sgpr_workgroup_id_y 0
		.amdhsa_system_sgpr_workgroup_id_z 0
		.amdhsa_system_sgpr_workgroup_info 0
		.amdhsa_system_vgpr_workitem_id 0
		.amdhsa_next_free_vgpr 62
		.amdhsa_next_free_sgpr 59
		.amdhsa_accum_offset 64
		.amdhsa_reserve_vcc 1
		.amdhsa_reserve_flat_scratch 0
		.amdhsa_float_round_mode_32 0
		.amdhsa_float_round_mode_16_64 0
		.amdhsa_float_denorm_mode_32 3
		.amdhsa_float_denorm_mode_16_64 3
		.amdhsa_dx10_clamp 1
		.amdhsa_ieee_mode 1
		.amdhsa_fp16_overflow 0
		.amdhsa_tg_split 0
		.amdhsa_exception_fp_ieee_invalid_op 0
		.amdhsa_exception_fp_denorm_src 0
		.amdhsa_exception_fp_ieee_div_zero 0
		.amdhsa_exception_fp_ieee_overflow 0
		.amdhsa_exception_fp_ieee_underflow 0
		.amdhsa_exception_fp_ieee_inexact 0
		.amdhsa_exception_int_div_zero 0
	.end_amdhsa_kernel
	.section	.text._ZN9rocsparseL23bsric0_binsearch_kernelILj32ELj32ELb0E21rocsparse_complex_numIdEEEv20rocsparse_direction_iiPKiS5_PT2_S5_PiS5_S8_21rocsparse_index_base_,"axG",@progbits,_ZN9rocsparseL23bsric0_binsearch_kernelILj32ELj32ELb0E21rocsparse_complex_numIdEEEv20rocsparse_direction_iiPKiS5_PT2_S5_PiS5_S8_21rocsparse_index_base_,comdat
.Lfunc_end57:
	.size	_ZN9rocsparseL23bsric0_binsearch_kernelILj32ELj32ELb0E21rocsparse_complex_numIdEEEv20rocsparse_direction_iiPKiS5_PT2_S5_PiS5_S8_21rocsparse_index_base_, .Lfunc_end57-_ZN9rocsparseL23bsric0_binsearch_kernelILj32ELj32ELb0E21rocsparse_complex_numIdEEEv20rocsparse_direction_iiPKiS5_PT2_S5_PiS5_S8_21rocsparse_index_base_
                                        ; -- End function
	.section	.AMDGPU.csdata,"",@progbits
; Kernel info:
; codeLenInByte = 3536
; NumSgprs: 63
; NumVgprs: 62
; NumAgprs: 0
; TotalNumVgprs: 62
; ScratchSize: 0
; MemoryBound: 0
; FloatMode: 240
; IeeeMode: 1
; LDSByteSize: 0 bytes/workgroup (compile time only)
; SGPRBlocks: 7
; VGPRBlocks: 7
; NumSGPRsForWavesPerEU: 63
; NumVGPRsForWavesPerEU: 62
; AccumOffset: 64
; Occupancy: 8
; WaveLimiterHint : 1
; COMPUTE_PGM_RSRC2:SCRATCH_EN: 0
; COMPUTE_PGM_RSRC2:USER_SGPR: 6
; COMPUTE_PGM_RSRC2:TRAP_HANDLER: 0
; COMPUTE_PGM_RSRC2:TGID_X_EN: 1
; COMPUTE_PGM_RSRC2:TGID_Y_EN: 0
; COMPUTE_PGM_RSRC2:TGID_Z_EN: 0
; COMPUTE_PGM_RSRC2:TIDIG_COMP_CNT: 0
; COMPUTE_PGM_RSRC3_GFX90A:ACCUM_OFFSET: 15
; COMPUTE_PGM_RSRC3_GFX90A:TG_SPLIT: 0
	.section	.text._ZN9rocsparseL23bsric0_binsearch_kernelILj64ELj64ELb1E21rocsparse_complex_numIdEEEv20rocsparse_direction_iiPKiS5_PT2_S5_PiS5_S8_21rocsparse_index_base_,"axG",@progbits,_ZN9rocsparseL23bsric0_binsearch_kernelILj64ELj64ELb1E21rocsparse_complex_numIdEEEv20rocsparse_direction_iiPKiS5_PT2_S5_PiS5_S8_21rocsparse_index_base_,comdat
	.globl	_ZN9rocsparseL23bsric0_binsearch_kernelILj64ELj64ELb1E21rocsparse_complex_numIdEEEv20rocsparse_direction_iiPKiS5_PT2_S5_PiS5_S8_21rocsparse_index_base_ ; -- Begin function _ZN9rocsparseL23bsric0_binsearch_kernelILj64ELj64ELb1E21rocsparse_complex_numIdEEEv20rocsparse_direction_iiPKiS5_PT2_S5_PiS5_S8_21rocsparse_index_base_
	.p2align	8
	.type	_ZN9rocsparseL23bsric0_binsearch_kernelILj64ELj64ELb1E21rocsparse_complex_numIdEEEv20rocsparse_direction_iiPKiS5_PT2_S5_PiS5_S8_21rocsparse_index_base_,@function
_ZN9rocsparseL23bsric0_binsearch_kernelILj64ELj64ELb1E21rocsparse_complex_numIdEEEv20rocsparse_direction_iiPKiS5_PT2_S5_PiS5_S8_21rocsparse_index_base_: ; @_ZN9rocsparseL23bsric0_binsearch_kernelILj64ELj64ELb1E21rocsparse_complex_numIdEEEv20rocsparse_direction_iiPKiS5_PT2_S5_PiS5_S8_21rocsparse_index_base_
; %bb.0:
	s_load_dwordx8 s[16:23], s[4:5], 0x28
	s_ashr_i32 s7, s6, 31
	s_lshl_b64 s[0:1], s[6:7], 2
	s_waitcnt lgkmcnt(0)
	s_add_u32 s0, s20, s0
	s_addc_u32 s1, s21, s1
	s_load_dword s14, s[0:1], 0x0
	s_waitcnt lgkmcnt(0)
	s_ashr_i32 s15, s14, 31
	s_lshl_b64 s[0:1], s[14:15], 2
	s_add_u32 s0, s16, s0
	s_addc_u32 s1, s17, s1
	s_load_dword s54, s[0:1], 0x0
	s_load_dword s33, s[4:5], 0x48
	v_pk_mov_b32 v[2:3], s[14:15], s[14:15] op_sel:[0,1]
	s_mov_b64 s[0:1], 0
	s_waitcnt lgkmcnt(0)
	s_cmp_lg_u32 s54, -1
	s_cselect_b64 s[2:3], -1, 0
	s_and_saveexec_b64 s[6:7], s[2:3]
	s_xor_b64 s[20:21], exec, s[6:7]
	s_cbranch_execnz .LBB58_4
; %bb.1:
	s_andn2_saveexec_b64 s[2:3], s[20:21]
	s_cbranch_execnz .LBB58_79
.LBB58_2:
	s_or_b64 exec, exec, s[2:3]
	s_and_saveexec_b64 s[2:3], s[0:1]
	s_cbranch_execnz .LBB58_86
.LBB58_3:
	s_endpgm
.LBB58_4:
	s_load_dword s55, s[4:5], 0x8
	s_waitcnt lgkmcnt(0)
	v_cmp_gt_i32_e32 vcc, s55, v0
	s_and_saveexec_b64 s[28:29], vcc
	s_cbranch_execz .LBB58_78
; %bb.5:
	s_load_dwordx4 s[24:27], s[4:5], 0x10
	s_load_dword s6, s[4:5], 0x0
	v_lshlrev_b64 v[4:5], 2, s[14:15]
	v_add_u32_e32 v34, s33, v2
	s_load_dwordx2 s[30:31], s[4:5], 0x20
	s_waitcnt lgkmcnt(0)
	v_mov_b32_e32 v1, s25
	v_add_co_u32_e32 v4, vcc, s24, v4
	v_addc_co_u32_e32 v5, vcc, v1, v5, vcc
	global_load_dwordx2 v[6:7], v[4:5], off
	v_mov_b32_e32 v3, s54
	s_mul_i32 s25, s55, s55
	v_mul_lo_u32 v38, v3, s25
	s_cmp_eq_u32 s6, 0
	s_mov_b32 s36, 0
	v_mov_b32_e32 v39, s27
	s_cselect_b64 s[2:3], -1, 0
	s_cmp_lg_u32 s6, 0
	v_cmp_ne_u32_e64 s[0:1], 0, v0
	s_mov_b64 s[34:35], 0
	v_mov_b32_e32 v4, 0
	s_brev_b32 s37, 8
	v_mov_b32_e32 v35, 0x260
	v_mov_b32_e32 v36, 0x3ff00000
	;; [unrolled: 1-line block ×3, first 2 shown]
	s_cselect_b64 s[38:39], -1, 0
	s_waitcnt vmcnt(0)
	v_subrev_u32_e32 v40, s33, v6
	v_xad_u32 v41, s33, -1, v7
	v_add_u32_e32 v2, v41, v40
	v_ashrrev_i32_e32 v10, 1, v2
	v_ashrrev_i32_e32 v11, 31, v10
	v_lshlrev_b64 v[2:3], 2, v[10:11]
	v_mul_lo_u32 v42, s25, v40
	v_add_co_u32_e32 v12, vcc, s26, v2
	v_cmp_gt_i32_e64 s[4:5], s54, v40
	v_cmp_le_i32_e64 s[6:7], s54, v40
	v_cmp_lt_i32_e64 s[8:9], v40, v41
	v_add_u32_e32 v43, v42, v0
	v_addc_co_u32_e32 v13, vcc, v39, v3, vcc
	v_mov_b32_e32 v11, v0
	s_branch .LBB58_7
.LBB58_6:                               ;   in Loop: Header=BB58_7 Depth=1
	v_add_u32_e32 v11, 64, v11
	v_cmp_le_i32_e32 vcc, s55, v11
	s_or_b64 s[34:35], vcc, s[34:35]
	v_add_u32_e32 v43, 64, v43
	s_andn2_b64 exec, exec, s[34:35]
	s_cbranch_execz .LBB58_78
.LBB58_7:                               ; =>This Loop Header: Depth=1
                                        ;     Child Loop BB58_13 Depth 2
                                        ;       Child Loop BB58_17 Depth 3
                                        ;         Child Loop BB58_18 Depth 4
                                        ;       Child Loop BB58_22 Depth 3
                                        ;         Child Loop BB58_24 Depth 4
                                        ;         Child Loop BB58_31 Depth 4
                                        ;           Child Loop BB58_33 Depth 5
                                        ;           Child Loop BB58_39 Depth 5
                                        ;     Child Loop BB58_46 Depth 2
                                        ;       Child Loop BB58_56 Depth 3
                                        ;       Child Loop BB58_64 Depth 3
                                        ;         Child Loop BB58_66 Depth 4
                                        ;       Child Loop BB58_74 Depth 3
	v_mul_lo_u32 v44, v11, s55
                                        ; implicit-def: $sgpr10_sgpr11
	s_and_saveexec_b64 s[12:13], s[6:7]
	s_xor_b64 s[12:13], exec, s[12:13]
; %bb.8:                                ;   in Loop: Header=BB58_7 Depth=1
	v_mul_lo_u32 v44, v11, s55
	s_mov_b64 s[10:11], 0
; %bb.9:                                ;   in Loop: Header=BB58_7 Depth=1
	s_or_saveexec_b64 s[40:41], s[12:13]
	v_pk_mov_b32 v[14:15], s[10:11], s[10:11] op_sel:[0,1]
	v_pk_mov_b32 v[16:17], s[10:11], s[10:11] op_sel:[0,1]
	s_xor_b64 exec, exec, s[40:41]
	s_cbranch_execz .LBB58_43
; %bb.10:                               ;   in Loop: Header=BB58_7 Depth=1
	v_pk_mov_b32 v[14:15], 0, 0
	s_mov_b64 s[42:43], 0
	v_mov_b32_e32 v2, v40
	v_pk_mov_b32 v[16:17], v[14:15], v[14:15] op_sel:[0,1]
                                        ; implicit-def: $sgpr44_sgpr45
	s_branch .LBB58_13
.LBB58_11:                              ;   in Loop: Header=BB58_13 Depth=2
	v_add_u32_e32 v2, 1, v2
	v_cmp_le_i32_e32 vcc, s54, v2
	s_andn2_b64 s[10:11], s[44:45], exec
	s_and_b64 s[12:13], vcc, exec
	s_or_b64 s[44:45], s[10:11], s[12:13]
.LBB58_12:                              ;   in Loop: Header=BB58_13 Depth=2
	s_or_b64 exec, exec, s[46:47]
	s_and_b64 s[10:11], exec, s[44:45]
	s_or_b64 s[42:43], s[10:11], s[42:43]
	s_andn2_b64 exec, exec, s[42:43]
	s_cbranch_execz .LBB58_42
.LBB58_13:                              ;   Parent Loop BB58_7 Depth=1
                                        ; =>  This Loop Header: Depth=2
                                        ;       Child Loop BB58_17 Depth 3
                                        ;         Child Loop BB58_18 Depth 4
                                        ;       Child Loop BB58_22 Depth 3
                                        ;         Child Loop BB58_24 Depth 4
                                        ;         Child Loop BB58_31 Depth 4
                                        ;           Child Loop BB58_33 Depth 5
                                        ;           Child Loop BB58_39 Depth 5
	v_ashrrev_i32_e32 v3, 31, v2
	v_lshlrev_b64 v[6:7], 2, v[2:3]
	v_add_co_u32_e32 v6, vcc, s26, v6
	v_addc_co_u32_e32 v7, vcc, v39, v7, vcc
	global_load_dword v3, v[6:7], off
	v_mov_b32_e32 v5, s17
	s_or_b64 s[44:45], s[44:45], exec
	s_waitcnt vmcnt(0)
	v_subrev_u32_e32 v6, s33, v3
	v_ashrrev_i32_e32 v7, 31, v6
	v_lshlrev_b64 v[8:9], 2, v[6:7]
	v_add_co_u32_e32 v18, vcc, s16, v8
	v_addc_co_u32_e32 v19, vcc, v5, v9, vcc
	global_load_dword v5, v[18:19], off
	s_waitcnt vmcnt(0)
	v_cmp_ne_u32_e32 vcc, -1, v5
	s_and_saveexec_b64 s[46:47], vcc
	s_cbranch_execz .LBB58_12
; %bb.14:                               ;   in Loop: Header=BB58_13 Depth=2
	v_add_co_u32_e32 v18, vcc, s24, v8
	v_addc_co_u32_e32 v19, vcc, v1, v9, vcc
	global_load_dword v7, v[18:19], off
	v_mov_b32_e32 v18, s19
	v_add_co_u32_e32 v8, vcc, s18, v8
	v_addc_co_u32_e32 v9, vcc, v18, v9, vcc
	global_load_dword v18, v[8:9], off glc
	s_waitcnt vmcnt(0)
	v_cmp_eq_u32_e32 vcc, 0, v18
	s_and_saveexec_b64 s[10:11], vcc
	s_cbranch_execz .LBB58_19
; %bb.15:                               ;   in Loop: Header=BB58_13 Depth=2
	s_mov_b32 s48, 0
	s_mov_b64 s[12:13], 0
	s_branch .LBB58_17
.LBB58_16:                              ;   in Loop: Header=BB58_17 Depth=3
	global_load_dword v18, v[8:9], off glc
	s_cmpk_lt_u32 s48, 0xf43
	s_cselect_b64 s[50:51], -1, 0
	s_cmp_lg_u64 s[50:51], 0
	s_addc_u32 s48, s48, 0
	s_waitcnt vmcnt(0)
	v_cmp_ne_u32_e32 vcc, 0, v18
	s_or_b64 s[12:13], vcc, s[12:13]
	s_andn2_b64 exec, exec, s[12:13]
	s_cbranch_execz .LBB58_19
.LBB58_17:                              ;   Parent Loop BB58_7 Depth=1
                                        ;     Parent Loop BB58_13 Depth=2
                                        ; =>    This Loop Header: Depth=3
                                        ;         Child Loop BB58_18 Depth 4
	s_cmp_eq_u32 s48, 0
	s_mov_b32 s49, s48
	s_cbranch_scc1 .LBB58_16
.LBB58_18:                              ;   Parent Loop BB58_7 Depth=1
                                        ;     Parent Loop BB58_13 Depth=2
                                        ;       Parent Loop BB58_17 Depth=3
                                        ; =>      This Inner Loop Header: Depth=4
	s_add_i32 s49, s49, -1
	s_cmp_eq_u32 s49, 0
	s_sleep 1
	s_cbranch_scc0 .LBB58_18
	s_branch .LBB58_16
.LBB58_19:                              ;   in Loop: Header=BB58_13 Depth=2
	s_or_b64 exec, exec, s[10:11]
	v_subrev_u32_e32 v45, s33, v7
	v_mul_lo_u32 v46, v6, s55
	v_mul_lo_u32 v6, v2, s25
	;; [unrolled: 1-line block ×3, first 2 shown]
	v_add_u32_e32 v48, v6, v11
	v_add_u32_e32 v49, v6, v44
	v_cmp_le_i32_e64 s[10:11], v45, v5
	v_mul_lo_u32 v50, s25, v45
	s_mov_b32 s56, 0
	buffer_wbinvl1_vol
	s_branch .LBB58_22
.LBB58_20:                              ;   in Loop: Header=BB58_22 Depth=3
	s_or_b64 exec, exec, s[48:49]
.LBB58_21:                              ;   in Loop: Header=BB58_22 Depth=3
	s_or_b64 exec, exec, s[12:13]
	v_mul_f64 v[28:29], v[20:21], v[20:21]
	v_fmac_f64_e32 v[28:29], v[18:19], v[18:19]
	v_div_scale_f64 v[30:31], s[12:13], v[28:29], v[28:29], 1.0
	v_rcp_f64_e32 v[32:33], v[30:31]
	s_waitcnt vmcnt(0)
	v_add_f64 v[26:27], v[6:7], -v[26:27]
	v_add_f64 v[8:9], v[8:9], -v[24:25]
	s_add_i32 s56, s56, 1
	v_fma_f64 v[6:7], -v[30:31], v[32:33], 1.0
	v_fmac_f64_e32 v[32:33], v[32:33], v[6:7]
	v_fma_f64 v[6:7], -v[30:31], v[32:33], 1.0
	v_fmac_f64_e32 v[32:33], v[32:33], v[6:7]
	v_div_scale_f64 v[6:7], vcc, 1.0, v[28:29], 1.0
	v_mul_f64 v[24:25], v[6:7], v[32:33]
	v_fma_f64 v[6:7], -v[30:31], v[24:25], v[6:7]
	s_cmp_eq_u32 s56, s55
	s_nop 0
	v_div_fmas_f64 v[6:7], v[6:7], v[32:33], v[24:25]
	v_div_fixup_f64 v[24:25], v[6:7], v[28:29], 1.0
	v_mul_f64 v[6:7], v[20:21], v[8:9]
	v_mul_f64 v[20:21], v[20:21], -v[26:27]
	v_fmac_f64_e32 v[6:7], v[26:27], v[18:19]
	v_fmac_f64_e32 v[20:21], v[8:9], v[18:19]
	v_mul_f64 v[6:7], v[24:25], v[6:7]
	v_mul_f64 v[8:9], v[24:25], v[20:21]
	v_fmac_f64_e32 v[16:17], v[6:7], v[6:7]
	v_fmac_f64_e32 v[14:15], v[8:9], v[6:7]
	;; [unrolled: 1-line block ×3, first 2 shown]
	v_fma_f64 v[14:15], v[6:7], -v[8:9], v[14:15]
	v_add_u32_e32 v50, 1, v50
	global_store_dwordx4 v[22:23], v[6:9], off
	s_cbranch_scc1 .LBB58_11
.LBB58_22:                              ;   Parent Loop BB58_7 Depth=1
                                        ;     Parent Loop BB58_13 Depth=2
                                        ; =>    This Loop Header: Depth=3
                                        ;         Child Loop BB58_24 Depth 4
                                        ;         Child Loop BB58_31 Depth 4
                                        ;           Child Loop BB58_33 Depth 5
                                        ;           Child Loop BB58_39 Depth 5
	s_mul_i32 s57, s56, s55
	s_add_i32 s12, s57, s56
	v_add_u32_e32 v6, s12, v47
	v_ashrrev_i32_e32 v7, 31, v6
	v_lshlrev_b64 v[6:7], 4, v[6:7]
	v_mov_b32_e32 v8, s31
	v_add_co_u32_e32 v6, vcc, s30, v6
	v_addc_co_u32_e32 v7, vcc, v8, v7, vcc
	global_load_dwordx4 v[6:9], v[6:7], off
	s_waitcnt vmcnt(0)
	v_cmp_neq_f64_e32 vcc, 0, v[6:7]
	v_cmp_neq_f64_e64 s[12:13], 0, v[8:9]
	s_or_b64 vcc, vcc, s[12:13]
	s_or_b64 s[12:13], vcc, s[0:1]
	v_cndmask_b32_e32 v19, v36, v7, vcc
	v_cndmask_b32_e32 v18, 0, v6, vcc
	;; [unrolled: 1-line block ×3, first 2 shown]
	s_xor_b64 s[48:49], s[12:13], -1
	v_cndmask_b32_e32 v20, 0, v8, vcc
	s_and_saveexec_b64 s[12:13], s[48:49]
	s_cbranch_execz .LBB58_28
; %bb.23:                               ;   in Loop: Header=BB58_22 Depth=3
	s_mov_b64 s[48:49], exec
	s_brev_b32 s50, -2
.LBB58_24:                              ;   Parent Loop BB58_7 Depth=1
                                        ;     Parent Loop BB58_13 Depth=2
                                        ;       Parent Loop BB58_22 Depth=3
                                        ; =>      This Inner Loop Header: Depth=4
	s_ff1_i32_b64 s51, s[48:49]
	v_readlane_b32 s58, v3, s51
	s_lshl_b64 s[52:53], 1, s51
	s_min_i32 s50, s50, s58
	s_andn2_b64 s[48:49], s[48:49], s[52:53]
	s_cmp_lg_u64 s[48:49], 0
	s_cbranch_scc1 .LBB58_24
; %bb.25:                               ;   in Loop: Header=BB58_22 Depth=3
	v_mbcnt_lo_u32_b32 v6, exec_lo, 0
	v_mbcnt_hi_u32_b32 v6, exec_hi, v6
	v_cmp_eq_u32_e32 vcc, 0, v6
	s_and_saveexec_b64 s[48:49], vcc
	s_xor_b64 s[48:49], exec, s[48:49]
	s_cbranch_execz .LBB58_27
; %bb.26:                               ;   in Loop: Header=BB58_22 Depth=3
	v_mov_b32_e32 v6, s50
	global_atomic_smin v4, v6, s[22:23]
.LBB58_27:                              ;   in Loop: Header=BB58_22 Depth=3
	s_or_b64 exec, exec, s[48:49]
	v_mov_b32_e32 v18, 0
	v_pk_mov_b32 v[20:21], 0, 0
	v_mov_b32_e32 v19, 0x3ff00000
.LBB58_28:                              ;   in Loop: Header=BB58_22 Depth=3
	s_or_b64 exec, exec, s[12:13]
	v_add_u32_e32 v6, s56, v49
	v_add_u32_e32 v7, s57, v48
	v_cndmask_b32_e64 v6, v7, v6, s[2:3]
	v_ashrrev_i32_e32 v7, 31, v6
	v_lshlrev_b64 v[6:7], 4, v[6:7]
	v_mov_b32_e32 v8, s31
	v_add_co_u32_e32 v22, vcc, s30, v6
	v_addc_co_u32_e32 v23, vcc, v8, v7, vcc
	global_load_dwordx4 v[6:9], v[22:23], off
	v_pk_mov_b32 v[24:25], 0, 0
	v_pk_mov_b32 v[26:27], v[24:25], v[24:25] op_sel:[0,1]
	s_and_saveexec_b64 s[12:13], s[10:11]
	s_cbranch_execz .LBB58_21
; %bb.29:                               ;   in Loop: Header=BB58_22 Depth=3
	global_load_dword v51, v[12:13], off
	v_pk_mov_b32 v[24:25], 0, 0
	v_add_u32_e32 v52, s56, v46
	s_mov_b64 s[48:49], 0
	v_mov_b32_e32 v53, v50
	v_mov_b32_e32 v28, v45
	v_pk_mov_b32 v[26:27], v[24:25], v[24:25] op_sel:[0,1]
	s_branch .LBB58_31
.LBB58_30:                              ;   in Loop: Header=BB58_31 Depth=4
	s_or_b64 exec, exec, s[50:51]
	v_add_u32_e32 v29, 1, v28
	v_cmp_ge_i32_e32 vcc, v28, v5
	v_add_u32_e32 v53, s25, v53
	s_or_b64 s[48:49], vcc, s[48:49]
	v_mov_b32_e32 v28, v29
	s_andn2_b64 exec, exec, s[48:49]
	s_cbranch_execz .LBB58_20
.LBB58_31:                              ;   Parent Loop BB58_7 Depth=1
                                        ;     Parent Loop BB58_13 Depth=2
                                        ;       Parent Loop BB58_22 Depth=3
                                        ; =>      This Loop Header: Depth=4
                                        ;           Child Loop BB58_33 Depth 5
                                        ;           Child Loop BB58_39 Depth 5
	v_ashrrev_i32_e32 v29, 31, v28
	v_lshlrev_b64 v[30:31], 2, v[28:29]
	v_mov_b32_e32 v29, s27
	v_add_co_u32_e32 v30, vcc, s26, v30
	v_addc_co_u32_e32 v31, vcc, v29, v31, vcc
	global_load_dword v29, v[30:31], off
	s_waitcnt vmcnt(1)
	v_mov_b32_e32 v31, v51
	v_mov_b32_e32 v30, v10
	s_and_saveexec_b64 s[50:51], s[8:9]
	s_cbranch_execz .LBB58_35
; %bb.32:                               ;   in Loop: Header=BB58_31 Depth=4
	s_mov_b64 s[52:53], 0
	v_mov_b32_e32 v31, v51
	v_mov_b32_e32 v30, v10
	;; [unrolled: 1-line block ×4, first 2 shown]
.LBB58_33:                              ;   Parent Loop BB58_7 Depth=1
                                        ;     Parent Loop BB58_13 Depth=2
                                        ;       Parent Loop BB58_22 Depth=3
                                        ;         Parent Loop BB58_31 Depth=4
                                        ; =>        This Inner Loop Header: Depth=5
	v_add_u32_e32 v54, 1, v30
	s_waitcnt vmcnt(0)
	v_cmp_lt_i32_e32 vcc, v31, v29
	v_cndmask_b32_e32 v33, v30, v33, vcc
	v_cndmask_b32_e32 v32, v32, v54, vcc
	v_add_u32_e32 v30, v33, v32
	v_ashrrev_i32_e32 v30, 1, v30
	v_ashrrev_i32_e32 v31, 31, v30
	v_lshlrev_b64 v[54:55], 2, v[30:31]
	v_mov_b32_e32 v31, s27
	v_add_co_u32_e32 v54, vcc, s26, v54
	v_addc_co_u32_e32 v55, vcc, v31, v55, vcc
	global_load_dword v31, v[54:55], off
	v_cmp_ge_i32_e32 vcc, v32, v33
	s_or_b64 s[52:53], vcc, s[52:53]
	s_andn2_b64 exec, exec, s[52:53]
	s_cbranch_execnz .LBB58_33
; %bb.34:                               ;   in Loop: Header=BB58_31 Depth=4
	s_or_b64 exec, exec, s[52:53]
.LBB58_35:                              ;   in Loop: Header=BB58_31 Depth=4
	s_or_b64 exec, exec, s[50:51]
	s_waitcnt vmcnt(0)
	v_cmp_eq_u32_e32 vcc, v31, v29
	s_and_saveexec_b64 s[50:51], vcc
	s_cbranch_execz .LBB58_30
; %bb.36:                               ;   in Loop: Header=BB58_31 Depth=4
	v_subrev_u32_e32 v29, s33, v29
	v_mul_lo_u32 v31, v28, s25
	v_mul_lo_u32 v30, v30, s25
	;; [unrolled: 1-line block ×3, first 2 shown]
	v_add_u32_e32 v54, s57, v31
	v_add_u32_e32 v55, v30, v44
	;; [unrolled: 1-line block ×3, first 2 shown]
	s_mov_b32 s58, 0
	v_mov_b32_e32 v57, v53
	s_branch .LBB58_39
.LBB58_37:                              ;   in Loop: Header=BB58_39 Depth=5
	v_ashrrev_i32_e32 v33, 31, v32
	v_lshlrev_b64 v[32:33], 4, v[32:33]
	v_mov_b32_e32 v59, s31
	v_add_co_u32_e32 v32, vcc, s30, v32
	v_ashrrev_i32_e32 v31, 31, v30
	v_addc_co_u32_e32 v33, vcc, v59, v33, vcc
	v_lshlrev_b64 v[30:31], 4, v[30:31]
	v_add_co_u32_e32 v58, vcc, s30, v30
	v_addc_co_u32_e32 v59, vcc, v59, v31, vcc
	global_load_dwordx4 v[30:33], v[32:33], off
	s_nop 0
	global_load_dwordx4 v[58:61], v[58:59], off
	s_waitcnt vmcnt(0)
	v_fmac_f64_e32 v[26:27], v[30:31], v[58:59]
	v_fmac_f64_e32 v[24:25], v[32:33], v[58:59]
	;; [unrolled: 1-line block ×3, first 2 shown]
	v_fma_f64 v[24:25], v[30:31], -v[60:61], v[24:25]
.LBB58_38:                              ;   in Loop: Header=BB58_39 Depth=5
	s_or_b64 exec, exec, s[52:53]
	s_add_i32 s58, s58, 1
	v_add_u32_e32 v56, s55, v56
	s_cmp_lg_u32 s55, s58
	v_add_u32_e32 v57, s55, v57
	s_cbranch_scc0 .LBB58_30
.LBB58_39:                              ;   Parent Loop BB58_7 Depth=1
                                        ;     Parent Loop BB58_13 Depth=2
                                        ;       Parent Loop BB58_22 Depth=3
                                        ;         Parent Loop BB58_31 Depth=4
                                        ; =>        This Inner Loop Header: Depth=5
	v_add_u32_e32 v30, s58, v29
	v_cmp_lt_i32_e32 vcc, v30, v52
	s_and_saveexec_b64 s[52:53], vcc
	s_cbranch_execz .LBB58_38
; %bb.40:                               ;   in Loop: Header=BB58_39 Depth=5
	s_andn2_b64 vcc, exec, s[2:3]
	v_mov_b32_e32 v30, v56
	v_mov_b32_e32 v32, v57
	s_cbranch_vccnz .LBB58_37
; %bb.41:                               ;   in Loop: Header=BB58_39 Depth=5
	v_add_u32_e32 v32, s58, v54
	v_add_u32_e32 v30, s58, v55
	s_branch .LBB58_37
.LBB58_42:                              ;   in Loop: Header=BB58_7 Depth=1
	s_or_b64 exec, exec, s[42:43]
.LBB58_43:                              ;   in Loop: Header=BB58_7 Depth=1
	s_or_b64 exec, exec, s[40:41]
	v_add_u32_e32 v30, v44, v38
	s_mov_b32 s44, 0
	v_mov_b32_e32 v31, v42
	s_branch .LBB58_46
.LBB58_44:                              ;   in Loop: Header=BB58_46 Depth=2
	v_mul_f64 v[26:27], v[2:3], v[2:3]
	v_fmac_f64_e32 v[26:27], v[18:19], v[18:19]
	v_div_scale_f64 v[28:29], s[12:13], v[26:27], v[26:27], 1.0
	v_rcp_f64_e32 v[32:33], v[28:29]
	s_waitcnt vmcnt(0)
	v_add_f64 v[22:23], v[6:7], -v[22:23]
	v_add_f64 v[8:9], v[8:9], -v[24:25]
	v_fma_f64 v[6:7], -v[28:29], v[32:33], 1.0
	v_fmac_f64_e32 v[32:33], v[32:33], v[6:7]
	v_fma_f64 v[6:7], -v[28:29], v[32:33], 1.0
	v_fmac_f64_e32 v[32:33], v[32:33], v[6:7]
	v_div_scale_f64 v[6:7], vcc, 1.0, v[26:27], 1.0
	v_mul_f64 v[24:25], v[6:7], v[32:33]
	v_fma_f64 v[6:7], -v[28:29], v[24:25], v[6:7]
	s_nop 1
	v_div_fmas_f64 v[6:7], v[6:7], v[32:33], v[24:25]
	v_div_fixup_f64 v[24:25], v[6:7], v[26:27], 1.0
	v_mul_f64 v[6:7], v[2:3], v[8:9]
	v_mul_f64 v[2:3], v[2:3], -v[22:23]
	v_fmac_f64_e32 v[6:7], v[22:23], v[18:19]
	v_fmac_f64_e32 v[2:3], v[8:9], v[18:19]
	v_mul_f64 v[6:7], v[24:25], v[6:7]
	v_mul_f64 v[8:9], v[24:25], v[2:3]
	v_fmac_f64_e32 v[16:17], v[6:7], v[6:7]
	v_fmac_f64_e32 v[14:15], v[8:9], v[6:7]
	;; [unrolled: 1-line block ×3, first 2 shown]
	v_fma_f64 v[14:15], v[6:7], -v[8:9], v[14:15]
	global_store_dwordx4 v[20:21], v[6:9], off
.LBB58_45:                              ;   in Loop: Header=BB58_46 Depth=2
	s_or_b64 exec, exec, s[10:11]
	s_add_i32 s44, s44, 1
	s_cmp_eq_u32 s44, s55
	v_add_u32_e32 v31, 1, v31
	s_waitcnt vmcnt(0)
	buffer_wbinvl1_vol
	s_cbranch_scc1 .LBB58_6
.LBB58_46:                              ;   Parent Loop BB58_7 Depth=1
                                        ; =>  This Loop Header: Depth=2
                                        ;       Child Loop BB58_56 Depth 3
                                        ;       Child Loop BB58_64 Depth 3
                                        ;         Child Loop BB58_66 Depth 4
                                        ;       Child Loop BB58_74 Depth 3
	s_mul_i32 s45, s44, s55
	v_add_u32_e32 v32, s45, v38
	v_add_u32_e32 v2, s44, v32
	v_ashrrev_i32_e32 v3, 31, v2
	v_cmp_eq_u32_e32 vcc, s44, v11
	v_lshlrev_b64 v[6:7], 4, v[2:3]
	s_and_saveexec_b64 s[10:11], vcc
	s_cbranch_execz .LBB58_54
; %bb.47:                               ;   in Loop: Header=BB58_46 Depth=2
	v_mov_b32_e32 v2, s31
	v_add_co_u32_e32 v8, vcc, s30, v6
	v_addc_co_u32_e32 v9, vcc, v2, v7, vcc
	global_load_dwordx4 v[18:21], v[8:9], off
	s_waitcnt vmcnt(0)
	v_add_f64 v[2:3], v[18:19], -v[16:17]
	v_add_f64 v[22:23], v[20:21], -v[14:15]
	v_xor_b32_e32 v5, 0x80000000, v3
	v_cmp_gt_f64_e32 vcc, 0, v[2:3]
	v_xor_b32_e32 v18, 0x80000000, v23
	v_cndmask_b32_e32 v3, v3, v5, vcc
	v_cndmask_b32_e32 v2, v2, v2, vcc
	v_cmp_gt_f64_e32 vcc, 0, v[22:23]
	v_cndmask_b32_e32 v19, v23, v18, vcc
	v_cndmask_b32_e32 v18, v22, v22, vcc
	v_cmp_ngt_f64_e32 vcc, v[2:3], v[18:19]
                                        ; implicit-def: $vgpr20_vgpr21
	s_and_saveexec_b64 s[12:13], vcc
	s_xor_b64 s[12:13], exec, s[12:13]
	s_cbranch_execz .LBB58_51
; %bb.48:                               ;   in Loop: Header=BB58_46 Depth=2
	v_cmp_neq_f64_e32 vcc, 0, v[22:23]
	v_pk_mov_b32 v[20:21], 0, 0
	s_and_saveexec_b64 s[40:41], vcc
	s_cbranch_execz .LBB58_50
; %bb.49:                               ;   in Loop: Header=BB58_46 Depth=2
	v_div_scale_f64 v[20:21], s[42:43], v[18:19], v[18:19], v[2:3]
	v_rcp_f64_e32 v[22:23], v[20:21]
	v_div_scale_f64 v[24:25], vcc, v[2:3], v[18:19], v[2:3]
	v_fma_f64 v[26:27], -v[20:21], v[22:23], 1.0
	v_fmac_f64_e32 v[22:23], v[22:23], v[26:27]
	v_fma_f64 v[26:27], -v[20:21], v[22:23], 1.0
	v_fmac_f64_e32 v[22:23], v[22:23], v[26:27]
	v_mul_f64 v[26:27], v[24:25], v[22:23]
	v_fma_f64 v[20:21], -v[20:21], v[26:27], v[24:25]
	v_div_fmas_f64 v[20:21], v[20:21], v[22:23], v[26:27]
	v_div_fixup_f64 v[2:3], v[20:21], v[18:19], v[2:3]
	v_fma_f64 v[2:3], v[2:3], v[2:3], 1.0
	v_cmp_gt_f64_e32 vcc, s[36:37], v[2:3]
	v_cndmask_b32_e64 v5, 0, 1, vcc
	v_lshlrev_b32_e32 v5, 8, v5
	v_ldexp_f64 v[2:3], v[2:3], v5
	v_rsq_f64_e32 v[20:21], v[2:3]
	v_cndmask_b32_e32 v5, 0, v37, vcc
	v_cmp_class_f64_e32 vcc, v[2:3], v35
	v_mul_f64 v[22:23], v[2:3], v[20:21]
	v_mul_f64 v[20:21], v[20:21], 0.5
	v_fma_f64 v[24:25], -v[20:21], v[22:23], 0.5
	v_fmac_f64_e32 v[22:23], v[22:23], v[24:25]
	v_fma_f64 v[26:27], -v[22:23], v[22:23], v[2:3]
	v_fmac_f64_e32 v[20:21], v[20:21], v[24:25]
	v_fmac_f64_e32 v[22:23], v[26:27], v[20:21]
	v_fma_f64 v[24:25], -v[22:23], v[22:23], v[2:3]
	v_fmac_f64_e32 v[22:23], v[24:25], v[20:21]
	v_ldexp_f64 v[20:21], v[22:23], v5
	v_cndmask_b32_e32 v3, v21, v3, vcc
	v_cndmask_b32_e32 v2, v20, v2, vcc
	v_mul_f64 v[20:21], v[18:19], v[2:3]
.LBB58_50:                              ;   in Loop: Header=BB58_46 Depth=2
	s_or_b64 exec, exec, s[40:41]
                                        ; implicit-def: $vgpr2_vgpr3
                                        ; implicit-def: $vgpr18_vgpr19
.LBB58_51:                              ;   in Loop: Header=BB58_46 Depth=2
	s_andn2_saveexec_b64 s[12:13], s[12:13]
	s_cbranch_execz .LBB58_53
; %bb.52:                               ;   in Loop: Header=BB58_46 Depth=2
	v_div_scale_f64 v[20:21], s[40:41], v[2:3], v[2:3], v[18:19]
	v_rcp_f64_e32 v[22:23], v[20:21]
	v_div_scale_f64 v[24:25], vcc, v[18:19], v[2:3], v[18:19]
	v_fma_f64 v[26:27], -v[20:21], v[22:23], 1.0
	v_fmac_f64_e32 v[22:23], v[22:23], v[26:27]
	v_fma_f64 v[26:27], -v[20:21], v[22:23], 1.0
	v_fmac_f64_e32 v[22:23], v[22:23], v[26:27]
	v_mul_f64 v[26:27], v[24:25], v[22:23]
	v_fma_f64 v[20:21], -v[20:21], v[26:27], v[24:25]
	v_div_fmas_f64 v[20:21], v[20:21], v[22:23], v[26:27]
	v_div_fixup_f64 v[18:19], v[20:21], v[2:3], v[18:19]
	v_fma_f64 v[18:19], v[18:19], v[18:19], 1.0
	v_cmp_gt_f64_e32 vcc, s[36:37], v[18:19]
	v_cndmask_b32_e64 v5, 0, 1, vcc
	v_lshlrev_b32_e32 v5, 8, v5
	v_ldexp_f64 v[18:19], v[18:19], v5
	v_rsq_f64_e32 v[20:21], v[18:19]
	v_cndmask_b32_e32 v5, 0, v37, vcc
	v_cmp_class_f64_e32 vcc, v[18:19], v35
	v_mul_f64 v[22:23], v[18:19], v[20:21]
	v_mul_f64 v[20:21], v[20:21], 0.5
	v_fma_f64 v[24:25], -v[20:21], v[22:23], 0.5
	v_fmac_f64_e32 v[22:23], v[22:23], v[24:25]
	v_fma_f64 v[26:27], -v[22:23], v[22:23], v[18:19]
	v_fmac_f64_e32 v[20:21], v[20:21], v[24:25]
	v_fmac_f64_e32 v[22:23], v[26:27], v[20:21]
	v_fma_f64 v[24:25], -v[22:23], v[22:23], v[18:19]
	v_fmac_f64_e32 v[22:23], v[24:25], v[20:21]
	v_ldexp_f64 v[20:21], v[22:23], v5
	v_cndmask_b32_e32 v19, v21, v19, vcc
	v_cndmask_b32_e32 v18, v20, v18, vcc
	v_mul_f64 v[20:21], v[2:3], v[18:19]
.LBB58_53:                              ;   in Loop: Header=BB58_46 Depth=2
	s_or_b64 exec, exec, s[12:13]
	v_cmp_gt_f64_e32 vcc, s[36:37], v[20:21]
	v_cndmask_b32_e64 v2, 0, 1, vcc
	v_lshlrev_b32_e32 v2, 8, v2
	v_ldexp_f64 v[2:3], v[20:21], v2
	v_rsq_f64_e32 v[18:19], v[2:3]
	v_cndmask_b32_e32 v5, 0, v37, vcc
	v_cmp_class_f64_e32 vcc, v[2:3], v35
	v_mul_f64 v[20:21], v[2:3], v[18:19]
	v_mul_f64 v[18:19], v[18:19], 0.5
	v_fma_f64 v[22:23], -v[18:19], v[20:21], 0.5
	v_fmac_f64_e32 v[20:21], v[20:21], v[22:23]
	v_fmac_f64_e32 v[18:19], v[18:19], v[22:23]
	v_fma_f64 v[22:23], -v[20:21], v[20:21], v[2:3]
	v_fmac_f64_e32 v[20:21], v[22:23], v[18:19]
	v_fma_f64 v[22:23], -v[20:21], v[20:21], v[2:3]
	v_fmac_f64_e32 v[20:21], v[22:23], v[18:19]
	v_ldexp_f64 v[18:19], v[20:21], v5
	v_cndmask_b32_e32 v3, v19, v3, vcc
	v_cndmask_b32_e32 v2, v18, v2, vcc
	v_mov_b32_e32 v5, v4
	global_store_dwordx4 v[8:9], v[2:5], off
.LBB58_54:                              ;   in Loop: Header=BB58_46 Depth=2
	s_or_b64 exec, exec, s[10:11]
	v_mov_b32_e32 v3, s31
	v_add_co_u32_e32 v2, vcc, s30, v6
	v_addc_co_u32_e32 v3, vcc, v3, v7, vcc
	s_waitcnt vmcnt(0)
	buffer_wbinvl1_vol
	global_load_dwordx4 v[6:9], v[2:3], off
	s_waitcnt vmcnt(0)
	v_cmp_neq_f64_e32 vcc, 0, v[6:7]
	v_cmp_neq_f64_e64 s[10:11], 0, v[8:9]
	s_or_b64 vcc, vcc, s[10:11]
	s_or_b64 s[10:11], vcc, s[0:1]
	v_cndmask_b32_e32 v3, 0, v9, vcc
	v_cndmask_b32_e32 v2, 0, v8, vcc
	;; [unrolled: 1-line block ×3, first 2 shown]
	s_xor_b64 s[12:13], s[10:11], -1
	v_cndmask_b32_e32 v18, 0, v6, vcc
	s_and_saveexec_b64 s[10:11], s[12:13]
	s_cbranch_execz .LBB58_60
; %bb.55:                               ;   in Loop: Header=BB58_46 Depth=2
	s_mov_b64 s[12:13], exec
	s_brev_b32 s40, -2
.LBB58_56:                              ;   Parent Loop BB58_7 Depth=1
                                        ;     Parent Loop BB58_46 Depth=2
                                        ; =>    This Inner Loop Header: Depth=3
	s_ff1_i32_b64 s41, s[12:13]
	v_readlane_b32 s46, v34, s41
	s_lshl_b64 s[42:43], 1, s41
	s_min_i32 s40, s40, s46
	s_andn2_b64 s[12:13], s[12:13], s[42:43]
	s_cmp_lg_u64 s[12:13], 0
	s_cbranch_scc1 .LBB58_56
; %bb.57:                               ;   in Loop: Header=BB58_46 Depth=2
	v_mbcnt_lo_u32_b32 v2, exec_lo, 0
	v_mbcnt_hi_u32_b32 v2, exec_hi, v2
	v_cmp_eq_u32_e32 vcc, 0, v2
	s_and_saveexec_b64 s[12:13], vcc
	s_xor_b64 s[12:13], exec, s[12:13]
	s_cbranch_execz .LBB58_59
; %bb.58:                               ;   in Loop: Header=BB58_46 Depth=2
	v_mov_b32_e32 v2, s40
	global_atomic_smin v4, v2, s[22:23]
.LBB58_59:                              ;   in Loop: Header=BB58_46 Depth=2
	s_or_b64 exec, exec, s[12:13]
	v_mov_b32_e32 v18, 0
	v_mov_b32_e32 v19, 0x3ff00000
	v_pk_mov_b32 v[2:3], 0, 0
.LBB58_60:                              ;   in Loop: Header=BB58_46 Depth=2
	s_or_b64 exec, exec, s[10:11]
	v_cmp_lt_i32_e32 vcc, s44, v11
	s_and_saveexec_b64 s[10:11], vcc
	s_cbranch_execz .LBB58_45
; %bb.61:                               ;   in Loop: Header=BB58_46 Depth=2
	v_add_u32_e32 v5, s44, v30
	v_add_u32_e32 v6, v32, v11
	v_cndmask_b32_e64 v6, v6, v5, s[2:3]
	v_ashrrev_i32_e32 v7, 31, v6
	v_lshlrev_b64 v[6:7], 4, v[6:7]
	v_mov_b32_e32 v5, s31
	v_add_co_u32_e32 v20, vcc, s30, v6
	v_addc_co_u32_e32 v21, vcc, v5, v7, vcc
	global_load_dwordx4 v[6:9], v[20:21], off
	v_pk_mov_b32 v[22:23], 0, 0
	v_pk_mov_b32 v[24:25], v[22:23], v[22:23] op_sel:[0,1]
	s_and_saveexec_b64 s[12:13], s[4:5]
	s_cbranch_execz .LBB58_71
; %bb.62:                               ;   in Loop: Header=BB58_46 Depth=2
	v_pk_mov_b32 v[22:23], 0, 0
	s_mov_b64 s[40:41], 0
	v_mov_b32_e32 v5, v31
	v_mov_b32_e32 v33, v43
	;; [unrolled: 1-line block ×3, first 2 shown]
	v_pk_mov_b32 v[24:25], v[22:23], v[22:23] op_sel:[0,1]
	s_branch .LBB58_64
.LBB58_63:                              ;   in Loop: Header=BB58_64 Depth=3
	v_add_u32_e32 v45, 1, v45
	v_cmp_le_i32_e32 vcc, s54, v45
	v_add_u32_e32 v33, s25, v33
	s_or_b64 s[40:41], vcc, s[40:41]
	v_add_u32_e32 v5, s25, v5
	s_andn2_b64 exec, exec, s[40:41]
	s_cbranch_execz .LBB58_70
.LBB58_64:                              ;   Parent Loop BB58_7 Depth=1
                                        ;     Parent Loop BB58_46 Depth=2
                                        ; =>    This Loop Header: Depth=3
                                        ;         Child Loop BB58_66 Depth 4
	v_mul_lo_u32 v26, v45, s25
	v_add_u32_e32 v46, s45, v26
	v_add_u32_e32 v47, v26, v44
	s_mov_b32 s46, 0
	s_mov_b32 s47, s55
	;; [unrolled: 1-line block ×3, first 2 shown]
	s_branch .LBB58_66
.LBB58_65:                              ;   in Loop: Header=BB58_66 Depth=4
	v_ashrrev_i32_e32 v29, 31, v28
	v_lshlrev_b64 v[28:29], 4, v[28:29]
	v_mov_b32_e32 v49, s31
	v_add_co_u32_e32 v28, vcc, s30, v28
	v_ashrrev_i32_e32 v27, 31, v26
	v_addc_co_u32_e32 v29, vcc, v49, v29, vcc
	v_lshlrev_b64 v[26:27], 4, v[26:27]
	v_add_co_u32_e32 v48, vcc, s30, v26
	v_addc_co_u32_e32 v49, vcc, v49, v27, vcc
	global_load_dwordx4 v[26:29], v[28:29], off
	s_nop 0
	global_load_dwordx4 v[48:51], v[48:49], off
	s_add_i32 s48, s48, 1
	s_add_i32 s46, s46, s55
	s_add_i32 s47, s47, -1
	s_cmp_eq_u32 s47, 0
	s_waitcnt vmcnt(0)
	v_fmac_f64_e32 v[22:23], v[48:49], v[26:27]
	v_fmac_f64_e32 v[24:25], v[50:51], v[26:27]
	;; [unrolled: 1-line block ×3, first 2 shown]
	v_fma_f64 v[24:25], v[48:49], -v[28:29], v[24:25]
	s_cbranch_scc1 .LBB58_63
.LBB58_66:                              ;   Parent Loop BB58_7 Depth=1
                                        ;     Parent Loop BB58_46 Depth=2
                                        ;       Parent Loop BB58_64 Depth=3
                                        ; =>      This Inner Loop Header: Depth=4
	s_and_b64 vcc, exec, s[38:39]
	s_cbranch_vccz .LBB58_68
; %bb.67:                               ;   in Loop: Header=BB58_66 Depth=4
	v_add_u32_e32 v26, s46, v5
	v_add_u32_e32 v28, s46, v33
	s_cbranch_execnz .LBB58_65
	s_branch .LBB58_69
.LBB58_68:                              ;   in Loop: Header=BB58_66 Depth=4
                                        ; implicit-def: $vgpr28
                                        ; implicit-def: $vgpr26
.LBB58_69:                              ;   in Loop: Header=BB58_66 Depth=4
	v_add_u32_e32 v26, s48, v46
	v_add_u32_e32 v28, s48, v47
	s_branch .LBB58_65
.LBB58_70:                              ;   in Loop: Header=BB58_46 Depth=2
	s_or_b64 exec, exec, s[40:41]
.LBB58_71:                              ;   in Loop: Header=BB58_46 Depth=2
	s_or_b64 exec, exec, s[12:13]
	s_cmp_eq_u32 s44, 0
	s_cbranch_scc1 .LBB58_44
; %bb.72:                               ;   in Loop: Header=BB58_46 Depth=2
	s_mov_b32 s40, 0
	v_mov_b32_e32 v5, v38
	s_branch .LBB58_74
.LBB58_73:                              ;   in Loop: Header=BB58_74 Depth=3
	v_ashrrev_i32_e32 v29, 31, v28
	v_lshlrev_b64 v[28:29], 4, v[28:29]
	v_mov_b32_e32 v33, s31
	v_add_co_u32_e32 v50, vcc, s30, v28
	v_ashrrev_i32_e32 v27, 31, v26
	v_addc_co_u32_e32 v51, vcc, v33, v29, vcc
	v_lshlrev_b64 v[26:27], 4, v[26:27]
	v_add_co_u32_e32 v52, vcc, s30, v26
	v_addc_co_u32_e32 v53, vcc, v33, v27, vcc
	global_load_dwordx4 v[26:29], v[50:51], off
	global_load_dwordx4 v[46:49], v[52:53], off
	s_add_i32 s40, s40, 1
	s_cmp_ge_u32 s40, s44
	v_add_u32_e32 v5, s55, v5
	s_waitcnt vmcnt(0)
	v_fmac_f64_e32 v[22:23], v[46:47], v[26:27]
	v_fmac_f64_e32 v[24:25], v[48:49], v[26:27]
	;; [unrolled: 1-line block ×3, first 2 shown]
	v_fma_f64 v[24:25], v[46:47], -v[28:29], v[24:25]
	s_cbranch_scc1 .LBB58_44
.LBB58_74:                              ;   Parent Loop BB58_7 Depth=1
                                        ;     Parent Loop BB58_46 Depth=2
                                        ; =>    This Inner Loop Header: Depth=3
	s_and_b64 vcc, exec, s[38:39]
	s_cbranch_vccz .LBB58_76
; %bb.75:                               ;   in Loop: Header=BB58_74 Depth=3
	v_add_u32_e32 v26, s44, v5
	v_add_u32_e32 v28, v11, v5
	s_cbranch_execnz .LBB58_73
	s_branch .LBB58_77
.LBB58_76:                              ;   in Loop: Header=BB58_74 Depth=3
                                        ; implicit-def: $vgpr28
                                        ; implicit-def: $vgpr26
.LBB58_77:                              ;   in Loop: Header=BB58_74 Depth=3
	v_add_u32_e32 v26, s40, v32
	v_add_u32_e32 v28, s40, v30
	s_branch .LBB58_73
.LBB58_78:
	s_or_b64 exec, exec, s[28:29]
	v_cmp_eq_u32_e32 vcc, 63, v0
	s_and_b64 s[0:1], vcc, exec
                                        ; implicit-def: $vgpr0
                                        ; implicit-def: $vgpr2_vgpr3
	s_andn2_saveexec_b64 s[2:3], s[20:21]
	s_cbranch_execz .LBB58_2
.LBB58_79:
	v_cmp_eq_u32_e32 vcc, 63, v0
	s_mov_b64 s[6:7], s[0:1]
	s_and_saveexec_b64 s[4:5], vcc
	s_cbranch_execz .LBB58_85
; %bb.80:
	s_mov_b64 s[6:7], exec
	v_add_u32_e32 v0, s33, v2
	s_brev_b32 s8, -2
.LBB58_81:                              ; =>This Inner Loop Header: Depth=1
	s_ff1_i32_b64 s9, s[6:7]
	v_readlane_b32 s12, v0, s9
	s_lshl_b64 s[10:11], 1, s9
	s_min_i32 s8, s8, s12
	s_andn2_b64 s[6:7], s[6:7], s[10:11]
	s_cmp_lg_u64 s[6:7], 0
	s_cbranch_scc1 .LBB58_81
; %bb.82:
	v_mbcnt_lo_u32_b32 v0, exec_lo, 0
	v_mbcnt_hi_u32_b32 v0, exec_hi, v0
	v_cmp_eq_u32_e32 vcc, 0, v0
	s_and_saveexec_b64 s[6:7], vcc
	s_xor_b64 s[6:7], exec, s[6:7]
	s_cbranch_execz .LBB58_84
; %bb.83:
	v_mov_b32_e32 v0, 0
	v_mov_b32_e32 v1, s8
	global_atomic_smin v0, v1, s[22:23]
.LBB58_84:
	s_or_b64 exec, exec, s[6:7]
	s_or_b64 s[6:7], s[0:1], exec
.LBB58_85:
	s_or_b64 exec, exec, s[4:5]
	s_andn2_b64 s[0:1], s[0:1], exec
	s_and_b64 s[4:5], s[6:7], exec
	s_or_b64 s[0:1], s[0:1], s[4:5]
	s_or_b64 exec, exec, s[2:3]
	s_and_saveexec_b64 s[2:3], s[0:1]
	s_cbranch_execz .LBB58_3
.LBB58_86:
	v_lshlrev_b64 v[0:1], 2, s[14:15]
	v_mov_b32_e32 v2, s19
	v_add_co_u32_e32 v0, vcc, s18, v0
	v_addc_co_u32_e32 v1, vcc, v2, v1, vcc
	v_mov_b32_e32 v2, 1
	s_waitcnt vmcnt(0)
	global_store_dword v[0:1], v2, off
	s_endpgm
	.section	.rodata,"a",@progbits
	.p2align	6, 0x0
	.amdhsa_kernel _ZN9rocsparseL23bsric0_binsearch_kernelILj64ELj64ELb1E21rocsparse_complex_numIdEEEv20rocsparse_direction_iiPKiS5_PT2_S5_PiS5_S8_21rocsparse_index_base_
		.amdhsa_group_segment_fixed_size 0
		.amdhsa_private_segment_fixed_size 0
		.amdhsa_kernarg_size 76
		.amdhsa_user_sgpr_count 6
		.amdhsa_user_sgpr_private_segment_buffer 1
		.amdhsa_user_sgpr_dispatch_ptr 0
		.amdhsa_user_sgpr_queue_ptr 0
		.amdhsa_user_sgpr_kernarg_segment_ptr 1
		.amdhsa_user_sgpr_dispatch_id 0
		.amdhsa_user_sgpr_flat_scratch_init 0
		.amdhsa_user_sgpr_kernarg_preload_length 0
		.amdhsa_user_sgpr_kernarg_preload_offset 0
		.amdhsa_user_sgpr_private_segment_size 0
		.amdhsa_uses_dynamic_stack 0
		.amdhsa_system_sgpr_private_segment_wavefront_offset 0
		.amdhsa_system_sgpr_workgroup_id_x 1
		.amdhsa_system_sgpr_workgroup_id_y 0
		.amdhsa_system_sgpr_workgroup_id_z 0
		.amdhsa_system_sgpr_workgroup_info 0
		.amdhsa_system_vgpr_workitem_id 0
		.amdhsa_next_free_vgpr 62
		.amdhsa_next_free_sgpr 59
		.amdhsa_accum_offset 64
		.amdhsa_reserve_vcc 1
		.amdhsa_reserve_flat_scratch 0
		.amdhsa_float_round_mode_32 0
		.amdhsa_float_round_mode_16_64 0
		.amdhsa_float_denorm_mode_32 3
		.amdhsa_float_denorm_mode_16_64 3
		.amdhsa_dx10_clamp 1
		.amdhsa_ieee_mode 1
		.amdhsa_fp16_overflow 0
		.amdhsa_tg_split 0
		.amdhsa_exception_fp_ieee_invalid_op 0
		.amdhsa_exception_fp_denorm_src 0
		.amdhsa_exception_fp_ieee_div_zero 0
		.amdhsa_exception_fp_ieee_overflow 0
		.amdhsa_exception_fp_ieee_underflow 0
		.amdhsa_exception_fp_ieee_inexact 0
		.amdhsa_exception_int_div_zero 0
	.end_amdhsa_kernel
	.section	.text._ZN9rocsparseL23bsric0_binsearch_kernelILj64ELj64ELb1E21rocsparse_complex_numIdEEEv20rocsparse_direction_iiPKiS5_PT2_S5_PiS5_S8_21rocsparse_index_base_,"axG",@progbits,_ZN9rocsparseL23bsric0_binsearch_kernelILj64ELj64ELb1E21rocsparse_complex_numIdEEEv20rocsparse_direction_iiPKiS5_PT2_S5_PiS5_S8_21rocsparse_index_base_,comdat
.Lfunc_end58:
	.size	_ZN9rocsparseL23bsric0_binsearch_kernelILj64ELj64ELb1E21rocsparse_complex_numIdEEEv20rocsparse_direction_iiPKiS5_PT2_S5_PiS5_S8_21rocsparse_index_base_, .Lfunc_end58-_ZN9rocsparseL23bsric0_binsearch_kernelILj64ELj64ELb1E21rocsparse_complex_numIdEEEv20rocsparse_direction_iiPKiS5_PT2_S5_PiS5_S8_21rocsparse_index_base_
                                        ; -- End function
	.section	.AMDGPU.csdata,"",@progbits
; Kernel info:
; codeLenInByte = 3592
; NumSgprs: 63
; NumVgprs: 62
; NumAgprs: 0
; TotalNumVgprs: 62
; ScratchSize: 0
; MemoryBound: 0
; FloatMode: 240
; IeeeMode: 1
; LDSByteSize: 0 bytes/workgroup (compile time only)
; SGPRBlocks: 7
; VGPRBlocks: 7
; NumSGPRsForWavesPerEU: 63
; NumVGPRsForWavesPerEU: 62
; AccumOffset: 64
; Occupancy: 8
; WaveLimiterHint : 1
; COMPUTE_PGM_RSRC2:SCRATCH_EN: 0
; COMPUTE_PGM_RSRC2:USER_SGPR: 6
; COMPUTE_PGM_RSRC2:TRAP_HANDLER: 0
; COMPUTE_PGM_RSRC2:TGID_X_EN: 1
; COMPUTE_PGM_RSRC2:TGID_Y_EN: 0
; COMPUTE_PGM_RSRC2:TGID_Z_EN: 0
; COMPUTE_PGM_RSRC2:TIDIG_COMP_CNT: 0
; COMPUTE_PGM_RSRC3_GFX90A:ACCUM_OFFSET: 15
; COMPUTE_PGM_RSRC3_GFX90A:TG_SPLIT: 0
	.section	.text._ZN9rocsparseL26bsric0_2_8_unrolled_kernelILi1ELi32ELi1E21rocsparse_complex_numIdEEEv20rocsparse_direction_iiPKiS5_PT2_S5_PiS5_S8_21rocsparse_index_base_,"axG",@progbits,_ZN9rocsparseL26bsric0_2_8_unrolled_kernelILi1ELi32ELi1E21rocsparse_complex_numIdEEEv20rocsparse_direction_iiPKiS5_PT2_S5_PiS5_S8_21rocsparse_index_base_,comdat
	.globl	_ZN9rocsparseL26bsric0_2_8_unrolled_kernelILi1ELi32ELi1E21rocsparse_complex_numIdEEEv20rocsparse_direction_iiPKiS5_PT2_S5_PiS5_S8_21rocsparse_index_base_ ; -- Begin function _ZN9rocsparseL26bsric0_2_8_unrolled_kernelILi1ELi32ELi1E21rocsparse_complex_numIdEEEv20rocsparse_direction_iiPKiS5_PT2_S5_PiS5_S8_21rocsparse_index_base_
	.p2align	8
	.type	_ZN9rocsparseL26bsric0_2_8_unrolled_kernelILi1ELi32ELi1E21rocsparse_complex_numIdEEEv20rocsparse_direction_iiPKiS5_PT2_S5_PiS5_S8_21rocsparse_index_base_,@function
_ZN9rocsparseL26bsric0_2_8_unrolled_kernelILi1ELi32ELi1E21rocsparse_complex_numIdEEEv20rocsparse_direction_iiPKiS5_PT2_S5_PiS5_S8_21rocsparse_index_base_: ; @_ZN9rocsparseL26bsric0_2_8_unrolled_kernelILi1ELi32ELi1E21rocsparse_complex_numIdEEEv20rocsparse_direction_iiPKiS5_PT2_S5_PiS5_S8_21rocsparse_index_base_
; %bb.0:
	s_load_dwordx8 s[8:15], s[4:5], 0x28
	s_mov_b32 s7, 0
	s_lshl_b64 s[0:1], s[6:7], 2
	s_waitcnt lgkmcnt(0)
	s_add_u32 s0, s12, s0
	s_addc_u32 s1, s13, s1
	s_load_dword s12, s[0:1], 0x0
	s_waitcnt lgkmcnt(0)
	s_ashr_i32 s13, s12, 31
	s_lshl_b64 s[6:7], s[12:13], 2
	s_add_u32 s0, s8, s6
	s_addc_u32 s1, s9, s7
	s_load_dword s20, s[0:1], 0x0
	s_load_dword s13, s[4:5], 0x48
	s_waitcnt lgkmcnt(0)
	s_cmp_lg_u32 s20, -1
	s_cbranch_scc0 .LBB59_62
; %bb.1:
	s_load_dwordx4 s[16:19], s[4:5], 0x10
	s_load_dwordx2 s[22:23], s[4:5], 0x20
	s_waitcnt lgkmcnt(0)
	s_add_u32 s0, s16, s6
	s_addc_u32 s1, s17, s7
	s_load_dword s24, s[0:1], 0x0
	s_waitcnt lgkmcnt(0)
	s_sub_i32 s21, s24, s13
	s_cmp_gt_i32 s21, s20
	s_cbranch_scc1 .LBB59_13
; %bb.2:
	s_add_i32 s0, s20, s13
	s_sub_i32 s25, s0, s24
	s_add_i32 s25, s25, 1
	s_mov_b64 s[2:3], -1
	s_cmp_gt_u32 s25, 1
	s_mov_b32 s0, s21
	s_cbranch_scc0 .LBB59_10
; %bb.3:
	s_add_i32 s0, s25, -2
	s_lshr_b32 s3, s0, 1
	s_add_i32 s3, s3, 1
	s_cmp_lt_u32 s0, 14
	s_mov_b32 s2, 0
	s_cbranch_scc1 .LBB59_6
; %bb.4:
	s_and_b32 s26, s3, -8
	s_movk_i32 s27, 0x100
.LBB59_5:                               ; =>This Inner Loop Header: Depth=1
	s_add_i32 s0, s21, s2
	s_ashr_i32 s1, s0, 31
	s_lshl_b64 s[28:29], s[0:1], 2
	s_add_u32 s28, s18, s28
	s_addc_u32 s29, s19, s29
	s_load_dwordx2 s[28:29], s[28:29], 0x0
	s_add_i32 s30, s0, 2
	s_ashr_i32 s31, s30, 31
	s_lshl_b64 s[30:31], s[30:31], 2
	v_mov_b32_e32 v0, s27
	s_waitcnt lgkmcnt(0)
	s_sub_i32 s1, s29, s13
	s_sub_i32 s28, s28, s13
	v_mov_b32_e32 v1, s28
	s_add_u32 s28, s18, s30
	s_addc_u32 s29, s19, s31
	s_load_dwordx2 s[28:29], s[28:29], 0x0
	s_add_i32 s30, s0, 4
	s_ashr_i32 s31, s30, 31
	v_mov_b32_e32 v2, s1
	s_lshl_b64 s[30:31], s[30:31], 2
	s_waitcnt lgkmcnt(0)
	s_sub_i32 s1, s29, s13
	s_sub_i32 s28, s28, s13
	ds_write2_b32 v0, v1, v2 offset1:1
	v_mov_b32_e32 v1, s28
	s_add_u32 s28, s18, s30
	s_addc_u32 s29, s19, s31
	s_load_dwordx2 s[28:29], s[28:29], 0x0
	s_add_i32 s30, s0, 6
	s_ashr_i32 s31, s30, 31
	v_mov_b32_e32 v2, s1
	s_lshl_b64 s[30:31], s[30:31], 2
	s_waitcnt lgkmcnt(0)
	s_sub_i32 s1, s29, s13
	s_sub_i32 s28, s28, s13
	ds_write2_b32 v0, v1, v2 offset0:2 offset1:3
	v_mov_b32_e32 v1, s28
	s_add_u32 s28, s18, s30
	s_addc_u32 s29, s19, s31
	s_load_dwordx2 s[28:29], s[28:29], 0x0
	s_add_i32 s30, s0, 8
	s_ashr_i32 s31, s30, 31
	v_mov_b32_e32 v2, s1
	s_lshl_b64 s[30:31], s[30:31], 2
	s_waitcnt lgkmcnt(0)
	s_sub_i32 s1, s29, s13
	s_sub_i32 s28, s28, s13
	ds_write2_b32 v0, v1, v2 offset0:4 offset1:5
	;; [unrolled: 12-line block ×4, first 2 shown]
	v_mov_b32_e32 v1, s28
	s_add_u32 s28, s18, s30
	s_addc_u32 s29, s19, s31
	s_load_dwordx2 s[28:29], s[28:29], 0x0
	s_add_i32 s0, s0, 14
	v_mov_b32_e32 v2, s1
	s_ashr_i32 s1, s0, 31
	s_lshl_b64 s[0:1], s[0:1], 2
	s_waitcnt lgkmcnt(0)
	s_sub_i32 s29, s29, s13
	s_sub_i32 s28, s28, s13
	s_add_u32 s0, s18, s0
	s_addc_u32 s1, s19, s1
	s_load_dwordx2 s[0:1], s[0:1], 0x0
	ds_write2_b32 v0, v1, v2 offset0:10 offset1:11
	v_mov_b32_e32 v1, s28
	v_mov_b32_e32 v2, s29
	s_add_i32 s2, s2, 16
	s_add_i32 s27, s27, 64
	s_add_i32 s26, s26, -8
	s_waitcnt lgkmcnt(0)
	s_sub_i32 s1, s1, s13
	s_sub_i32 s0, s0, s13
	ds_write2_b32 v0, v1, v2 offset0:12 offset1:13
	v_mov_b32_e32 v1, s0
	v_mov_b32_e32 v2, s1
	s_cmp_lg_u32 s26, 0
	ds_write2_b32 v0, v1, v2 offset0:14 offset1:15
	s_cbranch_scc1 .LBB59_5
.LBB59_6:
	s_and_b32 s3, s3, 7
	s_cmp_eq_u32 s3, 0
	s_cbranch_scc1 .LBB59_9
; %bb.7:
	s_lshl_b32 s0, s2, 2
	s_add_i32 s26, s0, 0x100
	s_add_i32 s0, s2, s24
	s_sub_i32 s0, s0, s13
.LBB59_8:                               ; =>This Inner Loop Header: Depth=1
	s_ashr_i32 s1, s0, 31
	s_lshl_b64 s[28:29], s[0:1], 2
	s_add_u32 s28, s18, s28
	s_addc_u32 s29, s19, s29
	s_load_dwordx2 s[28:29], s[28:29], 0x0
	v_mov_b32_e32 v0, s26
	s_add_i32 s26, s26, 8
	s_add_i32 s0, s0, 2
	s_add_i32 s3, s3, -1
	s_waitcnt lgkmcnt(0)
	s_sub_i32 s1, s29, s13
	s_sub_i32 s2, s28, s13
	v_mov_b32_e32 v1, s2
	v_mov_b32_e32 v2, s1
	s_cmp_lg_u32 s3, 0
	ds_write2_b32 v0, v1, v2 offset1:1
	s_cbranch_scc1 .LBB59_8
.LBB59_9:
	s_and_b32 s1, s25, -2
	s_add_i32 s0, s21, s1
	s_cmp_lg_u32 s25, s1
	s_cselect_b64 s[2:3], -1, 0
.LBB59_10:
	s_and_b64 vcc, exec, s[2:3]
	s_cbranch_vccz .LBB59_13
; %bb.11:
	s_add_i32 s1, s0, s13
	s_sub_i32 s1, s1, s24
	s_lshl_b32 s1, s1, 2
	s_add_i32 s3, s1, 0x100
	s_ashr_i32 s1, s0, 31
	s_add_i32 s2, s0, -1
	s_lshl_b64 s[0:1], s[0:1], 2
	s_add_u32 s0, s18, s0
	s_addc_u32 s1, s19, s1
.LBB59_12:                              ; =>This Inner Loop Header: Depth=1
	s_load_dword s24, s[0:1], 0x0
	v_mov_b32_e32 v0, s3
	s_add_i32 s2, s2, 1
	s_add_i32 s3, s3, 4
	s_waitcnt lgkmcnt(0)
	s_sub_i32 s24, s24, s13
	s_add_u32 s0, s0, 4
	s_addc_u32 s1, s1, 0
	v_mov_b32_e32 v1, s24
	s_cmp_ge_i32 s2, s20
	ds_write_b32 v0, v1
	s_cbranch_scc0 .LBB59_12
.LBB59_13:
	v_mov_b32_e32 v0, 0
	v_mov_b32_e32 v1, v0
	;; [unrolled: 1-line block ×4, first 2 shown]
	s_cmp_ge_i32 s21, s20
	ds_write_b128 v0, v[0:3] offset:480
	s_waitcnt lgkmcnt(0)
	s_cbranch_scc1 .LBB59_58
; %bb.14:
	s_load_dword s0, s[4:5], 0x0
	v_mov_b32_e32 v1, 0x1c0
	v_mov_b32_e32 v10, s23
	;; [unrolled: 1-line block ×4, first 2 shown]
	s_waitcnt lgkmcnt(0)
	s_cmp_lg_u32 s0, 0
	s_cselect_b64 s[0:1], -1, 0
	s_and_b64 s[0:1], exec, s[0:1]
	v_mov_b32_e32 v13, 0x1e0
	v_mov_b32_e32 v14, 0x3ff00000
	s_mov_b32 s4, s21
	s_branch .LBB59_16
.LBB59_15:                              ;   in Loop: Header=BB59_16 Depth=1
                                        ; implicit-def: $sgpr4
	s_cbranch_execnz .LBB59_58
.LBB59_16:                              ; =>This Loop Header: Depth=1
                                        ;     Child Loop BB59_19 Depth 2
                                        ;     Child Loop BB59_30 Depth 2
	;; [unrolled: 1-line block ×6, first 2 shown]
	s_ashr_i32 s5, s4, 31
	s_lshl_b64 s[2:3], s[4:5], 2
	s_add_u32 s2, s18, s2
	s_addc_u32 s3, s19, s3
	s_load_dword s33, s[2:3], 0x0
	s_waitcnt lgkmcnt(0)
	s_sub_i32 s28, s33, s13
	s_ashr_i32 s29, s28, 31
	s_lshl_b64 s[26:27], s[28:29], 2
	s_add_u32 s2, s8, s26
	s_addc_u32 s3, s9, s27
	s_load_dword s2, s[2:3], 0x0
	s_waitcnt lgkmcnt(0)
	s_cmp_eq_u32 s2, -1
	s_cbranch_scc1 .LBB59_15
; %bb.17:                               ;   in Loop: Header=BB59_16 Depth=1
	s_add_u32 s24, s16, s26
	s_addc_u32 s25, s17, s27
	s_load_dword s3, s[24:25], 0x0
	s_lshl_b64 s[24:25], s[4:5], 4
	s_mov_b32 s29, 0
	ds_read_b32 v6, v0 offset:256
	s_waitcnt lgkmcnt(0)
	s_sub_i32 s30, s3, s13
	s_add_u32 s24, s22, s24
	s_addc_u32 s25, s23, s25
	global_load_dwordx4 v[2:5], v0, s[24:25]
	s_cmp_le_i32 s30, s2
	s_cselect_b64 s[34:35], -1, 0
	v_cmp_ge_i32_e32 vcc, s28, v6
	s_and_b64 s[34:35], s[34:35], vcc
	s_andn2_b64 vcc, exec, s[34:35]
	s_waitcnt vmcnt(0)
	ds_write2_b64 v1, v[2:3], v[4:5] offset1:1
	s_cbranch_vccnz .LBB59_29
; %bb.18:                               ;   in Loop: Header=BB59_16 Depth=1
	s_mov_b32 s3, 0
	s_mov_b32 s5, 0
.LBB59_19:                              ;   Parent Loop BB59_16 Depth=1
                                        ; =>  This Inner Loop Header: Depth=2
	s_ashr_i32 s31, s30, 31
	s_lshl_b64 s[34:35], s[30:31], 2
	s_add_u32 s34, s18, s34
	s_addc_u32 s35, s19, s35
	s_lshl_b32 s31, s5, 2
	s_load_dword s29, s[34:35], 0x0
	v_mov_b32_e32 v2, s31
	ds_read_b32 v2, v2 offset:256
	s_mov_b64 s[34:35], -1
                                        ; implicit-def: $sgpr37
                                        ; implicit-def: $sgpr36
	s_waitcnt lgkmcnt(0)
	s_sub_i32 s38, s29, s13
                                        ; implicit-def: $sgpr29
	v_cmp_ge_i32_e32 vcc, s38, v2
	v_readfirstlane_b32 s31, v2
	s_cbranch_vccz .LBB59_25
; %bb.20:                               ;   in Loop: Header=BB59_19 Depth=2
	s_cmp_le_i32 s38, s31
                                        ; implicit-def: $sgpr29
                                        ; implicit-def: $sgpr37
                                        ; implicit-def: $sgpr36
	s_cbranch_scc0 .LBB59_22
; %bb.21:                               ;   in Loop: Header=BB59_19 Depth=2
	s_add_i32 s29, s5, s21
	s_lshl_b32 s34, s3, 2
	v_mov_b32_e32 v2, s34
	v_mov_b32_e32 v3, s29
	;; [unrolled: 1-line block ×3, first 2 shown]
	ds_write2_b32 v2, v4, v3 offset1:32
	s_add_i32 s36, s5, 1
	s_add_i32 s37, s30, 1
	;; [unrolled: 1-line block ×3, first 2 shown]
	s_mov_b64 s[34:35], 0
.LBB59_22:                              ;   in Loop: Header=BB59_19 Depth=2
	s_andn2_b64 vcc, exec, s[34:35]
	s_cbranch_vccnz .LBB59_24
; %bb.23:                               ;   in Loop: Header=BB59_19 Depth=2
	s_add_i32 s36, s5, 1
	s_mov_b32 s29, s3
	s_mov_b32 s37, s30
.LBB59_24:                              ;   in Loop: Header=BB59_19 Depth=2
	s_mov_b64 s[34:35], 0
.LBB59_25:                              ;   in Loop: Header=BB59_19 Depth=2
	s_andn2_b64 vcc, exec, s[34:35]
	s_cbranch_vccnz .LBB59_27
; %bb.26:                               ;   in Loop: Header=BB59_19 Depth=2
	s_add_i32 s37, s30, 1
	s_mov_b32 s36, s5
	s_mov_b32 s29, s3
.LBB59_27:                              ;   in Loop: Header=BB59_19 Depth=2
	s_cmp_le_i32 s37, s2
	s_cselect_b64 s[34:35], -1, 0
	s_cmp_le_i32 s31, s28
	s_cselect_b64 s[30:31], -1, 0
	s_and_b64 s[30:31], s[34:35], s[30:31]
	s_and_b64 vcc, exec, s[30:31]
	s_cbranch_vccz .LBB59_29
; %bb.28:                               ;   in Loop: Header=BB59_19 Depth=2
	s_mov_b32 s3, s29
	s_mov_b32 s30, s37
	;; [unrolled: 1-line block ×3, first 2 shown]
	s_branch .LBB59_19
.LBB59_29:                              ;   in Loop: Header=BB59_16 Depth=1
	s_add_u32 s26, s10, s26
	s_addc_u32 s27, s11, s27
	s_waitcnt lgkmcnt(0)
.LBB59_30:                              ;   Parent Loop BB59_16 Depth=1
                                        ; =>  This Inner Loop Header: Depth=2
	global_load_dword v2, v0, s[26:27] glc
	s_waitcnt vmcnt(0)
	v_cmp_eq_u32_e32 vcc, 0, v2
	s_cbranch_vccnz .LBB59_30
; %bb.31:                               ;   in Loop: Header=BB59_16 Depth=1
	s_ashr_i32 s3, s2, 31
	s_lshl_b64 s[2:3], s[2:3], 4
	s_add_u32 s2, s22, s2
	s_addc_u32 s3, s23, s3
	buffer_wbinvl1_vol
	global_load_dwordx4 v[2:5], v0, s[2:3]
	s_add_i32 s5, s29, -1
	s_cmp_gt_i32 s29, 1
	s_cselect_b64 s[2:3], -1, 0
	v_cndmask_b32_e64 v6, 0, 1, s[2:3]
	v_cmp_ne_u32_e64 s[2:3], 1, v6
	s_mov_b64 vcc, s[0:1]
	s_waitcnt vmcnt(0)
	ds_write2_b64 v12, v[2:3], v[4:5] offset1:1
	s_waitcnt lgkmcnt(0)
	s_cbranch_vccz .LBB59_37
; %bb.32:                               ;   in Loop: Header=BB59_16 Depth=1
	s_and_b64 vcc, exec, s[2:3]
	s_mov_b64 s[26:27], 0
	s_cbranch_vccnz .LBB59_38
; %bb.33:                               ;   in Loop: Header=BB59_16 Depth=1
	s_add_i32 s28, s29, -2
	s_cmp_lt_u32 s28, 3
	s_cbranch_scc1 .LBB59_39
; %bb.34:                               ;   in Loop: Header=BB59_16 Depth=1
	v_pk_mov_b32 v[4:5], 0, 0
	s_and_b32 s28, s5, -4
	s_mov_b32 s30, 0
	s_mov_b32 s31, 0
	v_pk_mov_b32 v[2:3], v[4:5], v[4:5] op_sel:[0,1]
.LBB59_35:                              ;   Parent Loop BB59_16 Depth=1
                                        ; =>  This Inner Loop Header: Depth=2
	v_mov_b32_e32 v15, s30
	ds_read_b128 v[6:9], v15
	ds_read_b128 v[16:19], v15 offset:128
	s_add_i32 s31, s31, 4
	s_add_i32 s30, s30, 16
	s_cmp_eq_u32 s28, s31
	s_waitcnt lgkmcnt(1)
	v_ashrrev_i32_e32 v21, 31, v6
	v_mov_b32_e32 v20, v6
	s_waitcnt lgkmcnt(0)
	v_ashrrev_i32_e32 v23, 31, v16
	v_mov_b32_e32 v22, v16
	v_ashrrev_i32_e32 v25, 31, v7
	v_mov_b32_e32 v24, v7
	;; [unrolled: 2-line block ×7, first 2 shown]
	v_lshlrev_b64 v[18:19], 4, v[20:21]
	v_add_co_u32_e32 v44, vcc, s22, v18
	v_lshlrev_b64 v[20:21], 4, v[22:23]
	v_addc_co_u32_e32 v45, vcc, v10, v19, vcc
	v_add_co_u32_e32 v46, vcc, s22, v20
	v_lshlrev_b64 v[22:23], 4, v[24:25]
	v_addc_co_u32_e32 v47, vcc, v10, v21, vcc
	;; [unrolled: 3-line block ×7, first 2 shown]
	v_add_co_u32_e32 v58, vcc, s22, v8
	v_addc_co_u32_e32 v59, vcc, v10, v9, vcc
	global_load_dwordx4 v[6:9], v[46:47], off
	global_load_dwordx4 v[16:19], v[44:45], off
	;; [unrolled: 1-line block ×8, first 2 shown]
	s_waitcnt vmcnt(6)
	v_fmac_f64_e32 v[2:3], v[16:17], v[6:7]
	v_fmac_f64_e32 v[4:5], v[18:19], v[6:7]
	v_fmac_f64_e32 v[2:3], v[18:19], v[8:9]
	v_fma_f64 v[4:5], v[16:17], -v[8:9], v[4:5]
	s_waitcnt vmcnt(4)
	v_fmac_f64_e32 v[2:3], v[20:21], v[24:25]
	v_fmac_f64_e32 v[4:5], v[22:23], v[24:25]
	v_fmac_f64_e32 v[2:3], v[22:23], v[26:27]
	v_fma_f64 v[4:5], v[20:21], -v[26:27], v[4:5]
	;; [unrolled: 5-line block ×4, first 2 shown]
	s_cbranch_scc0 .LBB59_35
; %bb.36:                               ;   in Loop: Header=BB59_16 Depth=1
	s_and_b32 s30, s5, 3
	s_cmp_eq_u32 s30, 0
	s_cbranch_scc0 .LBB59_40
	s_branch .LBB59_42
.LBB59_37:                              ;   in Loop: Header=BB59_16 Depth=1
	s_mov_b64 s[26:27], -1
                                        ; implicit-def: $vgpr4_vgpr5
	s_branch .LBB59_42
.LBB59_38:                              ;   in Loop: Header=BB59_16 Depth=1
	v_pk_mov_b32 v[4:5], 0, 0
	v_pk_mov_b32 v[2:3], v[4:5], v[4:5] op_sel:[0,1]
	s_branch .LBB59_42
.LBB59_39:                              ;   in Loop: Header=BB59_16 Depth=1
	v_pk_mov_b32 v[2:3], 0, 0
	s_mov_b32 s28, 0
	v_pk_mov_b32 v[4:5], v[2:3], v[2:3] op_sel:[0,1]
	s_and_b32 s30, s5, 3
	s_cmp_eq_u32 s30, 0
	s_cbranch_scc1 .LBB59_42
.LBB59_40:                              ;   in Loop: Header=BB59_16 Depth=1
	s_lshl_b32 s28, s28, 2
.LBB59_41:                              ;   Parent Loop BB59_16 Depth=1
                                        ; =>  This Inner Loop Header: Depth=2
	v_mov_b32_e32 v6, s28
	ds_read2_b32 v[6:7], v6 offset1:32
	v_mov_b32_e32 v15, s23
	s_add_i32 s28, s28, 4
	s_add_i32 s30, s30, -1
	s_cmp_lg_u32 s30, 0
	s_waitcnt lgkmcnt(0)
	v_ashrrev_i32_e32 v9, 31, v6
	v_mov_b32_e32 v8, v6
	v_ashrrev_i32_e32 v17, 31, v7
	v_mov_b32_e32 v16, v7
	v_lshlrev_b64 v[6:7], 4, v[8:9]
	v_add_co_u32_e32 v20, vcc, s22, v6
	v_lshlrev_b64 v[8:9], 4, v[16:17]
	v_addc_co_u32_e32 v21, vcc, v15, v7, vcc
	v_add_co_u32_e32 v22, vcc, s22, v8
	v_addc_co_u32_e32 v23, vcc, v15, v9, vcc
	global_load_dwordx4 v[6:9], v[20:21], off
	global_load_dwordx4 v[16:19], v[22:23], off
	s_waitcnt vmcnt(0)
	v_fmac_f64_e32 v[2:3], v[6:7], v[16:17]
	v_fmac_f64_e32 v[4:5], v[8:9], v[16:17]
	;; [unrolled: 1-line block ×3, first 2 shown]
	v_fma_f64 v[4:5], v[6:7], -v[18:19], v[4:5]
	s_cbranch_scc1 .LBB59_41
.LBB59_42:                              ;   in Loop: Header=BB59_16 Depth=1
	s_andn2_b64 vcc, exec, s[26:27]
	s_cbranch_vccnz .LBB59_52
; %bb.43:                               ;   in Loop: Header=BB59_16 Depth=1
	s_and_b64 vcc, exec, s[2:3]
	s_cbranch_vccnz .LBB59_48
; %bb.44:                               ;   in Loop: Header=BB59_16 Depth=1
	s_add_i32 s2, s29, -2
	s_cmp_lt_u32 s2, 3
	s_cbranch_scc1 .LBB59_49
; %bb.45:                               ;   in Loop: Header=BB59_16 Depth=1
	v_pk_mov_b32 v[4:5], 0, 0
	s_and_b32 s2, s5, -4
	s_mov_b32 s3, 0
	s_mov_b32 s26, 0
	v_pk_mov_b32 v[2:3], v[4:5], v[4:5] op_sel:[0,1]
.LBB59_46:                              ;   Parent Loop BB59_16 Depth=1
                                        ; =>  This Inner Loop Header: Depth=2
	v_mov_b32_e32 v15, s3
	ds_read_b128 v[6:9], v15
	ds_read_b128 v[16:19], v15 offset:128
	v_mov_b32_e32 v30, s23
	s_add_i32 s26, s26, 4
	s_add_i32 s3, s3, 16
	s_waitcnt lgkmcnt(1)
	v_ashrrev_i32_e32 v21, 31, v6
	v_mov_b32_e32 v20, v6
	s_waitcnt lgkmcnt(0)
	v_ashrrev_i32_e32 v23, 31, v16
	v_mov_b32_e32 v22, v16
	v_ashrrev_i32_e32 v25, 31, v7
	v_mov_b32_e32 v24, v7
	;; [unrolled: 2-line block ×7, first 2 shown]
	v_lshlrev_b64 v[18:19], 4, v[20:21]
	v_add_co_u32_e32 v44, vcc, s22, v18
	v_lshlrev_b64 v[20:21], 4, v[22:23]
	v_addc_co_u32_e32 v45, vcc, v30, v19, vcc
	v_add_co_u32_e32 v46, vcc, s22, v20
	v_lshlrev_b64 v[22:23], 4, v[24:25]
	v_addc_co_u32_e32 v47, vcc, v30, v21, vcc
	v_add_co_u32_e32 v48, vcc, s22, v22
	v_lshlrev_b64 v[6:7], 4, v[6:7]
	v_addc_co_u32_e32 v49, vcc, v30, v23, vcc
	v_add_co_u32_e32 v50, vcc, s22, v6
	v_lshlrev_b64 v[16:17], 4, v[16:17]
	v_addc_co_u32_e32 v51, vcc, v30, v7, vcc
	v_add_co_u32_e32 v52, vcc, s22, v16
	v_lshlrev_b64 v[24:25], 4, v[26:27]
	v_addc_co_u32_e32 v53, vcc, v30, v17, vcc
	v_add_co_u32_e32 v54, vcc, s22, v24
	v_lshlrev_b64 v[26:27], 4, v[28:29]
	v_addc_co_u32_e32 v55, vcc, v30, v25, vcc
	v_add_co_u32_e32 v56, vcc, s22, v26
	v_lshlrev_b64 v[8:9], 4, v[8:9]
	v_addc_co_u32_e32 v57, vcc, v30, v27, vcc
	v_add_co_u32_e32 v58, vcc, s22, v8
	v_addc_co_u32_e32 v59, vcc, v30, v9, vcc
	global_load_dwordx4 v[6:9], v[46:47], off
	global_load_dwordx4 v[16:19], v[44:45], off
	global_load_dwordx4 v[20:23], v[48:49], off
	global_load_dwordx4 v[24:27], v[50:51], off
	global_load_dwordx4 v[28:31], v[54:55], off
	global_load_dwordx4 v[32:35], v[52:53], off
	global_load_dwordx4 v[36:39], v[56:57], off
	global_load_dwordx4 v[40:43], v[58:59], off
	s_cmp_lg_u32 s2, s26
	s_waitcnt vmcnt(6)
	v_fmac_f64_e32 v[2:3], v[16:17], v[6:7]
	v_fmac_f64_e32 v[4:5], v[18:19], v[6:7]
	v_fmac_f64_e32 v[2:3], v[18:19], v[8:9]
	v_fma_f64 v[4:5], v[16:17], -v[8:9], v[4:5]
	s_waitcnt vmcnt(4)
	v_fmac_f64_e32 v[2:3], v[20:21], v[24:25]
	v_fmac_f64_e32 v[4:5], v[22:23], v[24:25]
	v_fmac_f64_e32 v[2:3], v[22:23], v[26:27]
	v_fma_f64 v[4:5], v[20:21], -v[26:27], v[4:5]
	;; [unrolled: 5-line block ×4, first 2 shown]
	s_cbranch_scc1 .LBB59_46
; %bb.47:                               ;   in Loop: Header=BB59_16 Depth=1
	s_and_b32 s3, s5, 3
	s_cmp_eq_u32 s3, 0
	s_cbranch_scc0 .LBB59_50
	s_branch .LBB59_52
.LBB59_48:                              ;   in Loop: Header=BB59_16 Depth=1
	v_pk_mov_b32 v[4:5], 0, 0
	v_pk_mov_b32 v[2:3], v[4:5], v[4:5] op_sel:[0,1]
	s_branch .LBB59_52
.LBB59_49:                              ;   in Loop: Header=BB59_16 Depth=1
	v_pk_mov_b32 v[2:3], 0, 0
	s_mov_b32 s2, 0
	v_pk_mov_b32 v[4:5], v[2:3], v[2:3] op_sel:[0,1]
	s_and_b32 s3, s5, 3
	s_cmp_eq_u32 s3, 0
	s_cbranch_scc1 .LBB59_52
.LBB59_50:                              ;   in Loop: Header=BB59_16 Depth=1
	s_lshl_b32 s2, s2, 2
.LBB59_51:                              ;   Parent Loop BB59_16 Depth=1
                                        ; =>  This Inner Loop Header: Depth=2
	v_mov_b32_e32 v6, s2
	ds_read2_b32 v[6:7], v6 offset1:32
	v_mov_b32_e32 v15, s23
	s_add_i32 s2, s2, 4
	s_add_i32 s3, s3, -1
	s_cmp_eq_u32 s3, 0
	s_waitcnt lgkmcnt(0)
	v_ashrrev_i32_e32 v9, 31, v6
	v_mov_b32_e32 v8, v6
	v_ashrrev_i32_e32 v17, 31, v7
	v_mov_b32_e32 v16, v7
	v_lshlrev_b64 v[6:7], 4, v[8:9]
	v_add_co_u32_e32 v20, vcc, s22, v6
	v_lshlrev_b64 v[8:9], 4, v[16:17]
	v_addc_co_u32_e32 v21, vcc, v15, v7, vcc
	v_add_co_u32_e32 v22, vcc, s22, v8
	v_addc_co_u32_e32 v23, vcc, v15, v9, vcc
	global_load_dwordx4 v[6:9], v[20:21], off
	global_load_dwordx4 v[16:19], v[22:23], off
	s_waitcnt vmcnt(0)
	v_fmac_f64_e32 v[2:3], v[6:7], v[16:17]
	v_fmac_f64_e32 v[4:5], v[8:9], v[16:17]
	v_fmac_f64_e32 v[2:3], v[8:9], v[18:19]
	v_fma_f64 v[4:5], v[6:7], -v[18:19], v[4:5]
	s_cbranch_scc0 .LBB59_51
.LBB59_52:                              ;   in Loop: Header=BB59_16 Depth=1
	ds_write_b128 v11, v[2:5]
	s_waitcnt lgkmcnt(0)
	ds_read_b128 v[6:9], v0 offset:384
	ds_read_b128 v[2:5], v1
	s_waitcnt lgkmcnt(1)
	v_cmp_neq_f64_e32 vcc, 0, v[6:7]
	v_cmp_neq_f64_e64 s[2:3], 0, v[8:9]
	s_or_b64 s[2:3], vcc, s[2:3]
	s_andn2_b64 vcc, exec, s[2:3]
	s_cbranch_vccz .LBB59_56
; %bb.53:                               ;   in Loop: Header=BB59_16 Depth=1
	v_mbcnt_lo_u32_b32 v6, exec_lo, 0
	v_mbcnt_hi_u32_b32 v6, exec_hi, v6
	v_cmp_ne_u32_e32 vcc, 0, v6
	s_and_b64 s[2:3], vcc, exec
	s_cbranch_scc1 .LBB59_55
; %bb.54:                               ;   in Loop: Header=BB59_16 Depth=1
	v_mov_b32_e32 v6, s33
	global_atomic_smin v0, v6, s[14:15]
.LBB59_55:                              ;   in Loop: Header=BB59_16 Depth=1
	v_mov_b32_e32 v6, 0
	v_mov_b32_e32 v7, 0x3ff00000
	v_pk_mov_b32 v[8:9], 0, 0
	s_branch .LBB59_57
.LBB59_56:                              ;   in Loop: Header=BB59_16 Depth=1
	v_cndmask_b32_e64 v6, 0, v6, s[2:3]
	v_cndmask_b32_e64 v7, v14, v7, s[2:3]
	;; [unrolled: 1-line block ×4, first 2 shown]
.LBB59_57:                              ;   in Loop: Header=BB59_16 Depth=1
	v_mul_f64 v[20:21], v[8:9], v[8:9]
	v_fmac_f64_e32 v[20:21], v[6:7], v[6:7]
	ds_read_b128 v[16:19], v11
	v_div_scale_f64 v[22:23], s[2:3], v[20:21], v[20:21], 1.0
	v_rcp_f64_e32 v[24:25], v[22:23]
	s_add_i32 s4, s4, 1
	s_waitcnt lgkmcnt(0)
	v_add_f64 v[16:17], v[2:3], -v[16:17]
	v_add_f64 v[4:5], v[4:5], -v[18:19]
	v_fma_f64 v[2:3], -v[22:23], v[24:25], 1.0
	v_fmac_f64_e32 v[24:25], v[24:25], v[2:3]
	v_fma_f64 v[2:3], -v[22:23], v[24:25], 1.0
	v_fmac_f64_e32 v[24:25], v[24:25], v[2:3]
	v_div_scale_f64 v[2:3], vcc, 1.0, v[20:21], 1.0
	v_mul_f64 v[18:19], v[2:3], v[24:25]
	v_fma_f64 v[2:3], -v[22:23], v[18:19], v[2:3]
	s_cmp_ge_i32 s4, s20
	s_nop 0
	v_div_fmas_f64 v[2:3], v[2:3], v[24:25], v[18:19]
	v_div_fixup_f64 v[18:19], v[2:3], v[20:21], 1.0
	v_mul_f64 v[2:3], v[8:9], v[4:5]
	v_mul_f64 v[8:9], v[8:9], -v[16:17]
	v_fmac_f64_e32 v[2:3], v[16:17], v[6:7]
	v_fmac_f64_e32 v[8:9], v[4:5], v[6:7]
	v_mul_f64 v[2:3], v[18:19], v[2:3]
	v_mul_f64 v[4:5], v[18:19], v[8:9]
	ds_write_b128 v1, v[2:5]
	s_waitcnt lgkmcnt(0)
	ds_read_b128 v[6:9], v1
	ds_read_b128 v[16:19], v13
	s_cselect_b64 s[2:3], -1, 0
	s_waitcnt lgkmcnt(0)
	v_fmac_f64_e32 v[16:17], v[2:3], v[6:7]
	v_fmac_f64_e32 v[18:19], v[4:5], v[6:7]
	;; [unrolled: 1-line block ×3, first 2 shown]
	v_fma_f64 v[18:19], v[2:3], -v[8:9], v[18:19]
	ds_write_b128 v13, v[16:19]
	s_waitcnt lgkmcnt(0)
	ds_read2_b64 v[2:5], v1 offset1:1
	s_waitcnt lgkmcnt(0)
	global_store_dwordx4 v0, v[2:5], s[24:25]
	s_waitcnt vmcnt(0)
	buffer_wbinvl1_vol
	s_and_b64 vcc, exec, s[2:3]
	s_cbranch_vccz .LBB59_16
.LBB59_58:
	s_ashr_i32 s21, s20, 31
	s_lshl_b64 s[0:1], s[20:21], 4
	s_add_u32 s2, s22, s0
	s_addc_u32 s3, s23, s1
	global_load_dwordx4 v[2:5], v0, s[2:3]
	s_waitcnt vmcnt(0)
	ds_write_b128 v0, v[2:5] offset:448
	s_waitcnt lgkmcnt(0)
; %bb.59:
	v_mov_b32_e32 v4, 0
	ds_read_b128 v[0:3], v4 offset:448
	ds_read_b128 v[4:7], v4 offset:480
	s_waitcnt lgkmcnt(0)
	v_add_f64 v[0:1], v[0:1], -v[4:5]
	v_add_f64 v[4:5], v[2:3], -v[6:7]
	v_xor_b32_e32 v2, 0x80000000, v1
	v_cmp_gt_f64_e32 vcc, 0, v[0:1]
	v_cndmask_b32_e32 v1, v1, v2, vcc
	v_cndmask_b32_e32 v0, v0, v0, vcc
	v_xor_b32_e32 v2, 0x80000000, v5
	v_cmp_gt_f64_e32 vcc, 0, v[4:5]
	v_cndmask_b32_e32 v3, v5, v2, vcc
	v_cndmask_b32_e32 v2, v4, v4, vcc
	v_cmp_ngt_f64_e32 vcc, v[0:1], v[2:3]
	s_cbranch_vccz .LBB59_63
; %bb.60:
	v_cmp_eq_f64_e32 vcc, 0, v[4:5]
	s_mov_b64 s[0:1], 0
	s_cbranch_vccnz .LBB59_81
; %bb.61:
	v_div_scale_f64 v[4:5], s[4:5], v[2:3], v[2:3], v[0:1]
	v_rcp_f64_e32 v[6:7], v[4:5]
	v_div_scale_f64 v[8:9], vcc, v[0:1], v[2:3], v[0:1]
	s_mov_b32 s4, 0
	v_fma_f64 v[10:11], -v[4:5], v[6:7], 1.0
	v_fmac_f64_e32 v[6:7], v[6:7], v[10:11]
	v_fma_f64 v[10:11], -v[4:5], v[6:7], 1.0
	v_fmac_f64_e32 v[6:7], v[6:7], v[10:11]
	v_mul_f64 v[10:11], v[8:9], v[6:7]
	v_fma_f64 v[4:5], -v[4:5], v[10:11], v[8:9]
	v_div_fmas_f64 v[4:5], v[4:5], v[6:7], v[10:11]
	v_div_fixup_f64 v[4:5], v[4:5], v[2:3], v[0:1]
	v_fma_f64 v[4:5], v[4:5], v[4:5], 1.0
	s_brev_b32 s5, 8
	v_cmp_gt_f64_e32 vcc, s[4:5], v[4:5]
	v_cndmask_b32_e64 v6, 0, 1, vcc
	v_lshlrev_b32_e32 v6, 8, v6
	v_ldexp_f64 v[4:5], v[4:5], v6
	v_rsq_f64_e32 v[6:7], v[4:5]
	s_and_b64 s[4:5], vcc, exec
	s_cselect_b32 s4, 0xffffff80, 0
	v_mul_f64 v[8:9], v[4:5], v[6:7]
	v_mul_f64 v[6:7], v[6:7], 0.5
	v_fma_f64 v[10:11], -v[6:7], v[8:9], 0.5
	v_fmac_f64_e32 v[8:9], v[8:9], v[10:11]
	v_fma_f64 v[12:13], -v[8:9], v[8:9], v[4:5]
	v_fmac_f64_e32 v[6:7], v[6:7], v[10:11]
	v_fmac_f64_e32 v[8:9], v[12:13], v[6:7]
	v_fma_f64 v[10:11], -v[8:9], v[8:9], v[4:5]
	v_fmac_f64_e32 v[8:9], v[10:11], v[6:7]
	v_ldexp_f64 v[6:7], v[8:9], s4
	v_mov_b32_e32 v8, 0x260
	v_cmp_class_f64_e32 vcc, v[4:5], v8
	v_cndmask_b32_e32 v5, v7, v5, vcc
	v_cndmask_b32_e32 v4, v6, v4, vcc
	v_mul_f64 v[4:5], v[2:3], v[4:5]
	s_andn2_b64 vcc, exec, s[0:1]
	s_cbranch_vccz .LBB59_64
	s_branch .LBB59_65
.LBB59_62:
	s_mov_b64 s[0:1], 0
	s_cbranch_execnz .LBB59_74
	s_branch .LBB59_75
.LBB59_63:
                                        ; implicit-def: $vgpr4_vgpr5
.LBB59_64:
	v_div_scale_f64 v[4:5], s[0:1], v[0:1], v[0:1], v[2:3]
	v_rcp_f64_e32 v[6:7], v[4:5]
	v_div_scale_f64 v[8:9], vcc, v[2:3], v[0:1], v[2:3]
	s_mov_b32 s0, 0
	v_fma_f64 v[10:11], -v[4:5], v[6:7], 1.0
	v_fmac_f64_e32 v[6:7], v[6:7], v[10:11]
	v_fma_f64 v[10:11], -v[4:5], v[6:7], 1.0
	v_fmac_f64_e32 v[6:7], v[6:7], v[10:11]
	v_mul_f64 v[10:11], v[8:9], v[6:7]
	v_fma_f64 v[4:5], -v[4:5], v[10:11], v[8:9]
	v_div_fmas_f64 v[4:5], v[4:5], v[6:7], v[10:11]
	v_div_fixup_f64 v[2:3], v[4:5], v[0:1], v[2:3]
	v_fma_f64 v[2:3], v[2:3], v[2:3], 1.0
	s_brev_b32 s1, 8
	v_cmp_gt_f64_e32 vcc, s[0:1], v[2:3]
	v_cndmask_b32_e64 v4, 0, 1, vcc
	v_lshlrev_b32_e32 v4, 8, v4
	v_ldexp_f64 v[2:3], v[2:3], v4
	v_rsq_f64_e32 v[4:5], v[2:3]
	s_and_b64 s[0:1], vcc, exec
	s_cselect_b32 s0, 0xffffff80, 0
	v_mul_f64 v[6:7], v[2:3], v[4:5]
	v_mul_f64 v[4:5], v[4:5], 0.5
	v_fma_f64 v[8:9], -v[4:5], v[6:7], 0.5
	v_fmac_f64_e32 v[6:7], v[6:7], v[8:9]
	v_fma_f64 v[10:11], -v[6:7], v[6:7], v[2:3]
	v_fmac_f64_e32 v[4:5], v[4:5], v[8:9]
	v_fmac_f64_e32 v[6:7], v[10:11], v[4:5]
	v_fma_f64 v[8:9], -v[6:7], v[6:7], v[2:3]
	v_fmac_f64_e32 v[6:7], v[8:9], v[4:5]
	v_ldexp_f64 v[4:5], v[6:7], s0
	v_mov_b32_e32 v6, 0x260
	v_cmp_class_f64_e32 vcc, v[2:3], v6
	v_cndmask_b32_e32 v3, v5, v3, vcc
	v_cndmask_b32_e32 v2, v4, v2, vcc
	v_mul_f64 v[4:5], v[0:1], v[2:3]
.LBB59_65:
	s_mov_b32 s0, 0
	s_brev_b32 s1, 8
	v_cmp_gt_f64_e32 vcc, s[0:1], v[4:5]
	v_cndmask_b32_e64 v0, 0, 1, vcc
	v_lshlrev_b32_e32 v0, 8, v0
	v_ldexp_f64 v[0:1], v[4:5], v0
	v_rsq_f64_e32 v[2:3], v[0:1]
	s_and_b64 s[0:1], vcc, exec
	s_cselect_b32 s0, 0xffffff80, 0
	v_mul_f64 v[4:5], v[0:1], v[2:3]
	v_mul_f64 v[2:3], v[2:3], 0.5
	v_fma_f64 v[6:7], -v[2:3], v[4:5], 0.5
	v_fmac_f64_e32 v[4:5], v[4:5], v[6:7]
	v_fma_f64 v[8:9], -v[4:5], v[4:5], v[0:1]
	v_fmac_f64_e32 v[2:3], v[2:3], v[6:7]
	v_fmac_f64_e32 v[4:5], v[8:9], v[2:3]
	v_fma_f64 v[6:7], -v[4:5], v[4:5], v[0:1]
	v_fmac_f64_e32 v[4:5], v[6:7], v[2:3]
	v_ldexp_f64 v[2:3], v[4:5], s0
	v_mov_b32_e32 v4, 0x260
	v_cmp_class_f64_e32 vcc, v[0:1], v4
	v_cndmask_b32_e32 v0, v2, v0, vcc
	v_mov_b32_e32 v2, 0
	v_cndmask_b32_e32 v1, v3, v1, vcc
	v_mov_b32_e32 v3, v2
	ds_write_b128 v2, v[0:3] offset:448
; %bb.66:
	v_mov_b32_e32 v0, 0
	s_waitcnt lgkmcnt(0)
	ds_read_b128 v[0:3], v0 offset:448
	s_waitcnt lgkmcnt(0)
	v_cmp_eq_f64_e32 vcc, 0, v[0:1]
	v_cmp_eq_f64_e64 s[0:1], 0, v[2:3]
	s_and_b64 s[0:1], vcc, s[0:1]
	s_andn2_b64 vcc, exec, s[0:1]
	s_cbranch_vccnz .LBB59_71
; %bb.67:
; %bb.68:
	v_mbcnt_lo_u32_b32 v0, exec_lo, 0
	v_mbcnt_hi_u32_b32 v0, exec_hi, v0
	v_cmp_ne_u32_e32 vcc, 0, v0
	s_and_b64 s[0:1], vcc, exec
	s_cbranch_scc1 .LBB59_70
; %bb.69:
	s_add_i32 s0, s12, s13
	v_mov_b32_e32 v0, 0
	v_mov_b32_e32 v1, s0
	global_atomic_smin v0, v1, s[14:15]
.LBB59_70:
	v_mov_b32_e32 v0, 0
	v_mov_b32_e32 v1, 0x3ff00000
	v_pk_mov_b32 v[2:3], 0, 0
.LBB59_71:
	s_mov_b64 s[0:1], -1
	s_cbranch_execnz .LBB59_73
; %bb.72:
	v_mul_f64 v[12:13], v[2:3], v[2:3]
	v_mov_b32_e32 v18, 0
	v_fmac_f64_e32 v[12:13], v[0:1], v[0:1]
	ds_read_b128 v[4:7], v18 offset:448
	ds_read_b128 v[8:11], v18 offset:480
	v_div_scale_f64 v[14:15], s[4:5], v[12:13], v[12:13], 1.0
	v_rcp_f64_e32 v[16:17], v[14:15]
	s_waitcnt lgkmcnt(0)
	v_add_f64 v[8:9], v[4:5], -v[8:9]
	v_add_f64 v[6:7], v[6:7], -v[10:11]
	v_fma_f64 v[4:5], -v[14:15], v[16:17], 1.0
	v_fmac_f64_e32 v[16:17], v[16:17], v[4:5]
	v_fma_f64 v[4:5], -v[14:15], v[16:17], 1.0
	v_fmac_f64_e32 v[16:17], v[16:17], v[4:5]
	v_div_scale_f64 v[4:5], vcc, 1.0, v[12:13], 1.0
	v_mul_f64 v[10:11], v[4:5], v[16:17]
	v_fma_f64 v[4:5], -v[14:15], v[10:11], v[4:5]
	s_nop 1
	v_div_fmas_f64 v[4:5], v[4:5], v[16:17], v[10:11]
	v_div_fixup_f64 v[10:11], v[4:5], v[12:13], 1.0
	v_mul_f64 v[4:5], v[2:3], v[6:7]
	v_mul_f64 v[2:3], v[2:3], -v[8:9]
	v_fmac_f64_e32 v[4:5], v[8:9], v[0:1]
	v_fmac_f64_e32 v[2:3], v[6:7], v[0:1]
	v_mul_f64 v[4:5], v[10:11], v[4:5]
	v_mul_f64 v[6:7], v[10:11], v[2:3]
	ds_write_b128 v18, v[4:7] offset:448
	s_waitcnt lgkmcnt(0)
	v_mov_b32_e32 v12, 0x1e0
	ds_read_b128 v[0:3], v18 offset:448
	ds_read_b128 v[8:11], v12
	s_waitcnt lgkmcnt(0)
	v_fmac_f64_e32 v[8:9], v[4:5], v[0:1]
	v_fmac_f64_e32 v[10:11], v[6:7], v[0:1]
	;; [unrolled: 1-line block ×3, first 2 shown]
	v_fma_f64 v[10:11], v[4:5], -v[2:3], v[10:11]
	ds_write_b128 v12, v[8:11]
.LBB59_73:
	v_mov_b32_e32 v0, 0x1c0
	s_waitcnt lgkmcnt(0)
	ds_read2_b64 v[0:3], v0 offset1:1
	v_mov_b32_e32 v4, 0
	s_waitcnt lgkmcnt(0)
	global_store_dwordx4 v4, v[0:3], s[2:3]
	s_branch .LBB59_75
.LBB59_74:
	s_cbranch_execnz .LBB59_78
.LBB59_75:
	s_and_b64 vcc, exec, s[0:1]
	s_cbranch_vccz .LBB59_77
.LBB59_76:
	s_add_u32 s0, s10, s6
	s_addc_u32 s1, s11, s7
	v_mov_b32_e32 v0, 0
	v_mov_b32_e32 v1, 1
	s_waitcnt vmcnt(0)
	global_store_dword v0, v1, s[0:1]
.LBB59_77:
	s_endpgm
.LBB59_78:
	v_mbcnt_lo_u32_b32 v0, exec_lo, 0
	v_mbcnt_hi_u32_b32 v0, exec_hi, v0
	v_cmp_ne_u32_e32 vcc, 0, v0
	s_and_b64 s[0:1], vcc, exec
	s_cbranch_scc0 .LBB59_80
; %bb.79:
	s_cbranch_execnz .LBB59_76
	s_branch .LBB59_77
.LBB59_80:
	s_add_i32 s0, s12, s13
	v_mov_b32_e32 v0, 0
	v_mov_b32_e32 v1, s0
	global_atomic_smin v0, v1, s[14:15]
	s_cbranch_execnz .LBB59_76
	s_branch .LBB59_77
.LBB59_81:
	v_pk_mov_b32 v[4:5], 0, 0
	s_andn2_b64 vcc, exec, s[0:1]
	s_cbranch_vccz .LBB59_64
	s_branch .LBB59_65
	.section	.rodata,"a",@progbits
	.p2align	6, 0x0
	.amdhsa_kernel _ZN9rocsparseL26bsric0_2_8_unrolled_kernelILi1ELi32ELi1E21rocsparse_complex_numIdEEEv20rocsparse_direction_iiPKiS5_PT2_S5_PiS5_S8_21rocsparse_index_base_
		.amdhsa_group_segment_fixed_size 512
		.amdhsa_private_segment_fixed_size 0
		.amdhsa_kernarg_size 76
		.amdhsa_user_sgpr_count 6
		.amdhsa_user_sgpr_private_segment_buffer 1
		.amdhsa_user_sgpr_dispatch_ptr 0
		.amdhsa_user_sgpr_queue_ptr 0
		.amdhsa_user_sgpr_kernarg_segment_ptr 1
		.amdhsa_user_sgpr_dispatch_id 0
		.amdhsa_user_sgpr_flat_scratch_init 0
		.amdhsa_user_sgpr_kernarg_preload_length 0
		.amdhsa_user_sgpr_kernarg_preload_offset 0
		.amdhsa_user_sgpr_private_segment_size 0
		.amdhsa_uses_dynamic_stack 0
		.amdhsa_system_sgpr_private_segment_wavefront_offset 0
		.amdhsa_system_sgpr_workgroup_id_x 1
		.amdhsa_system_sgpr_workgroup_id_y 0
		.amdhsa_system_sgpr_workgroup_id_z 0
		.amdhsa_system_sgpr_workgroup_info 0
		.amdhsa_system_vgpr_workitem_id 0
		.amdhsa_next_free_vgpr 60
		.amdhsa_next_free_sgpr 39
		.amdhsa_accum_offset 60
		.amdhsa_reserve_vcc 1
		.amdhsa_reserve_flat_scratch 0
		.amdhsa_float_round_mode_32 0
		.amdhsa_float_round_mode_16_64 0
		.amdhsa_float_denorm_mode_32 3
		.amdhsa_float_denorm_mode_16_64 3
		.amdhsa_dx10_clamp 1
		.amdhsa_ieee_mode 1
		.amdhsa_fp16_overflow 0
		.amdhsa_tg_split 0
		.amdhsa_exception_fp_ieee_invalid_op 0
		.amdhsa_exception_fp_denorm_src 0
		.amdhsa_exception_fp_ieee_div_zero 0
		.amdhsa_exception_fp_ieee_overflow 0
		.amdhsa_exception_fp_ieee_underflow 0
		.amdhsa_exception_fp_ieee_inexact 0
		.amdhsa_exception_int_div_zero 0
	.end_amdhsa_kernel
	.section	.text._ZN9rocsparseL26bsric0_2_8_unrolled_kernelILi1ELi32ELi1E21rocsparse_complex_numIdEEEv20rocsparse_direction_iiPKiS5_PT2_S5_PiS5_S8_21rocsparse_index_base_,"axG",@progbits,_ZN9rocsparseL26bsric0_2_8_unrolled_kernelILi1ELi32ELi1E21rocsparse_complex_numIdEEEv20rocsparse_direction_iiPKiS5_PT2_S5_PiS5_S8_21rocsparse_index_base_,comdat
.Lfunc_end59:
	.size	_ZN9rocsparseL26bsric0_2_8_unrolled_kernelILi1ELi32ELi1E21rocsparse_complex_numIdEEEv20rocsparse_direction_iiPKiS5_PT2_S5_PiS5_S8_21rocsparse_index_base_, .Lfunc_end59-_ZN9rocsparseL26bsric0_2_8_unrolled_kernelILi1ELi32ELi1E21rocsparse_complex_numIdEEEv20rocsparse_direction_iiPKiS5_PT2_S5_PiS5_S8_21rocsparse_index_base_
                                        ; -- End function
	.section	.AMDGPU.csdata,"",@progbits
; Kernel info:
; codeLenInByte = 4520
; NumSgprs: 43
; NumVgprs: 60
; NumAgprs: 0
; TotalNumVgprs: 60
; ScratchSize: 0
; MemoryBound: 0
; FloatMode: 240
; IeeeMode: 1
; LDSByteSize: 512 bytes/workgroup (compile time only)
; SGPRBlocks: 5
; VGPRBlocks: 7
; NumSGPRsForWavesPerEU: 43
; NumVGPRsForWavesPerEU: 60
; AccumOffset: 60
; Occupancy: 8
; WaveLimiterHint : 1
; COMPUTE_PGM_RSRC2:SCRATCH_EN: 0
; COMPUTE_PGM_RSRC2:USER_SGPR: 6
; COMPUTE_PGM_RSRC2:TRAP_HANDLER: 0
; COMPUTE_PGM_RSRC2:TGID_X_EN: 1
; COMPUTE_PGM_RSRC2:TGID_Y_EN: 0
; COMPUTE_PGM_RSRC2:TGID_Z_EN: 0
; COMPUTE_PGM_RSRC2:TIDIG_COMP_CNT: 0
; COMPUTE_PGM_RSRC3_GFX90A:ACCUM_OFFSET: 14
; COMPUTE_PGM_RSRC3_GFX90A:TG_SPLIT: 0
	.section	.text._ZN9rocsparseL26bsric0_2_8_unrolled_kernelILi4ELi32ELi2E21rocsparse_complex_numIdEEEv20rocsparse_direction_iiPKiS5_PT2_S5_PiS5_S8_21rocsparse_index_base_,"axG",@progbits,_ZN9rocsparseL26bsric0_2_8_unrolled_kernelILi4ELi32ELi2E21rocsparse_complex_numIdEEEv20rocsparse_direction_iiPKiS5_PT2_S5_PiS5_S8_21rocsparse_index_base_,comdat
	.globl	_ZN9rocsparseL26bsric0_2_8_unrolled_kernelILi4ELi32ELi2E21rocsparse_complex_numIdEEEv20rocsparse_direction_iiPKiS5_PT2_S5_PiS5_S8_21rocsparse_index_base_ ; -- Begin function _ZN9rocsparseL26bsric0_2_8_unrolled_kernelILi4ELi32ELi2E21rocsparse_complex_numIdEEEv20rocsparse_direction_iiPKiS5_PT2_S5_PiS5_S8_21rocsparse_index_base_
	.p2align	8
	.type	_ZN9rocsparseL26bsric0_2_8_unrolled_kernelILi4ELi32ELi2E21rocsparse_complex_numIdEEEv20rocsparse_direction_iiPKiS5_PT2_S5_PiS5_S8_21rocsparse_index_base_,@function
_ZN9rocsparseL26bsric0_2_8_unrolled_kernelILi4ELi32ELi2E21rocsparse_complex_numIdEEEv20rocsparse_direction_iiPKiS5_PT2_S5_PiS5_S8_21rocsparse_index_base_: ; @_ZN9rocsparseL26bsric0_2_8_unrolled_kernelILi4ELi32ELi2E21rocsparse_complex_numIdEEEv20rocsparse_direction_iiPKiS5_PT2_S5_PiS5_S8_21rocsparse_index_base_
; %bb.0:
	s_load_dwordx8 s[8:15], s[4:5], 0x28
	s_mov_b32 s7, 0
	s_lshl_b64 s[0:1], s[6:7], 2
	v_and_b32_e32 v12, 0x3ff, v0
	v_bfe_u32 v13, v0, 10, 10
	s_waitcnt lgkmcnt(0)
	s_add_u32 s0, s12, s0
	s_addc_u32 s1, s13, s1
	s_load_dword s12, s[0:1], 0x0
	s_waitcnt lgkmcnt(0)
	s_ashr_i32 s13, s12, 31
	s_lshl_b64 s[6:7], s[12:13], 2
	s_add_u32 s0, s8, s6
	s_addc_u32 s1, s9, s7
	s_load_dword s30, s[0:1], 0x0
	s_load_dword s13, s[4:5], 0x48
	s_waitcnt lgkmcnt(0)
	s_cmp_lg_u32 s30, -1
	s_cbranch_scc0 .LBB60_16
; %bb.1:
	s_load_dwordx4 s[16:19], s[4:5], 0x10
	v_lshlrev_b32_e32 v17, 1, v13
	v_add_u32_e32 v16, v17, v12
	s_waitcnt lgkmcnt(0)
	s_add_u32 s0, s16, s6
	s_addc_u32 s1, s17, s7
	s_load_dword s24, s[0:1], 0x0
	s_waitcnt lgkmcnt(0)
	s_sub_i32 s31, s24, s13
	v_add_u32_e32 v0, s31, v16
	v_cmp_ge_i32_e32 vcc, s30, v0
	s_and_saveexec_b64 s[0:1], vcc
	s_cbranch_execz .LBB60_14
; %bb.2:
	v_add_u32_e32 v1, s24, v16
	v_subrev_u32_e32 v1, s13, v1
	v_add_u32_e32 v1, 4, v1
	s_add_i32 s2, s30, 1
	v_max_i32_e32 v1, s2, v1
	v_not_b32_e32 v2, v12
	v_add3_u32 v1, v1, s13, v2
	v_add_u32_e32 v2, s24, v17
	v_sub_u32_e32 v1, v1, v2
	v_cmp_lt_u32_e32 vcc, 3, v1
	s_mov_b64 s[20:21], -1
	s_and_saveexec_b64 s[2:3], vcc
	s_cbranch_execz .LBB60_11
; %bb.3:
	v_lshrrev_b32_e32 v14, 2, v1
	v_add_u32_e32 v2, -1, v14
	v_add_u32_e32 v1, 4, v0
	v_lshrrev_b32_e32 v3, 1, v2
	v_add_u32_e32 v15, 1, v3
	v_cmp_lt_u32_e32 vcc, 13, v2
	v_pk_mov_b32 v[2:3], v[0:1], v[0:1] op_sel:[0,1]
	s_and_saveexec_b64 s[20:21], vcc
	s_cbranch_execz .LBB60_7
; %bb.4:
	v_and_b32_e32 v18, -8, v15
	s_mov_b64 s[22:23], 0
	v_mov_b32_e32 v19, s19
	v_pk_mov_b32 v[2:3], v[0:1], v[0:1] op_sel:[0,1]
.LBB60_5:                               ; =>This Inner Loop Header: Depth=1
	v_ashrrev_i32_e32 v23, 31, v2
	v_mov_b32_e32 v22, v2
	v_lshlrev_b64 v[22:23], 2, v[22:23]
	v_ashrrev_i32_e32 v21, 31, v3
	v_mov_b32_e32 v20, v3
	v_add_co_u32_e32 v22, vcc, s18, v22
	v_add_u32_e32 v4, 8, v2
	v_lshlrev_b64 v[20:21], 2, v[20:21]
	v_addc_co_u32_e32 v23, vcc, v19, v23, vcc
	v_ashrrev_i32_e32 v5, 31, v4
	v_add_co_u32_e32 v20, vcc, s18, v20
	v_add_u32_e32 v6, 8, v3
	v_addc_co_u32_e32 v21, vcc, v19, v21, vcc
	v_lshlrev_b64 v[42:43], 2, v[4:5]
	v_ashrrev_i32_e32 v7, 31, v6
	v_add_co_u32_e32 v42, vcc, s18, v42
	v_add_u32_e32 v8, 16, v2
	v_lshlrev_b64 v[44:45], 2, v[6:7]
	v_addc_co_u32_e32 v43, vcc, v19, v43, vcc
	v_ashrrev_i32_e32 v9, 31, v8
	v_add_co_u32_e32 v44, vcc, s18, v44
	v_add_u32_e32 v10, 16, v3
	v_lshlrev_b64 v[46:47], 2, v[8:9]
	v_addc_co_u32_e32 v45, vcc, v19, v45, vcc
	;; [unrolled: 5-line block ×11, first 2 shown]
	v_ashrrev_i32_e32 v41, 31, v40
	v_add_co_u32_e32 v64, vcc, s18, v64
	v_addc_co_u32_e32 v65, vcc, v19, v65, vcc
	v_lshlrev_b64 v[66:67], 2, v[40:41]
	v_add_u32_e32 v68, 56, v3
	v_add_co_u32_e32 v66, vcc, s18, v66
	v_ashrrev_i32_e32 v69, 31, v68
	v_addc_co_u32_e32 v67, vcc, v19, v67, vcc
	v_lshlrev_b64 v[70:71], 2, v[68:69]
	v_add_co_u32_e32 v70, vcc, s18, v70
	v_addc_co_u32_e32 v71, vcc, v19, v71, vcc
	global_load_dword v1, v[20:21], off
	global_load_dword v5, v[22:23], off
	;; [unrolled: 1-line block ×15, first 2 shown]
                                        ; kill: killed $vgpr56 killed $vgpr57
                                        ; kill: killed $vgpr58 killed $vgpr59
                                        ; kill: killed $vgpr22 killed $vgpr23
                                        ; kill: killed $vgpr52 killed $vgpr53
                                        ; kill: killed $vgpr54 killed $vgpr55
                                        ; kill: killed $vgpr48 killed $vgpr49
                                        ; kill: killed $vgpr50 killed $vgpr51
                                        ; kill: killed $vgpr44 killed $vgpr45
                                        ; kill: killed $vgpr46 killed $vgpr47
                                        ; kill: killed $vgpr70 killed $vgpr71
                                        ; kill: killed $vgpr42 killed $vgpr43
                                        ; kill: killed $vgpr64 killed $vgpr65
                                        ; kill: killed $vgpr62 killed $vgpr63
                                        ; kill: killed $vgpr60 killed $vgpr61
                                        ; kill: killed $vgpr20 killed $vgpr21
	global_load_dword v20, v[66:67], off
	v_subrev_u32_e32 v22, s31, v2
	v_add_u32_e32 v18, -8, v18
	v_subrev_u32_e32 v21, s31, v3
	v_lshlrev_b32_e32 v22, 2, v22
	v_subrev_u32_e32 v4, s31, v4
	v_cmp_eq_u32_e32 vcc, 0, v18
	v_add_u32_e32 v3, 64, v3
	v_add_u32_e32 v2, 64, v2
	v_lshlrev_b32_e32 v21, 2, v21
	v_subrev_u32_e32 v6, s31, v6
	v_subrev_u32_e32 v10, s31, v10
	;; [unrolled: 1-line block ×13, first 2 shown]
	v_lshlrev_b32_e32 v4, 2, v4
	s_or_b64 s[22:23], vcc, s[22:23]
	v_lshlrev_b32_e32 v6, 2, v6
	v_lshlrev_b32_e32 v8, 2, v8
	;; [unrolled: 1-line block ×13, first 2 shown]
	s_waitcnt vmcnt(15)
	v_subrev_u32_e32 v1, s13, v1
	s_waitcnt vmcnt(14)
	v_subrev_u32_e32 v5, s13, v5
	ds_write_b32 v22, v5 offset:256
	ds_write_b32 v21, v1 offset:256
	s_waitcnt vmcnt(12)
	v_subrev_u32_e32 v5, s13, v9
	v_subrev_u32_e32 v1, s13, v7
	s_waitcnt vmcnt(11)
	v_subrev_u32_e32 v7, s13, v11
	s_waitcnt vmcnt(10)
	;; [unrolled: 2-line block ×12, first 2 shown]
	v_subrev_u32_e32 v20, s13, v20
	ds_write_b32 v4, v5 offset:256
	ds_write_b32 v6, v1 offset:256
	;; [unrolled: 1-line block ×14, first 2 shown]
	s_andn2_b64 exec, exec, s[22:23]
	s_cbranch_execnz .LBB60_5
; %bb.6:
	s_or_b64 exec, exec, s[22:23]
.LBB60_7:
	s_or_b64 exec, exec, s[20:21]
	v_and_b32_e32 v1, 7, v15
	v_cmp_ne_u32_e32 vcc, 0, v1
	s_and_saveexec_b64 s[20:21], vcc
	s_cbranch_execz .LBB60_10
; %bb.8:
	s_mov_b64 s[22:23], 0
	v_mov_b32_e32 v4, s19
.LBB60_9:                               ; =>This Inner Loop Header: Depth=1
	v_ashrrev_i32_e32 v9, 31, v2
	v_mov_b32_e32 v8, v2
	v_lshlrev_b64 v[8:9], 2, v[8:9]
	v_ashrrev_i32_e32 v7, 31, v3
	v_mov_b32_e32 v6, v3
	v_add_co_u32_e32 v8, vcc, s18, v8
	v_lshlrev_b64 v[6:7], 2, v[6:7]
	v_addc_co_u32_e32 v9, vcc, v4, v9, vcc
	v_add_co_u32_e32 v6, vcc, s18, v6
	v_addc_co_u32_e32 v7, vcc, v4, v7, vcc
	global_load_dword v5, v[6:7], off
	global_load_dword v10, v[8:9], off
	v_add_u32_e32 v1, -1, v1
	v_subrev_u32_e32 v7, s31, v2
	v_cmp_eq_u32_e32 vcc, 0, v1
	v_subrev_u32_e32 v6, s31, v3
	v_add_u32_e32 v3, 8, v3
	v_add_u32_e32 v2, 8, v2
	v_lshlrev_b32_e32 v7, 2, v7
	s_or_b64 s[22:23], vcc, s[22:23]
	v_lshlrev_b32_e32 v6, 2, v6
	s_waitcnt vmcnt(1)
	v_subrev_u32_e32 v5, s13, v5
	s_waitcnt vmcnt(0)
	v_subrev_u32_e32 v8, s13, v10
	ds_write_b32 v7, v8 offset:256
	ds_write_b32 v6, v5 offset:256
	s_andn2_b64 exec, exec, s[22:23]
	s_cbranch_execnz .LBB60_9
.LBB60_10:
	s_or_b64 exec, exec, s[20:21]
	v_add_u32_e32 v1, 1, v14
	v_and_b32_e32 v2, 0x7ffffffe, v1
	v_cmp_ne_u32_e32 vcc, v1, v2
	v_lshl_add_u32 v0, v2, 2, v0
	s_orn2_b64 s[20:21], vcc, exec
.LBB60_11:
	s_or_b64 exec, exec, s[2:3]
	s_and_b64 exec, exec, s[20:21]
	s_cbranch_execz .LBB60_14
; %bb.12:
	v_add_u32_e32 v1, s13, v0
	v_subrev_u32_e32 v1, s24, v1
	v_mov_b32_e32 v2, 0x100
	v_lshl_add_u32 v4, v1, 2, v2
	v_ashrrev_i32_e32 v1, 31, v0
	v_lshlrev_b64 v[2:3], 2, v[0:1]
	v_mov_b32_e32 v1, s19
	v_add_co_u32_e32 v2, vcc, s18, v2
	v_addc_co_u32_e32 v3, vcc, v1, v3, vcc
	s_mov_b64 s[2:3], 0
.LBB60_13:                              ; =>This Inner Loop Header: Depth=1
	global_load_dword v1, v[2:3], off
	v_add_co_u32_e32 v2, vcc, 16, v2
	v_add_u32_e32 v0, 4, v0
	v_addc_co_u32_e32 v3, vcc, 0, v3, vcc
	v_cmp_lt_i32_e32 vcc, s30, v0
	s_or_b64 s[2:3], vcc, s[2:3]
	s_waitcnt vmcnt(0)
	v_subrev_u32_e32 v1, s13, v1
	ds_write_b32 v4, v1
	v_add_u32_e32 v4, 16, v4
	s_andn2_b64 exec, exec, s[2:3]
	s_cbranch_execnz .LBB60_13
.LBB60_14:
	s_or_b64 exec, exec, s[0:1]
	s_load_dwordx2 s[20:21], s[4:5], 0x20
	v_lshlrev_b32_e32 v0, 4, v12
	v_mov_b32_e32 v2, 0
	v_mad_u32_u24 v18, v13, 48, v0
	v_mov_b32_e32 v3, v2
	v_mov_b32_e32 v4, v2
	;; [unrolled: 1-line block ×3, first 2 shown]
	s_cmp_lt_i32 s31, s30
	ds_write_b128 v18, v[2:5] offset:672
	s_waitcnt lgkmcnt(0)
	s_cbranch_scc1 .LBB60_17
; %bb.15:
	v_lshl_add_u32 v19, v12, 1, v13
	v_or_b32_e32 v14, v12, v13
	s_load_dword s33, s[4:5], 0x0
	v_add_u32_e32 v15, 0x2a0, v18
	s_cbranch_execz .LBB60_18
	s_branch .LBB60_63
.LBB60_16:
	s_mov_b64 s[0:1], 0
	s_cbranch_execnz .LBB60_92
	s_branch .LBB60_97
.LBB60_17:
                                        ; implicit-def: $vgpr19
                                        ; implicit-def: $vgpr14
	s_load_dword s33, s[4:5], 0x0
	v_add_u32_e32 v15, 0x2a0, v18
.LBB60_18:
	v_mul_u32_u24_e32 v2, 48, v13
	s_movk_i32 s0, 0x180
	s_waitcnt lgkmcnt(0)
	s_cmp_eq_u32 s33, 0
	v_lshlrev_b32_e32 v20, 1, v12
	v_mov_b32_e32 v1, 0x240
	v_add3_u32 v23, v2, v0, s0
	v_mov_b32_e32 v2, 0x1e0
	v_add_u32_e32 v19, v20, v13
	s_cselect_b64 vcc, -1, 0
	s_cmp_lg_u32 s33, 0
	v_mad_u32_u24 v21, v13, 48, v1
	v_mad_u32_u24 v26, v13, 48, v2
	v_or_b32_e32 v14, v12, v13
	s_cselect_b64 s[4:5], -1, 0
	v_add_u32_e32 v22, v21, v0
	v_add_u32_e32 v24, 2, v12
	;; [unrolled: 1-line block ×4, first 2 shown]
	v_cmp_ne_u32_e64 s[0:1], 0, v14
	v_mad_u32_u24 v28, v12, 48, v1
	v_cndmask_b32_e32 v29, v19, v16, vcc
	v_mov_b32_e32 v30, 0
	v_mov_b32_e32 v31, 0x3ff00000
	s_mov_b32 s22, s31
	s_branch .LBB60_22
.LBB60_19:                              ;   in Loop: Header=BB60_22 Depth=1
	s_or_b64 exec, exec, s[24:25]
	v_mov_b32_e32 v6, 0
	v_mov_b32_e32 v7, 0x3ff00000
	v_pk_mov_b32 v[8:9], 0, 0
.LBB60_20:                              ;   in Loop: Header=BB60_22 Depth=1
	s_or_b64 exec, exec, s[2:3]
	ds_read_b128 v[32:35], v30 offset:432
	ds_read_b128 v[36:39], v21
	ds_read_b128 v[40:43], v26 offset:16
	v_mul_f64 v[10:11], v[8:9], v[8:9]
	v_fmac_f64_e32 v[10:11], v[6:7], v[6:7]
	s_add_i32 s22, s22, 1
	s_cmp_ge_i32 s22, s30
	s_waitcnt lgkmcnt(0)
	v_fmac_f64_e32 v[42:43], v[34:35], v[36:37]
	v_fmac_f64_e32 v[40:41], v[32:33], v[36:37]
	v_div_scale_f64 v[36:37], s[2:3], v[10:11], v[10:11], 1.0
	v_fma_f64 v[32:33], v[32:33], -v[38:39], v[42:43]
	v_rcp_f64_e32 v[42:43], v[36:37]
	v_fmac_f64_e32 v[40:41], v[34:35], v[38:39]
	v_add_f64 v[34:35], v[0:1], -v[40:41]
	v_add_f64 v[2:3], v[2:3], -v[32:33]
	v_fma_f64 v[0:1], -v[36:37], v[42:43], 1.0
	v_fmac_f64_e32 v[42:43], v[42:43], v[0:1]
	v_fma_f64 v[0:1], -v[36:37], v[42:43], 1.0
	v_fmac_f64_e32 v[42:43], v[42:43], v[0:1]
	v_div_scale_f64 v[0:1], vcc, 1.0, v[10:11], 1.0
	v_mul_f64 v[32:33], v[0:1], v[42:43]
	v_fma_f64 v[0:1], -v[36:37], v[32:33], v[0:1]
	s_cselect_b64 s[26:27], -1, 0
	s_nop 0
	v_div_fmas_f64 v[0:1], v[0:1], v[42:43], v[32:33]
	v_div_fixup_f64 v[10:11], v[0:1], v[10:11], 1.0
	v_mul_f64 v[0:1], v[8:9], v[2:3]
	v_mul_f64 v[8:9], v[8:9], -v[34:35]
	v_fmac_f64_e32 v[0:1], v[34:35], v[6:7]
	v_fmac_f64_e32 v[8:9], v[2:3], v[6:7]
	v_mul_f64 v[0:1], v[10:11], v[0:1]
	v_mul_f64 v[2:3], v[10:11], v[8:9]
	ds_write_b128 v21, v[0:3] offset:16
	s_waitcnt lgkmcnt(0)
	ds_read_b128 v[6:9], v28 offset:16
	ds_read_b128 v[32:35], v15
	s_waitcnt lgkmcnt(0)
	v_fmac_f64_e32 v[32:33], v[0:1], v[6:7]
	v_fmac_f64_e32 v[34:35], v[2:3], v[6:7]
	;; [unrolled: 1-line block ×3, first 2 shown]
	v_fma_f64 v[34:35], v[0:1], -v[8:9], v[34:35]
	ds_write_b128 v15, v[32:35]
	s_waitcnt lgkmcnt(0)
	ds_read2_b64 v[0:3], v22 offset1:1
	s_waitcnt lgkmcnt(0)
	global_store_dwordx4 v[4:5], v[0:3], off
	s_waitcnt vmcnt(0)
	buffer_wbinvl1_vol
.LBB60_21:                              ;   in Loop: Header=BB60_22 Depth=1
	s_and_b64 vcc, exec, s[26:27]
	s_cbranch_vccnz .LBB60_63
.LBB60_22:                              ; =>This Loop Header: Depth=1
                                        ;     Child Loop BB60_25 Depth 2
                                        ;     Child Loop BB60_36 Depth 2
	;; [unrolled: 1-line block ×3, first 2 shown]
	s_ashr_i32 s23, s22, 31
	s_lshl_b64 s[2:3], s[22:23], 2
	s_add_u32 s2, s18, s2
	s_addc_u32 s3, s19, s3
	s_load_dword s23, s[2:3], 0x0
	s_waitcnt lgkmcnt(0)
	s_sub_i32 s24, s23, s13
	s_ashr_i32 s25, s24, 31
	s_lshl_b64 s[2:3], s[24:25], 2
	s_add_u32 s26, s8, s2
	s_addc_u32 s27, s9, s3
	s_load_dword s25, s[26:27], 0x0
	s_mov_b64 s[26:27], -1
	s_waitcnt lgkmcnt(0)
	s_cmp_eq_u32 s25, -1
	s_cbranch_scc1 .LBB60_21
; %bb.23:                               ;   in Loop: Header=BB60_22 Depth=1
	v_lshl_add_u32 v0, s22, 2, v29
	v_ashrrev_i32_e32 v1, 31, v0
	v_lshlrev_b64 v[0:1], 4, v[0:1]
	v_mov_b32_e32 v2, s21
	v_add_co_u32_e32 v4, vcc, s20, v0
	v_addc_co_u32_e32 v5, vcc, v2, v1, vcc
	global_load_dwordx4 v[0:3], v[4:5], off
	s_add_u32 s26, s16, s2
	s_addc_u32 s27, s17, s3
	s_load_dword s26, s[26:27], 0x0
	ds_read_b32 v6, v30 offset:256
	s_mov_b32 s27, 0
	s_waitcnt lgkmcnt(0)
	s_sub_i32 s26, s26, s13
	s_cmp_le_i32 s26, s25
	v_cmp_ge_i32_e32 vcc, s24, v6
	s_cselect_b64 s[28:29], -1, 0
	s_and_b64 s[28:29], s[28:29], vcc
	s_andn2_b64 vcc, exec, s[28:29]
	s_waitcnt vmcnt(0)
	ds_write2_b64 v22, v[0:1], v[2:3] offset1:1
	s_cbranch_vccnz .LBB60_35
; %bb.24:                               ;   in Loop: Header=BB60_22 Depth=1
	s_mov_b32 s34, 0
	s_mov_b32 s35, 0
.LBB60_25:                              ;   Parent Loop BB60_22 Depth=1
                                        ; =>  This Inner Loop Header: Depth=2
	s_ashr_i32 s27, s26, 31
	s_lshl_b64 s[28:29], s[26:27], 2
	s_add_u32 s28, s18, s28
	s_addc_u32 s29, s19, s29
	s_load_dword s27, s[28:29], 0x0
	s_lshl_b32 s28, s35, 2
	v_mov_b32_e32 v0, s28
	ds_read_b32 v0, v0 offset:256
	s_mov_b64 s[28:29], -1
	s_waitcnt lgkmcnt(0)
	s_sub_i32 s39, s27, s13
                                        ; implicit-def: $sgpr27
                                        ; implicit-def: $sgpr38
                                        ; implicit-def: $sgpr37
	v_cmp_ge_i32_e32 vcc, s39, v0
	v_readfirstlane_b32 s36, v0
	s_cbranch_vccz .LBB60_31
; %bb.26:                               ;   in Loop: Header=BB60_25 Depth=2
	s_cmp_le_i32 s39, s36
                                        ; implicit-def: $sgpr27
                                        ; implicit-def: $sgpr38
                                        ; implicit-def: $sgpr37
	s_cbranch_scc0 .LBB60_28
; %bb.27:                               ;   in Loop: Header=BB60_25 Depth=2
	s_add_i32 s27, s35, s31
	s_lshl_b32 s27, s27, 2
	s_lshl_b32 s28, s34, 2
	v_mov_b32_e32 v1, s27
	s_lshl_b32 s27, s26, 2
	v_mov_b32_e32 v0, s28
	v_mov_b32_e32 v2, s27
	ds_write2_b32 v0, v2, v1 offset1:32
	s_add_i32 s37, s35, 1
	s_add_i32 s38, s26, 1
	;; [unrolled: 1-line block ×3, first 2 shown]
	s_mov_b64 s[28:29], 0
.LBB60_28:                              ;   in Loop: Header=BB60_25 Depth=2
	s_andn2_b64 vcc, exec, s[28:29]
	s_cbranch_vccnz .LBB60_30
; %bb.29:                               ;   in Loop: Header=BB60_25 Depth=2
	s_add_i32 s37, s35, 1
	s_mov_b32 s27, s34
	s_mov_b32 s38, s26
.LBB60_30:                              ;   in Loop: Header=BB60_25 Depth=2
	s_mov_b64 s[28:29], 0
.LBB60_31:                              ;   in Loop: Header=BB60_25 Depth=2
	s_andn2_b64 vcc, exec, s[28:29]
	s_cbranch_vccnz .LBB60_33
; %bb.32:                               ;   in Loop: Header=BB60_25 Depth=2
	s_add_i32 s38, s26, 1
	s_mov_b32 s37, s35
	s_mov_b32 s27, s34
.LBB60_33:                              ;   in Loop: Header=BB60_25 Depth=2
	s_cmp_le_i32 s38, s25
	s_cselect_b64 s[28:29], -1, 0
	s_cmp_le_i32 s36, s24
	s_cselect_b64 s[34:35], -1, 0
	s_and_b64 s[28:29], s[28:29], s[34:35]
	s_and_b64 vcc, exec, s[28:29]
	s_cbranch_vccz .LBB60_35
; %bb.34:                               ;   in Loop: Header=BB60_25 Depth=2
	s_mov_b32 s34, s27
	s_mov_b32 s26, s38
	;; [unrolled: 1-line block ×3, first 2 shown]
	s_branch .LBB60_25
.LBB60_35:                              ;   in Loop: Header=BB60_22 Depth=1
	s_add_u32 s2, s10, s2
	s_addc_u32 s3, s11, s3
	s_waitcnt lgkmcnt(0)
.LBB60_36:                              ;   Parent Loop BB60_22 Depth=1
                                        ; =>  This Inner Loop Header: Depth=2
	global_load_dword v0, v30, s[2:3] glc
	s_waitcnt vmcnt(0)
	v_cmp_eq_u32_e32 vcc, 0, v0
	s_cbranch_vccnz .LBB60_36
; %bb.37:                               ;   in Loop: Header=BB60_22 Depth=1
	v_lshl_add_u32 v0, s25, 2, v29
	v_ashrrev_i32_e32 v1, 31, v0
	v_lshlrev_b64 v[0:1], 4, v[0:1]
	v_mov_b32_e32 v2, s21
	v_add_co_u32_e32 v0, vcc, s20, v0
	v_addc_co_u32_e32 v1, vcc, v2, v1, vcc
	buffer_wbinvl1_vol
	global_load_dwordx4 v[6:9], v[0:1], off
	v_pk_mov_b32 v[2:3], 0, 0
	s_cmp_lt_i32 s27, 2
	v_pk_mov_b32 v[0:1], v[2:3], v[2:3] op_sel:[0,1]
	s_waitcnt vmcnt(0)
	ds_write2_b64 v23, v[6:7], v[8:9] offset1:1
	s_waitcnt lgkmcnt(0)
	s_cbranch_scc1 .LBB60_56
; %bb.38:                               ;   in Loop: Header=BB60_22 Depth=1
	s_add_i32 s24, s27, -1
	s_cmp_eq_u32 s27, 2
	v_pk_mov_b32 v[0:1], 0, 0
	s_cbranch_scc1 .LBB60_49
; %bb.39:                               ;   in Loop: Header=BB60_22 Depth=1
	v_pk_mov_b32 v[2:3], 0, 0
	s_and_b32 s25, s24, -2
	s_mov_b32 s26, 0
	s_mov_b32 s27, 0
	v_pk_mov_b32 v[0:1], v[2:3], v[2:3] op_sel:[0,1]
	s_branch .LBB60_41
.LBB60_40:                              ;   in Loop: Header=BB60_41 Depth=2
	s_add_i32 s27, s27, 2
	s_add_i32 s26, s26, 8
	s_cmp_eq_u32 s25, s27
	s_cbranch_scc1 .LBB60_50
.LBB60_41:                              ;   Parent Loop BB60_22 Depth=1
                                        ; =>  This Inner Loop Header: Depth=2
	v_mov_b32_e32 v6, s26
	s_waitcnt lgkmcnt(0)
	ds_read2_b32 v[10:11], v6 offset1:32
	s_and_b64 vcc, exec, s[4:5]
	s_cbranch_vccz .LBB60_43
; %bb.42:                               ;   in Loop: Header=BB60_41 Depth=2
	s_waitcnt lgkmcnt(0)
	v_add_u32_e32 v6, v10, v12
	v_ashrrev_i32_e32 v7, 31, v6
	v_lshlrev_b64 v[6:7], 4, v[6:7]
	v_add_u32_e32 v8, v11, v13
	v_mov_b32_e32 v40, s21
	v_add_co_u32_e32 v6, vcc, s20, v6
	v_ashrrev_i32_e32 v9, 31, v8
	v_addc_co_u32_e32 v7, vcc, v40, v7, vcc
	v_lshlrev_b64 v[8:9], 4, v[8:9]
	v_add_co_u32_e32 v8, vcc, s20, v8
	v_addc_co_u32_e32 v9, vcc, v40, v9, vcc
	global_load_dwordx4 v[32:35], v[6:7], off
	global_load_dwordx4 v[36:39], v[8:9], off
	v_add_u32_e32 v6, v24, v10
	v_ashrrev_i32_e32 v7, 31, v6
	v_lshlrev_b64 v[6:7], 4, v[6:7]
	v_add_u32_e32 v8, v25, v11
	v_add_co_u32_e32 v6, vcc, s20, v6
	v_ashrrev_i32_e32 v9, 31, v8
	v_addc_co_u32_e32 v7, vcc, v40, v7, vcc
	v_lshlrev_b64 v[8:9], 4, v[8:9]
	v_add_co_u32_e32 v8, vcc, s20, v8
	v_addc_co_u32_e32 v9, vcc, v40, v9, vcc
	global_load_dwordx4 v[40:43], v[6:7], off
	global_load_dwordx4 v[44:47], v[8:9], off
	s_waitcnt vmcnt(2)
	v_fma_f64 v[6:7], v[32:33], v[36:37], v[0:1]
	v_fma_f64 v[8:9], v[34:35], v[36:37], v[2:3]
	v_fmac_f64_e32 v[6:7], v[34:35], v[38:39]
	v_fma_f64 v[8:9], v[32:33], -v[38:39], v[8:9]
	s_waitcnt vmcnt(0)
	v_fmac_f64_e32 v[6:7], v[40:41], v[44:45]
	v_fmac_f64_e32 v[8:9], v[42:43], v[44:45]
	;; [unrolled: 1-line block ×3, first 2 shown]
	v_fma_f64 v[8:9], v[40:41], -v[46:47], v[8:9]
	s_cbranch_execz .LBB60_44
	s_branch .LBB60_45
.LBB60_43:                              ;   in Loop: Header=BB60_41 Depth=2
                                        ; implicit-def: $vgpr8_vgpr9
                                        ; implicit-def: $vgpr6_vgpr7
.LBB60_44:                              ;   in Loop: Header=BB60_41 Depth=2
	s_waitcnt lgkmcnt(0)
	v_add_u32_e32 v6, v10, v20
	v_ashrrev_i32_e32 v7, 31, v6
	v_lshlrev_b64 v[6:7], 4, v[6:7]
	v_add_u32_e32 v10, v11, v17
	v_mov_b32_e32 v32, s21
	v_add_co_u32_e32 v44, vcc, s20, v6
	v_ashrrev_i32_e32 v11, 31, v10
	v_addc_co_u32_e32 v45, vcc, v32, v7, vcc
	v_lshlrev_b64 v[10:11], 4, v[10:11]
	global_load_dwordx4 v[6:9], v[44:45], off
	v_add_co_u32_e32 v10, vcc, s20, v10
	v_addc_co_u32_e32 v11, vcc, v32, v11, vcc
	global_load_dwordx4 v[32:35], v[10:11], off
	global_load_dwordx4 v[36:39], v[44:45], off offset:16
	global_load_dwordx4 v[40:43], v[10:11], off offset:16
	s_waitcnt vmcnt(2)
	v_fmac_f64_e32 v[0:1], v[6:7], v[32:33]
	v_fmac_f64_e32 v[2:3], v[8:9], v[32:33]
	;; [unrolled: 1-line block ×3, first 2 shown]
	v_fma_f64 v[2:3], v[6:7], -v[34:35], v[2:3]
	s_waitcnt vmcnt(0)
	v_fmac_f64_e32 v[0:1], v[36:37], v[40:41]
	v_fmac_f64_e32 v[2:3], v[38:39], v[40:41]
	;; [unrolled: 1-line block ×3, first 2 shown]
	v_fma_f64 v[8:9], v[36:37], -v[42:43], v[2:3]
	v_pk_mov_b32 v[6:7], v[0:1], v[0:1] op_sel:[0,1]
.LBB60_45:                              ;   in Loop: Header=BB60_41 Depth=2
	v_mov_b32_e32 v0, s26
	s_waitcnt lgkmcnt(0)
	ds_read2_b32 v[10:11], v0 offset0:1 offset1:33
	s_andn2_b64 vcc, exec, s[4:5]
	s_cbranch_vccnz .LBB60_47
; %bb.46:                               ;   in Loop: Header=BB60_41 Depth=2
	s_waitcnt lgkmcnt(0)
	v_add_u32_e32 v0, v10, v12
	v_ashrrev_i32_e32 v1, 31, v0
	v_lshlrev_b64 v[0:1], 4, v[0:1]
	v_add_u32_e32 v2, v11, v13
	v_mov_b32_e32 v40, s21
	v_add_co_u32_e32 v0, vcc, s20, v0
	v_ashrrev_i32_e32 v3, 31, v2
	v_addc_co_u32_e32 v1, vcc, v40, v1, vcc
	v_lshlrev_b64 v[2:3], 4, v[2:3]
	v_add_co_u32_e32 v2, vcc, s20, v2
	v_addc_co_u32_e32 v3, vcc, v40, v3, vcc
	global_load_dwordx4 v[32:35], v[0:1], off
	global_load_dwordx4 v[36:39], v[2:3], off
	v_add_u32_e32 v0, v24, v10
	v_ashrrev_i32_e32 v1, 31, v0
	v_lshlrev_b64 v[0:1], 4, v[0:1]
	v_add_u32_e32 v2, v25, v11
	v_add_co_u32_e32 v0, vcc, s20, v0
	v_ashrrev_i32_e32 v3, 31, v2
	v_addc_co_u32_e32 v1, vcc, v40, v1, vcc
	v_lshlrev_b64 v[2:3], 4, v[2:3]
	v_add_co_u32_e32 v2, vcc, s20, v2
	v_addc_co_u32_e32 v3, vcc, v40, v3, vcc
	global_load_dwordx4 v[40:43], v[0:1], off
	global_load_dwordx4 v[44:47], v[2:3], off
	s_waitcnt vmcnt(2)
	v_fma_f64 v[0:1], v[32:33], v[36:37], v[6:7]
	v_fma_f64 v[2:3], v[34:35], v[36:37], v[8:9]
	v_fmac_f64_e32 v[0:1], v[34:35], v[38:39]
	v_fma_f64 v[2:3], v[32:33], -v[38:39], v[2:3]
	s_waitcnt vmcnt(0)
	v_fmac_f64_e32 v[0:1], v[40:41], v[44:45]
	v_fmac_f64_e32 v[2:3], v[42:43], v[44:45]
	;; [unrolled: 1-line block ×3, first 2 shown]
	v_fma_f64 v[2:3], v[40:41], -v[46:47], v[2:3]
	s_cbranch_execnz .LBB60_40
	s_branch .LBB60_48
.LBB60_47:                              ;   in Loop: Header=BB60_41 Depth=2
                                        ; implicit-def: $vgpr2_vgpr3
.LBB60_48:                              ;   in Loop: Header=BB60_41 Depth=2
	s_waitcnt lgkmcnt(0)
	v_add_u32_e32 v0, v10, v20
	v_ashrrev_i32_e32 v1, 31, v0
	v_lshlrev_b64 v[0:1], 4, v[0:1]
	v_add_u32_e32 v10, v11, v17
	v_mov_b32_e32 v32, s21
	v_add_co_u32_e32 v44, vcc, s20, v0
	v_ashrrev_i32_e32 v11, 31, v10
	v_addc_co_u32_e32 v45, vcc, v32, v1, vcc
	v_lshlrev_b64 v[10:11], 4, v[10:11]
	global_load_dwordx4 v[0:3], v[44:45], off
	v_add_co_u32_e32 v10, vcc, s20, v10
	v_addc_co_u32_e32 v11, vcc, v32, v11, vcc
	global_load_dwordx4 v[32:35], v[10:11], off
	global_load_dwordx4 v[36:39], v[44:45], off offset:16
	global_load_dwordx4 v[40:43], v[10:11], off offset:16
	s_waitcnt vmcnt(2)
	v_fmac_f64_e32 v[6:7], v[0:1], v[32:33]
	v_fmac_f64_e32 v[8:9], v[2:3], v[32:33]
	;; [unrolled: 1-line block ×3, first 2 shown]
	v_fma_f64 v[0:1], v[0:1], -v[34:35], v[8:9]
	s_waitcnt vmcnt(0)
	v_fmac_f64_e32 v[6:7], v[36:37], v[40:41]
	v_fmac_f64_e32 v[0:1], v[38:39], v[40:41]
	;; [unrolled: 1-line block ×3, first 2 shown]
	v_fma_f64 v[2:3], v[36:37], -v[42:43], v[0:1]
	v_pk_mov_b32 v[0:1], v[6:7], v[6:7] op_sel:[0,1]
	s_branch .LBB60_40
.LBB60_49:                              ;   in Loop: Header=BB60_22 Depth=1
	s_mov_b32 s25, 0
	v_pk_mov_b32 v[2:3], v[0:1], v[0:1] op_sel:[0,1]
.LBB60_50:                              ;   in Loop: Header=BB60_22 Depth=1
	s_bitcmp0_b32 s24, 0
	s_cbranch_scc1 .LBB60_56
; %bb.51:                               ;   in Loop: Header=BB60_22 Depth=1
	s_lshl_b32 s2, s25, 2
	v_mov_b32_e32 v6, s2
	ds_read2_b32 v[6:7], v6 offset1:32
	s_andn2_b64 vcc, exec, s[4:5]
	s_cbranch_vccnz .LBB60_53
; %bb.52:                               ;   in Loop: Header=BB60_22 Depth=1
	s_waitcnt lgkmcnt(0)
	v_add_u32_e32 v8, v6, v12
	v_ashrrev_i32_e32 v9, 31, v8
	v_lshlrev_b64 v[8:9], 4, v[8:9]
	v_add_u32_e32 v10, v7, v13
	v_mov_b32_e32 v40, s21
	v_add_co_u32_e32 v8, vcc, s20, v8
	v_ashrrev_i32_e32 v11, 31, v10
	v_addc_co_u32_e32 v9, vcc, v40, v9, vcc
	v_lshlrev_b64 v[10:11], 4, v[10:11]
	v_add_co_u32_e32 v10, vcc, s20, v10
	v_addc_co_u32_e32 v11, vcc, v40, v11, vcc
	global_load_dwordx4 v[32:35], v[8:9], off
	global_load_dwordx4 v[36:39], v[10:11], off
	v_add_u32_e32 v8, v24, v6
	v_ashrrev_i32_e32 v9, 31, v8
	v_lshlrev_b64 v[8:9], 4, v[8:9]
	v_add_u32_e32 v10, v25, v7
	v_add_co_u32_e32 v8, vcc, s20, v8
	v_ashrrev_i32_e32 v11, 31, v10
	v_addc_co_u32_e32 v9, vcc, v40, v9, vcc
	v_lshlrev_b64 v[10:11], 4, v[10:11]
	v_add_co_u32_e32 v10, vcc, s20, v10
	v_addc_co_u32_e32 v11, vcc, v40, v11, vcc
	global_load_dwordx4 v[40:43], v[8:9], off
	global_load_dwordx4 v[44:47], v[10:11], off
	s_waitcnt vmcnt(2)
	v_fma_f64 v[8:9], v[32:33], v[36:37], v[0:1]
	v_fma_f64 v[10:11], v[34:35], v[36:37], v[2:3]
	v_fmac_f64_e32 v[8:9], v[34:35], v[38:39]
	v_fma_f64 v[10:11], v[32:33], -v[38:39], v[10:11]
	s_waitcnt vmcnt(0)
	v_fmac_f64_e32 v[8:9], v[40:41], v[44:45]
	v_fmac_f64_e32 v[10:11], v[42:43], v[44:45]
	;; [unrolled: 1-line block ×3, first 2 shown]
	v_fma_f64 v[10:11], v[40:41], -v[46:47], v[10:11]
	s_cbranch_execz .LBB60_54
	s_branch .LBB60_55
.LBB60_53:                              ;   in Loop: Header=BB60_22 Depth=1
                                        ; implicit-def: $vgpr10_vgpr11
                                        ; implicit-def: $vgpr8_vgpr9
.LBB60_54:                              ;   in Loop: Header=BB60_22 Depth=1
	s_waitcnt lgkmcnt(0)
	v_add_u32_e32 v8, v6, v20
	v_ashrrev_i32_e32 v9, 31, v8
	v_lshlrev_b64 v[8:9], 4, v[8:9]
	v_add_u32_e32 v6, v7, v17
	v_mov_b32_e32 v32, s21
	v_add_co_u32_e32 v44, vcc, s20, v8
	v_ashrrev_i32_e32 v7, 31, v6
	v_addc_co_u32_e32 v45, vcc, v32, v9, vcc
	v_lshlrev_b64 v[6:7], 4, v[6:7]
	global_load_dwordx4 v[8:11], v[44:45], off
	v_add_co_u32_e32 v6, vcc, s20, v6
	v_addc_co_u32_e32 v7, vcc, v32, v7, vcc
	global_load_dwordx4 v[32:35], v[6:7], off
	global_load_dwordx4 v[36:39], v[44:45], off offset:16
	global_load_dwordx4 v[40:43], v[6:7], off offset:16
	s_waitcnt vmcnt(2)
	v_fmac_f64_e32 v[0:1], v[8:9], v[32:33]
	v_fmac_f64_e32 v[2:3], v[10:11], v[32:33]
	;; [unrolled: 1-line block ×3, first 2 shown]
	v_fma_f64 v[2:3], v[8:9], -v[34:35], v[2:3]
	s_waitcnt vmcnt(0)
	v_fmac_f64_e32 v[0:1], v[36:37], v[40:41]
	v_fmac_f64_e32 v[2:3], v[38:39], v[40:41]
	;; [unrolled: 1-line block ×3, first 2 shown]
	v_fma_f64 v[10:11], v[36:37], -v[42:43], v[2:3]
	v_pk_mov_b32 v[8:9], v[0:1], v[0:1] op_sel:[0,1]
.LBB60_55:                              ;   in Loop: Header=BB60_22 Depth=1
	s_waitcnt lgkmcnt(1)
	v_pk_mov_b32 v[2:3], v[10:11], v[10:11] op_sel:[0,1]
	v_pk_mov_b32 v[0:1], v[8:9], v[8:9] op_sel:[0,1]
.LBB60_56:                              ;   in Loop: Header=BB60_22 Depth=1
	ds_write_b128 v27, v[0:3]
	s_waitcnt lgkmcnt(0)
	ds_read_b128 v[6:9], v30 offset:384
	ds_read_b128 v[0:3], v21
	s_waitcnt lgkmcnt(1)
	v_cmp_neq_f64_e32 vcc, 0, v[6:7]
	v_cmp_neq_f64_e64 s[2:3], 0, v[8:9]
	s_or_b64 vcc, vcc, s[2:3]
	s_or_b64 s[2:3], vcc, s[0:1]
	v_cndmask_b32_e32 v7, v31, v7, vcc
	s_xor_b64 s[24:25], s[2:3], -1
	v_cndmask_b32_e32 v6, 0, v6, vcc
	v_cndmask_b32_e32 v9, 0, v9, vcc
	;; [unrolled: 1-line block ×3, first 2 shown]
	s_and_saveexec_b64 s[2:3], s[24:25]
	s_cbranch_execz .LBB60_60
; %bb.57:                               ;   in Loop: Header=BB60_22 Depth=1
	v_mbcnt_lo_u32_b32 v6, exec_lo, 0
	v_mbcnt_hi_u32_b32 v6, exec_hi, v6
	v_cmp_eq_u32_e32 vcc, 0, v6
	s_and_saveexec_b64 s[24:25], vcc
	s_cbranch_execz .LBB60_59
; %bb.58:                               ;   in Loop: Header=BB60_22 Depth=1
	v_mov_b32_e32 v6, s23
	global_atomic_smin v30, v6, s[14:15]
.LBB60_59:                              ;   in Loop: Header=BB60_22 Depth=1
	s_or_b64 exec, exec, s[24:25]
	v_mov_b32_e32 v6, 0
	v_mov_b32_e32 v7, 0x3ff00000
	v_pk_mov_b32 v[8:9], 0, 0
.LBB60_60:                              ;   in Loop: Header=BB60_22 Depth=1
	s_or_b64 exec, exec, s[2:3]
	v_mul_f64 v[10:11], v[8:9], v[8:9]
	v_fmac_f64_e32 v[10:11], v[6:7], v[6:7]
	ds_read_b128 v[32:35], v26
	v_div_scale_f64 v[36:37], s[2:3], v[10:11], v[10:11], 1.0
	v_rcp_f64_e32 v[38:39], v[36:37]
	s_waitcnt lgkmcnt(0)
	v_add_f64 v[32:33], v[0:1], -v[32:33]
	v_add_f64 v[2:3], v[2:3], -v[34:35]
	v_fma_f64 v[0:1], -v[36:37], v[38:39], 1.0
	v_fmac_f64_e32 v[38:39], v[38:39], v[0:1]
	v_fma_f64 v[0:1], -v[36:37], v[38:39], 1.0
	v_fmac_f64_e32 v[38:39], v[38:39], v[0:1]
	v_div_scale_f64 v[0:1], vcc, 1.0, v[10:11], 1.0
	v_mul_f64 v[34:35], v[0:1], v[38:39]
	v_fma_f64 v[0:1], -v[36:37], v[34:35], v[0:1]
	s_nop 1
	v_div_fmas_f64 v[0:1], v[0:1], v[38:39], v[34:35]
	v_div_fixup_f64 v[10:11], v[0:1], v[10:11], 1.0
	v_mul_f64 v[0:1], v[8:9], v[2:3]
	v_mul_f64 v[8:9], v[8:9], -v[32:33]
	v_fmac_f64_e32 v[0:1], v[32:33], v[6:7]
	v_fmac_f64_e32 v[8:9], v[2:3], v[6:7]
	v_mul_f64 v[0:1], v[10:11], v[0:1]
	v_mul_f64 v[2:3], v[10:11], v[8:9]
	ds_write_b128 v21, v[0:3]
	s_waitcnt lgkmcnt(0)
	ds_read_b128 v[6:9], v28
	ds_read_b128 v[32:35], v15
	s_waitcnt lgkmcnt(0)
	v_fmac_f64_e32 v[32:33], v[0:1], v[6:7]
	v_fmac_f64_e32 v[34:35], v[2:3], v[6:7]
	;; [unrolled: 1-line block ×3, first 2 shown]
	v_fma_f64 v[34:35], v[0:1], -v[8:9], v[34:35]
	ds_write_b128 v15, v[32:35]
	s_waitcnt lgkmcnt(0)
	ds_read_b128 v[6:9], v30 offset:448
	ds_read_b128 v[0:3], v21 offset:16
	s_waitcnt lgkmcnt(1)
	v_cmp_neq_f64_e32 vcc, 0, v[6:7]
	v_cmp_neq_f64_e64 s[2:3], 0, v[8:9]
	s_or_b64 vcc, vcc, s[2:3]
	s_or_b64 s[2:3], vcc, s[0:1]
	v_cndmask_b32_e32 v7, v31, v7, vcc
	s_xor_b64 s[24:25], s[2:3], -1
	v_cndmask_b32_e32 v6, 0, v6, vcc
	v_cndmask_b32_e32 v9, 0, v9, vcc
	;; [unrolled: 1-line block ×3, first 2 shown]
	s_and_saveexec_b64 s[2:3], s[24:25]
	s_cbranch_execz .LBB60_20
; %bb.61:                               ;   in Loop: Header=BB60_22 Depth=1
	v_mbcnt_lo_u32_b32 v6, exec_lo, 0
	v_mbcnt_hi_u32_b32 v6, exec_hi, v6
	v_cmp_eq_u32_e32 vcc, 0, v6
	s_and_saveexec_b64 s[24:25], vcc
	s_cbranch_execz .LBB60_19
; %bb.62:                               ;   in Loop: Header=BB60_22 Depth=1
	v_mov_b32_e32 v6, s23
	global_atomic_smin v30, v6, s[14:15]
	s_branch .LBB60_19
.LBB60_63:
	s_waitcnt lgkmcnt(0)
	s_cmp_eq_u32 s33, 0
	s_cselect_b64 vcc, -1, 0
	v_cndmask_b32_e32 v0, v19, v16, vcc
	v_lshl_add_u32 v0, s30, 2, v0
	v_ashrrev_i32_e32 v1, 31, v0
	v_lshlrev_b64 v[0:1], 4, v[0:1]
	v_mov_b32_e32 v2, s21
	v_add_co_u32_e32 v0, vcc, s20, v0
	v_addc_co_u32_e32 v1, vcc, v2, v1, vcc
	global_load_dwordx4 v[2:5], v[0:1], off
	v_cmp_ne_u32_e64 s[2:3], 0, v13
	v_cmp_eq_u32_e32 vcc, 0, v13
	s_waitcnt vmcnt(0)
	ds_write2_b64 v18, v[2:3], v[4:5] offset0:72 offset1:73
	s_waitcnt lgkmcnt(0)
	s_and_saveexec_b64 s[0:1], vcc
	s_cbranch_execz .LBB60_71
; %bb.64:
	v_mov_b32_e32 v6, 0
	ds_read_b128 v[2:5], v6 offset:672
	ds_read_b128 v[6:9], v6 offset:576
	s_waitcnt lgkmcnt(0)
	v_add_f64 v[2:3], v[6:7], -v[2:3]
	v_add_f64 v[6:7], v[8:9], -v[4:5]
	v_xor_b32_e32 v4, 0x80000000, v3
	v_cmp_gt_f64_e32 vcc, 0, v[2:3]
	v_cndmask_b32_e32 v3, v3, v4, vcc
	v_cndmask_b32_e32 v2, v2, v2, vcc
	v_xor_b32_e32 v4, 0x80000000, v7
	v_cmp_gt_f64_e32 vcc, 0, v[6:7]
	v_cndmask_b32_e32 v5, v7, v4, vcc
	v_cndmask_b32_e32 v4, v6, v6, vcc
	v_cmp_ngt_f64_e32 vcc, v[2:3], v[4:5]
	s_cbranch_vccz .LBB60_67
; %bb.65:
	v_cmp_eq_f64_e32 vcc, 0, v[6:7]
	s_mov_b64 s[4:5], 0
	v_pk_mov_b32 v[6:7], 0, 0
	s_cbranch_vccnz .LBB60_68
; %bb.66:
	v_div_scale_f64 v[6:7], s[8:9], v[4:5], v[4:5], v[2:3]
	v_rcp_f64_e32 v[8:9], v[6:7]
	v_div_scale_f64 v[10:11], vcc, v[2:3], v[4:5], v[2:3]
	s_mov_b32 s8, 0
	v_fma_f64 v[16:17], -v[6:7], v[8:9], 1.0
	v_fmac_f64_e32 v[8:9], v[8:9], v[16:17]
	v_fma_f64 v[16:17], -v[6:7], v[8:9], 1.0
	v_fmac_f64_e32 v[8:9], v[8:9], v[16:17]
	v_mul_f64 v[16:17], v[10:11], v[8:9]
	v_fma_f64 v[6:7], -v[6:7], v[16:17], v[10:11]
	v_div_fmas_f64 v[6:7], v[6:7], v[8:9], v[16:17]
	v_div_fixup_f64 v[6:7], v[6:7], v[4:5], v[2:3]
	v_fma_f64 v[6:7], v[6:7], v[6:7], 1.0
	s_brev_b32 s9, 8
	v_cmp_gt_f64_e32 vcc, s[8:9], v[6:7]
	v_cndmask_b32_e64 v8, 0, 1, vcc
	v_lshlrev_b32_e32 v8, 8, v8
	v_ldexp_f64 v[6:7], v[6:7], v8
	v_rsq_f64_e32 v[8:9], v[6:7]
	s_and_b64 s[8:9], vcc, exec
	s_cselect_b32 s8, 0xffffff80, 0
	v_mul_f64 v[10:11], v[6:7], v[8:9]
	v_mul_f64 v[8:9], v[8:9], 0.5
	v_fma_f64 v[16:17], -v[8:9], v[10:11], 0.5
	v_fmac_f64_e32 v[10:11], v[10:11], v[16:17]
	v_fma_f64 v[20:21], -v[10:11], v[10:11], v[6:7]
	v_fmac_f64_e32 v[8:9], v[8:9], v[16:17]
	v_fmac_f64_e32 v[10:11], v[20:21], v[8:9]
	v_fma_f64 v[16:17], -v[10:11], v[10:11], v[6:7]
	v_fmac_f64_e32 v[10:11], v[16:17], v[8:9]
	v_ldexp_f64 v[8:9], v[10:11], s8
	v_mov_b32_e32 v10, 0x260
	v_cmp_class_f64_e32 vcc, v[6:7], v10
	v_cndmask_b32_e32 v7, v9, v7, vcc
	v_cndmask_b32_e32 v6, v8, v6, vcc
	v_mul_f64 v[6:7], v[4:5], v[6:7]
	s_branch .LBB60_68
.LBB60_67:
	s_mov_b64 s[4:5], -1
                                        ; implicit-def: $vgpr6_vgpr7
.LBB60_68:
	s_andn2_b64 vcc, exec, s[4:5]
	s_cbranch_vccnz .LBB60_70
; %bb.69:
	v_div_scale_f64 v[6:7], s[4:5], v[2:3], v[2:3], v[4:5]
	v_rcp_f64_e32 v[8:9], v[6:7]
	v_div_scale_f64 v[10:11], vcc, v[4:5], v[2:3], v[4:5]
	s_mov_b32 s4, 0
	v_fma_f64 v[16:17], -v[6:7], v[8:9], 1.0
	v_fmac_f64_e32 v[8:9], v[8:9], v[16:17]
	v_fma_f64 v[16:17], -v[6:7], v[8:9], 1.0
	v_fmac_f64_e32 v[8:9], v[8:9], v[16:17]
	v_mul_f64 v[16:17], v[10:11], v[8:9]
	v_fma_f64 v[6:7], -v[6:7], v[16:17], v[10:11]
	v_div_fmas_f64 v[6:7], v[6:7], v[8:9], v[16:17]
	v_div_fixup_f64 v[4:5], v[6:7], v[2:3], v[4:5]
	v_fma_f64 v[4:5], v[4:5], v[4:5], 1.0
	s_brev_b32 s5, 8
	v_cmp_gt_f64_e32 vcc, s[4:5], v[4:5]
	v_cndmask_b32_e64 v6, 0, 1, vcc
	v_lshlrev_b32_e32 v6, 8, v6
	v_ldexp_f64 v[4:5], v[4:5], v6
	v_rsq_f64_e32 v[6:7], v[4:5]
	s_and_b64 s[4:5], vcc, exec
	s_cselect_b32 s4, 0xffffff80, 0
	v_mul_f64 v[8:9], v[4:5], v[6:7]
	v_mul_f64 v[6:7], v[6:7], 0.5
	v_fma_f64 v[10:11], -v[6:7], v[8:9], 0.5
	v_fmac_f64_e32 v[8:9], v[8:9], v[10:11]
	v_fma_f64 v[16:17], -v[8:9], v[8:9], v[4:5]
	v_fmac_f64_e32 v[6:7], v[6:7], v[10:11]
	v_fmac_f64_e32 v[8:9], v[16:17], v[6:7]
	v_fma_f64 v[10:11], -v[8:9], v[8:9], v[4:5]
	v_fmac_f64_e32 v[8:9], v[10:11], v[6:7]
	v_ldexp_f64 v[6:7], v[8:9], s4
	v_mov_b32_e32 v8, 0x260
	v_cmp_class_f64_e32 vcc, v[4:5], v8
	v_cndmask_b32_e32 v5, v7, v5, vcc
	v_cndmask_b32_e32 v4, v6, v4, vcc
	v_mul_f64 v[6:7], v[2:3], v[4:5]
.LBB60_70:
	s_mov_b32 s4, 0
	s_brev_b32 s5, 8
	v_cmp_gt_f64_e32 vcc, s[4:5], v[6:7]
	v_cndmask_b32_e64 v2, 0, 1, vcc
	v_lshlrev_b32_e32 v2, 8, v2
	v_ldexp_f64 v[2:3], v[6:7], v2
	v_rsq_f64_e32 v[4:5], v[2:3]
	s_and_b64 s[4:5], vcc, exec
	s_cselect_b32 s4, 0xffffff80, 0
	v_mul_f64 v[6:7], v[2:3], v[4:5]
	v_mul_f64 v[4:5], v[4:5], 0.5
	v_fma_f64 v[8:9], -v[4:5], v[6:7], 0.5
	v_fmac_f64_e32 v[6:7], v[6:7], v[8:9]
	v_fma_f64 v[10:11], -v[6:7], v[6:7], v[2:3]
	v_fmac_f64_e32 v[4:5], v[4:5], v[8:9]
	v_fmac_f64_e32 v[6:7], v[10:11], v[4:5]
	v_fma_f64 v[8:9], -v[6:7], v[6:7], v[2:3]
	v_fmac_f64_e32 v[6:7], v[8:9], v[4:5]
	v_ldexp_f64 v[4:5], v[6:7], s4
	v_mov_b32_e32 v6, 0x260
	v_cmp_class_f64_e32 vcc, v[2:3], v6
	v_cndmask_b32_e32 v2, v4, v2, vcc
	v_mov_b32_e32 v4, 0
	v_cndmask_b32_e32 v3, v5, v3, vcc
	v_mov_b32_e32 v5, v4
	ds_write_b128 v4, v[2:5] offset:576
.LBB60_71:
	s_or_b64 exec, exec, s[0:1]
	v_mov_b32_e32 v2, 0
	s_waitcnt lgkmcnt(0)
	ds_read_b128 v[2:5], v2 offset:576
	v_cmp_ne_u32_e64 s[0:1], 0, v14
	v_mov_b32_e32 v6, 0x3ff00000
	v_add_u32_e32 v8, 0x240, v18
	s_add_i32 s16, s12, s13
	s_waitcnt lgkmcnt(0)
	v_cmp_neq_f64_e32 vcc, 0, v[2:3]
	v_cmp_neq_f64_e64 s[4:5], 0, v[4:5]
	s_or_b64 vcc, vcc, s[4:5]
	s_or_b64 s[4:5], vcc, s[0:1]
	v_cndmask_b32_e32 v3, v6, v3, vcc
	s_xor_b64 s[8:9], s[4:5], -1
	v_cndmask_b32_e32 v2, 0, v2, vcc
	v_cndmask_b32_e32 v5, 0, v5, vcc
	;; [unrolled: 1-line block ×3, first 2 shown]
	s_and_saveexec_b64 s[4:5], s[8:9]
	s_cbranch_execz .LBB60_75
; %bb.72:
	v_mbcnt_lo_u32_b32 v2, exec_lo, 0
	v_mbcnt_hi_u32_b32 v2, exec_hi, v2
	v_cmp_eq_u32_e32 vcc, 0, v2
	s_and_saveexec_b64 s[8:9], vcc
	s_cbranch_execz .LBB60_74
; %bb.73:
	v_mov_b32_e32 v2, 0
	v_mov_b32_e32 v3, s16
	global_atomic_smin v2, v3, s[14:15]
.LBB60_74:
	s_or_b64 exec, exec, s[8:9]
	v_mov_b32_e32 v2, 0
	v_mov_b32_e32 v3, 0x3ff00000
	v_pk_mov_b32 v[4:5], 0, 0
.LBB60_75:
	s_or_b64 exec, exec, s[4:5]
	s_and_saveexec_b64 s[4:5], s[2:3]
	s_cbranch_execz .LBB60_77
; %bb.76:
	v_mul_f64 v[6:7], v[4:5], v[4:5]
	v_mul_u32_u24_e32 v9, 48, v13
	v_fmac_f64_e32 v[6:7], v[2:3], v[2:3]
	ds_read_b128 v[16:19], v9 offset:576
	ds_read_b128 v[20:23], v9 offset:672
	v_div_scale_f64 v[10:11], s[2:3], v[6:7], v[6:7], 1.0
	v_rcp_f64_e32 v[24:25], v[10:11]
	s_waitcnt lgkmcnt(0)
	v_add_f64 v[20:21], v[16:17], -v[20:21]
	v_add_f64 v[18:19], v[18:19], -v[22:23]
	v_fma_f64 v[16:17], -v[10:11], v[24:25], 1.0
	v_fmac_f64_e32 v[24:25], v[24:25], v[16:17]
	v_fma_f64 v[16:17], -v[10:11], v[24:25], 1.0
	v_fmac_f64_e32 v[24:25], v[24:25], v[16:17]
	v_div_scale_f64 v[16:17], vcc, 1.0, v[6:7], 1.0
	v_mul_f64 v[22:23], v[16:17], v[24:25]
	v_fma_f64 v[10:11], -v[10:11], v[22:23], v[16:17]
	s_nop 1
	v_div_fmas_f64 v[10:11], v[10:11], v[24:25], v[22:23]
	v_div_fixup_f64 v[6:7], v[10:11], v[6:7], 1.0
	v_mul_f64 v[10:11], v[4:5], v[18:19]
	v_mul_f64 v[4:5], v[4:5], -v[20:21]
	v_fmac_f64_e32 v[10:11], v[20:21], v[2:3]
	v_fmac_f64_e32 v[4:5], v[18:19], v[2:3]
	v_mul_f64 v[16:17], v[6:7], v[10:11]
	v_mul_f64 v[18:19], v[6:7], v[4:5]
	v_mul_u32_u24_e32 v2, 48, v12
	ds_write_b128 v9, v[16:19] offset:576
	s_waitcnt lgkmcnt(0)
	ds_read_b128 v[2:5], v2 offset:576
	ds_read_b128 v[20:23], v15
	s_waitcnt lgkmcnt(0)
	v_fmac_f64_e32 v[20:21], v[16:17], v[2:3]
	v_fmac_f64_e32 v[22:23], v[18:19], v[2:3]
	;; [unrolled: 1-line block ×3, first 2 shown]
	v_fma_f64 v[22:23], v[16:17], -v[4:5], v[22:23]
	ds_write_b128 v15, v[20:23]
.LBB60_77:
	s_or_b64 exec, exec, s[4:5]
	v_cmp_eq_u32_e32 vcc, 1, v13
	s_waitcnt lgkmcnt(0)
	s_and_saveexec_b64 s[2:3], vcc
	s_cbranch_execz .LBB60_85
; %bb.78:
	v_mov_b32_e32 v6, 0
	ds_read_b128 v[2:5], v6 offset:736
	ds_read_b128 v[16:19], v6 offset:640
	s_waitcnt lgkmcnt(0)
	v_add_f64 v[2:3], v[16:17], -v[2:3]
	v_add_f64 v[6:7], v[18:19], -v[4:5]
	v_xor_b32_e32 v4, 0x80000000, v3
	v_cmp_gt_f64_e32 vcc, 0, v[2:3]
	v_cndmask_b32_e32 v3, v3, v4, vcc
	v_cndmask_b32_e32 v2, v2, v2, vcc
	v_xor_b32_e32 v4, 0x80000000, v7
	v_cmp_gt_f64_e32 vcc, 0, v[6:7]
	v_cndmask_b32_e32 v5, v7, v4, vcc
	v_cndmask_b32_e32 v4, v6, v6, vcc
	v_cmp_gt_f64_e32 vcc, v[2:3], v[4:5]
	s_cbranch_vccnz .LBB60_81
; %bb.79:
	v_cmp_eq_f64_e32 vcc, 0, v[6:7]
	s_mov_b64 s[4:5], 0
	v_pk_mov_b32 v[6:7], 0, 0
	s_cbranch_vccnz .LBB60_82
; %bb.80:
	v_div_scale_f64 v[6:7], s[8:9], v[4:5], v[4:5], v[2:3]
	v_rcp_f64_e32 v[10:11], v[6:7]
	v_div_scale_f64 v[16:17], vcc, v[2:3], v[4:5], v[2:3]
	s_mov_b32 s8, 0
	v_fma_f64 v[18:19], -v[6:7], v[10:11], 1.0
	v_fmac_f64_e32 v[10:11], v[10:11], v[18:19]
	v_fma_f64 v[18:19], -v[6:7], v[10:11], 1.0
	v_fmac_f64_e32 v[10:11], v[10:11], v[18:19]
	v_mul_f64 v[18:19], v[16:17], v[10:11]
	v_fma_f64 v[6:7], -v[6:7], v[18:19], v[16:17]
	v_div_fmas_f64 v[6:7], v[6:7], v[10:11], v[18:19]
	v_div_fixup_f64 v[6:7], v[6:7], v[4:5], v[2:3]
	v_fma_f64 v[6:7], v[6:7], v[6:7], 1.0
	s_brev_b32 s9, 8
	v_cmp_gt_f64_e32 vcc, s[8:9], v[6:7]
	v_cndmask_b32_e64 v9, 0, 1, vcc
	v_lshlrev_b32_e32 v9, 8, v9
	v_ldexp_f64 v[6:7], v[6:7], v9
	v_rsq_f64_e32 v[10:11], v[6:7]
	s_and_b64 s[8:9], vcc, exec
	s_cselect_b32 s8, 0xffffff80, 0
	v_mov_b32_e32 v9, 0x260
	v_mul_f64 v[16:17], v[6:7], v[10:11]
	v_mul_f64 v[10:11], v[10:11], 0.5
	v_fma_f64 v[18:19], -v[10:11], v[16:17], 0.5
	v_fmac_f64_e32 v[16:17], v[16:17], v[18:19]
	v_fma_f64 v[20:21], -v[16:17], v[16:17], v[6:7]
	v_fmac_f64_e32 v[10:11], v[10:11], v[18:19]
	v_fmac_f64_e32 v[16:17], v[20:21], v[10:11]
	v_fma_f64 v[18:19], -v[16:17], v[16:17], v[6:7]
	v_fmac_f64_e32 v[16:17], v[18:19], v[10:11]
	v_ldexp_f64 v[10:11], v[16:17], s8
	v_cmp_class_f64_e32 vcc, v[6:7], v9
	v_cndmask_b32_e32 v7, v11, v7, vcc
	v_cndmask_b32_e32 v6, v10, v6, vcc
	v_mul_f64 v[6:7], v[4:5], v[6:7]
	s_branch .LBB60_82
.LBB60_81:
	s_mov_b64 s[4:5], -1
                                        ; implicit-def: $vgpr6_vgpr7
.LBB60_82:
	s_andn2_b64 vcc, exec, s[4:5]
	s_cbranch_vccnz .LBB60_84
; %bb.83:
	v_div_scale_f64 v[6:7], s[4:5], v[2:3], v[2:3], v[4:5]
	v_rcp_f64_e32 v[10:11], v[6:7]
	v_div_scale_f64 v[16:17], vcc, v[4:5], v[2:3], v[4:5]
	s_mov_b32 s4, 0
	v_fma_f64 v[18:19], -v[6:7], v[10:11], 1.0
	v_fmac_f64_e32 v[10:11], v[10:11], v[18:19]
	v_fma_f64 v[18:19], -v[6:7], v[10:11], 1.0
	v_fmac_f64_e32 v[10:11], v[10:11], v[18:19]
	v_mul_f64 v[18:19], v[16:17], v[10:11]
	v_fma_f64 v[6:7], -v[6:7], v[18:19], v[16:17]
	v_div_fmas_f64 v[6:7], v[6:7], v[10:11], v[18:19]
	v_div_fixup_f64 v[4:5], v[6:7], v[2:3], v[4:5]
	v_fma_f64 v[4:5], v[4:5], v[4:5], 1.0
	s_brev_b32 s5, 8
	v_cmp_gt_f64_e32 vcc, s[4:5], v[4:5]
	v_cndmask_b32_e64 v6, 0, 1, vcc
	v_lshlrev_b32_e32 v6, 8, v6
	v_ldexp_f64 v[4:5], v[4:5], v6
	v_rsq_f64_e32 v[6:7], v[4:5]
	s_and_b64 s[4:5], vcc, exec
	s_cselect_b32 s4, 0xffffff80, 0
	v_mov_b32_e32 v9, 0x260
	v_mul_f64 v[10:11], v[4:5], v[6:7]
	v_mul_f64 v[6:7], v[6:7], 0.5
	v_fma_f64 v[16:17], -v[6:7], v[10:11], 0.5
	v_fmac_f64_e32 v[10:11], v[10:11], v[16:17]
	v_fma_f64 v[18:19], -v[10:11], v[10:11], v[4:5]
	v_fmac_f64_e32 v[6:7], v[6:7], v[16:17]
	v_fmac_f64_e32 v[10:11], v[18:19], v[6:7]
	v_fma_f64 v[16:17], -v[10:11], v[10:11], v[4:5]
	v_fmac_f64_e32 v[10:11], v[16:17], v[6:7]
	v_ldexp_f64 v[6:7], v[10:11], s4
	v_cmp_class_f64_e32 vcc, v[4:5], v9
	v_cndmask_b32_e32 v5, v7, v5, vcc
	v_cndmask_b32_e32 v4, v6, v4, vcc
	v_mul_f64 v[6:7], v[2:3], v[4:5]
.LBB60_84:
	s_mov_b32 s4, 0
	s_brev_b32 s5, 8
	v_cmp_gt_f64_e32 vcc, s[4:5], v[6:7]
	v_cndmask_b32_e64 v2, 0, 1, vcc
	v_lshlrev_b32_e32 v2, 8, v2
	v_ldexp_f64 v[2:3], v[6:7], v2
	v_rsq_f64_e32 v[4:5], v[2:3]
	s_and_b64 s[4:5], vcc, exec
	s_cselect_b32 s4, 0xffffff80, 0
	v_mul_f64 v[6:7], v[2:3], v[4:5]
	v_mul_f64 v[4:5], v[4:5], 0.5
	v_fma_f64 v[10:11], -v[4:5], v[6:7], 0.5
	v_fmac_f64_e32 v[6:7], v[6:7], v[10:11]
	v_fma_f64 v[16:17], -v[6:7], v[6:7], v[2:3]
	v_fmac_f64_e32 v[4:5], v[4:5], v[10:11]
	v_fmac_f64_e32 v[6:7], v[16:17], v[4:5]
	v_fma_f64 v[10:11], -v[6:7], v[6:7], v[2:3]
	v_fmac_f64_e32 v[6:7], v[10:11], v[4:5]
	v_ldexp_f64 v[4:5], v[6:7], s4
	v_mov_b32_e32 v6, 0x260
	v_cmp_class_f64_e32 vcc, v[2:3], v6
	v_cndmask_b32_e32 v2, v4, v2, vcc
	v_mov_b32_e32 v4, 0
	v_cndmask_b32_e32 v3, v5, v3, vcc
	v_mov_b32_e32 v5, v4
	ds_write_b128 v4, v[2:5] offset:640
.LBB60_85:
	s_or_b64 exec, exec, s[2:3]
	v_mov_b32_e32 v2, 0
	s_waitcnt lgkmcnt(0)
	ds_read_b128 v[2:5], v2 offset:640
	v_mov_b32_e32 v6, 0x3ff00000
	s_waitcnt lgkmcnt(0)
	v_cmp_neq_f64_e32 vcc, 0, v[2:3]
	v_cmp_neq_f64_e64 s[2:3], 0, v[4:5]
	s_or_b64 vcc, vcc, s[2:3]
	s_or_b64 s[0:1], vcc, s[0:1]
	v_cndmask_b32_e32 v3, v6, v3, vcc
	s_xor_b64 s[2:3], s[0:1], -1
	v_cndmask_b32_e32 v2, 0, v2, vcc
	v_cndmask_b32_e32 v5, 0, v5, vcc
	;; [unrolled: 1-line block ×3, first 2 shown]
	s_and_saveexec_b64 s[0:1], s[2:3]
	s_cbranch_execz .LBB60_89
; %bb.86:
	v_mbcnt_lo_u32_b32 v2, exec_lo, 0
	v_mbcnt_hi_u32_b32 v2, exec_hi, v2
	v_cmp_eq_u32_e32 vcc, 0, v2
	s_and_saveexec_b64 s[2:3], vcc
	s_cbranch_execz .LBB60_88
; %bb.87:
	v_mov_b32_e32 v2, 0
	v_mov_b32_e32 v3, s16
	global_atomic_smin v2, v3, s[14:15]
.LBB60_88:
	s_or_b64 exec, exec, s[2:3]
	v_mov_b32_e32 v2, 0
	v_mov_b32_e32 v3, 0x3ff00000
	v_pk_mov_b32 v[4:5], 0, 0
.LBB60_89:
	s_or_b64 exec, exec, s[0:1]
	v_cmp_lt_u32_e32 vcc, 1, v13
	s_and_saveexec_b64 s[0:1], vcc
	s_cbranch_execz .LBB60_91
; %bb.90:
	v_mul_f64 v[6:7], v[4:5], v[4:5]
	v_mul_u32_u24_e32 v9, 48, v13
	v_fmac_f64_e32 v[6:7], v[2:3], v[2:3]
	ds_read_b128 v[16:19], v9 offset:592
	ds_read_b128 v[20:23], v9 offset:688
	v_div_scale_f64 v[10:11], s[2:3], v[6:7], v[6:7], 1.0
	v_rcp_f64_e32 v[24:25], v[10:11]
	s_waitcnt lgkmcnt(0)
	v_add_f64 v[20:21], v[16:17], -v[20:21]
	v_add_f64 v[18:19], v[18:19], -v[22:23]
	v_fma_f64 v[16:17], -v[10:11], v[24:25], 1.0
	v_fmac_f64_e32 v[24:25], v[24:25], v[16:17]
	v_fma_f64 v[16:17], -v[10:11], v[24:25], 1.0
	v_fmac_f64_e32 v[24:25], v[24:25], v[16:17]
	v_div_scale_f64 v[16:17], vcc, 1.0, v[6:7], 1.0
	v_mul_f64 v[22:23], v[16:17], v[24:25]
	v_fma_f64 v[10:11], -v[10:11], v[22:23], v[16:17]
	s_nop 1
	v_div_fmas_f64 v[10:11], v[10:11], v[24:25], v[22:23]
	v_div_fixup_f64 v[6:7], v[10:11], v[6:7], 1.0
	v_mul_f64 v[10:11], v[4:5], v[18:19]
	v_mul_f64 v[4:5], v[4:5], -v[20:21]
	v_fmac_f64_e32 v[10:11], v[20:21], v[2:3]
	v_fmac_f64_e32 v[4:5], v[18:19], v[2:3]
	v_mul_f64 v[16:17], v[6:7], v[10:11]
	v_mul_f64 v[18:19], v[6:7], v[4:5]
	v_mul_u32_u24_e32 v2, 48, v12
	ds_write_b128 v9, v[16:19] offset:592
	s_waitcnt lgkmcnt(0)
	ds_read_b128 v[2:5], v2 offset:592
	ds_read_b128 v[20:23], v15
	s_waitcnt lgkmcnt(0)
	v_fmac_f64_e32 v[20:21], v[16:17], v[2:3]
	v_fmac_f64_e32 v[22:23], v[18:19], v[2:3]
	;; [unrolled: 1-line block ×3, first 2 shown]
	v_fma_f64 v[22:23], v[16:17], -v[4:5], v[22:23]
	ds_write_b128 v15, v[20:23]
.LBB60_91:
	s_or_b64 exec, exec, s[0:1]
	s_waitcnt lgkmcnt(0)
	ds_read2_b64 v[2:5], v8 offset1:1
	v_cmp_eq_u32_e64 s[0:1], 0, v14
	s_waitcnt lgkmcnt(0)
	global_store_dwordx4 v[0:1], v[2:5], off
	s_branch .LBB60_97
.LBB60_92:
	v_or_b32_e32 v0, v12, v13
	v_cmp_eq_u32_e32 vcc, 0, v0
	s_and_saveexec_b64 s[2:3], vcc
	s_cbranch_execz .LBB60_96
; %bb.93:
	v_mbcnt_lo_u32_b32 v0, exec_lo, 0
	v_mbcnt_hi_u32_b32 v0, exec_hi, v0
	v_cmp_eq_u32_e32 vcc, 0, v0
	s_and_saveexec_b64 s[4:5], vcc
	s_cbranch_execz .LBB60_95
; %bb.94:
	s_add_i32 s8, s12, s13
	v_mov_b32_e32 v0, 0
	v_mov_b32_e32 v1, s8
	global_atomic_smin v0, v1, s[14:15]
.LBB60_95:
	s_or_b64 exec, exec, s[4:5]
	s_or_b64 s[0:1], s[0:1], exec
.LBB60_96:
	s_or_b64 exec, exec, s[2:3]
.LBB60_97:
	s_and_saveexec_b64 s[2:3], s[0:1]
	s_cbranch_execnz .LBB60_99
; %bb.98:
	s_endpgm
.LBB60_99:
	s_add_u32 s0, s10, s6
	s_addc_u32 s1, s11, s7
	v_mov_b32_e32 v0, 0
	v_mov_b32_e32 v1, 1
	s_waitcnt vmcnt(0)
	global_store_dword v0, v1, s[0:1]
	s_endpgm
	.section	.rodata,"a",@progbits
	.p2align	6, 0x0
	.amdhsa_kernel _ZN9rocsparseL26bsric0_2_8_unrolled_kernelILi4ELi32ELi2E21rocsparse_complex_numIdEEEv20rocsparse_direction_iiPKiS5_PT2_S5_PiS5_S8_21rocsparse_index_base_
		.amdhsa_group_segment_fixed_size 768
		.amdhsa_private_segment_fixed_size 0
		.amdhsa_kernarg_size 76
		.amdhsa_user_sgpr_count 6
		.amdhsa_user_sgpr_private_segment_buffer 1
		.amdhsa_user_sgpr_dispatch_ptr 0
		.amdhsa_user_sgpr_queue_ptr 0
		.amdhsa_user_sgpr_kernarg_segment_ptr 1
		.amdhsa_user_sgpr_dispatch_id 0
		.amdhsa_user_sgpr_flat_scratch_init 0
		.amdhsa_user_sgpr_kernarg_preload_length 0
		.amdhsa_user_sgpr_kernarg_preload_offset 0
		.amdhsa_user_sgpr_private_segment_size 0
		.amdhsa_uses_dynamic_stack 0
		.amdhsa_system_sgpr_private_segment_wavefront_offset 0
		.amdhsa_system_sgpr_workgroup_id_x 1
		.amdhsa_system_sgpr_workgroup_id_y 0
		.amdhsa_system_sgpr_workgroup_id_z 0
		.amdhsa_system_sgpr_workgroup_info 0
		.amdhsa_system_vgpr_workitem_id 1
		.amdhsa_next_free_vgpr 72
		.amdhsa_next_free_sgpr 40
		.amdhsa_accum_offset 72
		.amdhsa_reserve_vcc 1
		.amdhsa_reserve_flat_scratch 0
		.amdhsa_float_round_mode_32 0
		.amdhsa_float_round_mode_16_64 0
		.amdhsa_float_denorm_mode_32 3
		.amdhsa_float_denorm_mode_16_64 3
		.amdhsa_dx10_clamp 1
		.amdhsa_ieee_mode 1
		.amdhsa_fp16_overflow 0
		.amdhsa_tg_split 0
		.amdhsa_exception_fp_ieee_invalid_op 0
		.amdhsa_exception_fp_denorm_src 0
		.amdhsa_exception_fp_ieee_div_zero 0
		.amdhsa_exception_fp_ieee_overflow 0
		.amdhsa_exception_fp_ieee_underflow 0
		.amdhsa_exception_fp_ieee_inexact 0
		.amdhsa_exception_int_div_zero 0
	.end_amdhsa_kernel
	.section	.text._ZN9rocsparseL26bsric0_2_8_unrolled_kernelILi4ELi32ELi2E21rocsparse_complex_numIdEEEv20rocsparse_direction_iiPKiS5_PT2_S5_PiS5_S8_21rocsparse_index_base_,"axG",@progbits,_ZN9rocsparseL26bsric0_2_8_unrolled_kernelILi4ELi32ELi2E21rocsparse_complex_numIdEEEv20rocsparse_direction_iiPKiS5_PT2_S5_PiS5_S8_21rocsparse_index_base_,comdat
.Lfunc_end60:
	.size	_ZN9rocsparseL26bsric0_2_8_unrolled_kernelILi4ELi32ELi2E21rocsparse_complex_numIdEEEv20rocsparse_direction_iiPKiS5_PT2_S5_PiS5_S8_21rocsparse_index_base_, .Lfunc_end60-_ZN9rocsparseL26bsric0_2_8_unrolled_kernelILi4ELi32ELi2E21rocsparse_complex_numIdEEEv20rocsparse_direction_iiPKiS5_PT2_S5_PiS5_S8_21rocsparse_index_base_
                                        ; -- End function
	.section	.AMDGPU.csdata,"",@progbits
; Kernel info:
; codeLenInByte = 6872
; NumSgprs: 44
; NumVgprs: 72
; NumAgprs: 0
; TotalNumVgprs: 72
; ScratchSize: 0
; MemoryBound: 1
; FloatMode: 240
; IeeeMode: 1
; LDSByteSize: 768 bytes/workgroup (compile time only)
; SGPRBlocks: 5
; VGPRBlocks: 8
; NumSGPRsForWavesPerEU: 44
; NumVGPRsForWavesPerEU: 72
; AccumOffset: 72
; Occupancy: 7
; WaveLimiterHint : 1
; COMPUTE_PGM_RSRC2:SCRATCH_EN: 0
; COMPUTE_PGM_RSRC2:USER_SGPR: 6
; COMPUTE_PGM_RSRC2:TRAP_HANDLER: 0
; COMPUTE_PGM_RSRC2:TGID_X_EN: 1
; COMPUTE_PGM_RSRC2:TGID_Y_EN: 0
; COMPUTE_PGM_RSRC2:TGID_Z_EN: 0
; COMPUTE_PGM_RSRC2:TIDIG_COMP_CNT: 1
; COMPUTE_PGM_RSRC3_GFX90A:ACCUM_OFFSET: 17
; COMPUTE_PGM_RSRC3_GFX90A:TG_SPLIT: 0
	.section	.text._ZN9rocsparseL26bsric0_2_8_unrolled_kernelILi9ELi32ELi3E21rocsparse_complex_numIdEEEv20rocsparse_direction_iiPKiS5_PT2_S5_PiS5_S8_21rocsparse_index_base_,"axG",@progbits,_ZN9rocsparseL26bsric0_2_8_unrolled_kernelILi9ELi32ELi3E21rocsparse_complex_numIdEEEv20rocsparse_direction_iiPKiS5_PT2_S5_PiS5_S8_21rocsparse_index_base_,comdat
	.globl	_ZN9rocsparseL26bsric0_2_8_unrolled_kernelILi9ELi32ELi3E21rocsparse_complex_numIdEEEv20rocsparse_direction_iiPKiS5_PT2_S5_PiS5_S8_21rocsparse_index_base_ ; -- Begin function _ZN9rocsparseL26bsric0_2_8_unrolled_kernelILi9ELi32ELi3E21rocsparse_complex_numIdEEEv20rocsparse_direction_iiPKiS5_PT2_S5_PiS5_S8_21rocsparse_index_base_
	.p2align	8
	.type	_ZN9rocsparseL26bsric0_2_8_unrolled_kernelILi9ELi32ELi3E21rocsparse_complex_numIdEEEv20rocsparse_direction_iiPKiS5_PT2_S5_PiS5_S8_21rocsparse_index_base_,@function
_ZN9rocsparseL26bsric0_2_8_unrolled_kernelILi9ELi32ELi3E21rocsparse_complex_numIdEEEv20rocsparse_direction_iiPKiS5_PT2_S5_PiS5_S8_21rocsparse_index_base_: ; @_ZN9rocsparseL26bsric0_2_8_unrolled_kernelILi9ELi32ELi3E21rocsparse_complex_numIdEEEv20rocsparse_direction_iiPKiS5_PT2_S5_PiS5_S8_21rocsparse_index_base_
; %bb.0:
	s_load_dwordx8 s[8:15], s[4:5], 0x28
	s_mov_b32 s7, 0
	s_lshl_b64 s[0:1], s[6:7], 2
	v_and_b32_e32 v16, 0x3ff, v0
	v_bfe_u32 v17, v0, 10, 10
	s_waitcnt lgkmcnt(0)
	s_add_u32 s0, s12, s0
	s_addc_u32 s1, s13, s1
	s_load_dword s12, s[0:1], 0x0
	s_waitcnt lgkmcnt(0)
	s_ashr_i32 s13, s12, 31
	s_lshl_b64 s[6:7], s[12:13], 2
	s_add_u32 s0, s8, s6
	s_addc_u32 s1, s9, s7
	s_load_dword s30, s[0:1], 0x0
	s_load_dword s13, s[4:5], 0x48
	s_waitcnt lgkmcnt(0)
	s_cmp_lg_u32 s30, -1
	s_cbranch_scc0 .LBB61_58
; %bb.1:
	s_load_dwordx4 s[16:19], s[4:5], 0x10
	s_load_dwordx2 s[20:21], s[4:5], 0x20
	v_mad_u32_u24 v18, v17, 3, v16
	v_mul_u32_u24_e32 v20, 3, v17
	s_waitcnt lgkmcnt(0)
	s_add_u32 s0, s16, s6
	s_addc_u32 s1, s17, s7
	s_load_dword s26, s[0:1], 0x0
	s_waitcnt lgkmcnt(0)
	s_sub_i32 s31, s26, s13
	v_add_u32_e32 v0, s31, v18
	v_cmp_ge_i32_e32 vcc, s30, v0
	s_and_saveexec_b64 s[2:3], vcc
	s_cbranch_execz .LBB61_14
; %bb.2:
	v_add_u32_e32 v1, s26, v16
	v_add_u32_e32 v2, v1, v20
	v_subrev_u32_e32 v2, s13, v2
	v_add_u32_e32 v2, 9, v2
	s_add_i32 s0, s30, 1
	v_max_i32_e32 v2, s0, v2
	v_add_u32_e32 v2, s13, v2
	v_sub_u32_e32 v1, v2, v1
	v_add_u32_e32 v1, -9, v1
	v_cmp_ne_u32_e32 vcc, v1, v20
	v_addc_co_u32_e64 v2, s[0:1], 0, v20, vcc
	v_sub_u32_e32 v1, v1, v2
	s_mov_b32 s0, 0x38e38e39
	v_mul_hi_u32 v1, v1, s0
	v_lshrrev_b32_e32 v1, 1, v1
	v_addc_co_u32_e32 v12, vcc, 0, v1, vcc
	v_cmp_ne_u32_e32 vcc, 0, v12
	s_mov_b64 s[22:23], -1
	s_and_saveexec_b64 s[0:1], vcc
	s_cbranch_execz .LBB61_11
; %bb.3:
	v_add_u32_e32 v2, -1, v12
	v_add_u32_e32 v1, 9, v0
	v_lshrrev_b32_e32 v2, 1, v2
	v_add_u32_e32 v13, 1, v2
	v_cmp_lt_u32_e32 vcc, 14, v12
	v_pk_mov_b32 v[2:3], v[0:1], v[0:1] op_sel:[0,1]
	s_and_saveexec_b64 s[22:23], vcc
	s_cbranch_execz .LBB61_7
; %bb.4:
	v_and_b32_e32 v14, -8, v13
	s_mov_b64 s[24:25], 0
	v_mov_b32_e32 v15, s19
	v_pk_mov_b32 v[2:3], v[0:1], v[0:1] op_sel:[0,1]
.LBB61_5:                               ; =>This Inner Loop Header: Depth=1
	v_ashrrev_i32_e32 v25, 31, v2
	v_mov_b32_e32 v24, v2
	v_lshlrev_b64 v[24:25], 2, v[24:25]
	v_ashrrev_i32_e32 v23, 31, v3
	v_mov_b32_e32 v22, v3
	v_add_co_u32_e32 v24, vcc, s18, v24
	v_add_u32_e32 v4, 18, v2
	v_lshlrev_b64 v[22:23], 2, v[22:23]
	v_addc_co_u32_e32 v25, vcc, v15, v25, vcc
	v_ashrrev_i32_e32 v5, 31, v4
	v_add_co_u32_e32 v22, vcc, s18, v22
	v_add_u32_e32 v6, 18, v3
	v_addc_co_u32_e32 v23, vcc, v15, v23, vcc
	v_lshlrev_b64 v[44:45], 2, v[4:5]
	v_ashrrev_i32_e32 v7, 31, v6
	v_add_co_u32_e32 v44, vcc, s18, v44
	v_add_u32_e32 v8, 36, v2
	v_lshlrev_b64 v[46:47], 2, v[6:7]
	v_addc_co_u32_e32 v45, vcc, v15, v45, vcc
	v_ashrrev_i32_e32 v9, 31, v8
	v_add_co_u32_e32 v46, vcc, s18, v46
	v_add_u32_e32 v10, 36, v3
	v_lshlrev_b64 v[48:49], 2, v[8:9]
	v_addc_co_u32_e32 v47, vcc, v15, v47, vcc
	;; [unrolled: 5-line block ×11, first 2 shown]
	v_ashrrev_i32_e32 v43, 31, v42
	v_add_co_u32_e32 v66, vcc, s18, v66
	v_addc_co_u32_e32 v67, vcc, v15, v67, vcc
	v_lshlrev_b64 v[68:69], 2, v[42:43]
	v_add_u32_e32 v70, 0x7e, v3
	v_add_co_u32_e32 v68, vcc, s18, v68
	v_ashrrev_i32_e32 v71, 31, v70
	v_addc_co_u32_e32 v69, vcc, v15, v69, vcc
	v_lshlrev_b64 v[72:73], 2, v[70:71]
	v_add_co_u32_e32 v72, vcc, s18, v72
	v_addc_co_u32_e32 v73, vcc, v15, v73, vcc
	global_load_dword v1, v[22:23], off
	global_load_dword v5, v[24:25], off
	;; [unrolled: 1-line block ×15, first 2 shown]
                                        ; kill: killed $vgpr58 killed $vgpr59
                                        ; kill: killed $vgpr60 killed $vgpr61
                                        ; kill: killed $vgpr24 killed $vgpr25
                                        ; kill: killed $vgpr54 killed $vgpr55
                                        ; kill: killed $vgpr56 killed $vgpr57
                                        ; kill: killed $vgpr50 killed $vgpr51
                                        ; kill: killed $vgpr52 killed $vgpr53
                                        ; kill: killed $vgpr46 killed $vgpr47
                                        ; kill: killed $vgpr48 killed $vgpr49
                                        ; kill: killed $vgpr72 killed $vgpr73
                                        ; kill: killed $vgpr44 killed $vgpr45
                                        ; kill: killed $vgpr66 killed $vgpr67
                                        ; kill: killed $vgpr64 killed $vgpr65
                                        ; kill: killed $vgpr62 killed $vgpr63
                                        ; kill: killed $vgpr22 killed $vgpr23
	global_load_dword v22, v[68:69], off
	v_subrev_u32_e32 v24, s31, v2
	v_add_u32_e32 v14, -8, v14
	v_subrev_u32_e32 v23, s31, v3
	v_lshlrev_b32_e32 v24, 2, v24
	v_subrev_u32_e32 v4, s31, v4
	v_cmp_eq_u32_e32 vcc, 0, v14
	v_add_u32_e32 v3, 0x90, v3
	v_add_u32_e32 v2, 0x90, v2
	v_lshlrev_b32_e32 v23, 2, v23
	v_subrev_u32_e32 v6, s31, v6
	v_subrev_u32_e32 v10, s31, v10
	;; [unrolled: 1-line block ×13, first 2 shown]
	v_lshlrev_b32_e32 v4, 2, v4
	s_or_b64 s[24:25], vcc, s[24:25]
	v_lshlrev_b32_e32 v6, 2, v6
	v_lshlrev_b32_e32 v8, 2, v8
	;; [unrolled: 1-line block ×13, first 2 shown]
	s_waitcnt vmcnt(15)
	v_subrev_u32_e32 v1, s13, v1
	s_waitcnt vmcnt(14)
	v_subrev_u32_e32 v5, s13, v5
	ds_write_b32 v24, v5 offset:1024
	ds_write_b32 v23, v1 offset:1024
	s_waitcnt vmcnt(12)
	v_subrev_u32_e32 v5, s13, v9
	v_subrev_u32_e32 v1, s13, v7
	s_waitcnt vmcnt(11)
	v_subrev_u32_e32 v7, s13, v11
	s_waitcnt vmcnt(10)
	;; [unrolled: 2-line block ×12, first 2 shown]
	v_subrev_u32_e32 v22, s13, v22
	ds_write_b32 v4, v5 offset:1024
	ds_write_b32 v6, v1 offset:1024
	;; [unrolled: 1-line block ×14, first 2 shown]
	s_andn2_b64 exec, exec, s[24:25]
	s_cbranch_execnz .LBB61_5
; %bb.6:
	s_or_b64 exec, exec, s[24:25]
.LBB61_7:
	s_or_b64 exec, exec, s[22:23]
	v_and_b32_e32 v1, 7, v13
	v_cmp_ne_u32_e32 vcc, 0, v1
	s_and_saveexec_b64 s[22:23], vcc
	s_cbranch_execz .LBB61_10
; %bb.8:
	v_sub_u32_e32 v1, 0, v1
	s_mov_b64 s[24:25], 0
	v_mov_b32_e32 v4, s19
.LBB61_9:                               ; =>This Inner Loop Header: Depth=1
	v_ashrrev_i32_e32 v9, 31, v2
	v_mov_b32_e32 v8, v2
	v_lshlrev_b64 v[8:9], 2, v[8:9]
	v_ashrrev_i32_e32 v7, 31, v3
	v_mov_b32_e32 v6, v3
	v_add_co_u32_e32 v8, vcc, s18, v8
	v_lshlrev_b64 v[6:7], 2, v[6:7]
	v_addc_co_u32_e32 v9, vcc, v4, v9, vcc
	v_add_co_u32_e32 v6, vcc, s18, v6
	v_addc_co_u32_e32 v7, vcc, v4, v7, vcc
	global_load_dword v5, v[6:7], off
	global_load_dword v10, v[8:9], off
	v_subrev_u32_e32 v7, s31, v2
	v_add_co_u32_e32 v1, vcc, 1, v1
	v_subrev_u32_e32 v6, s31, v3
	v_add_u32_e32 v3, 18, v3
	v_add_u32_e32 v2, 18, v2
	v_lshlrev_b32_e32 v7, 2, v7
	s_or_b64 s[24:25], vcc, s[24:25]
	v_lshlrev_b32_e32 v6, 2, v6
	s_waitcnt vmcnt(1)
	v_subrev_u32_e32 v5, s13, v5
	s_waitcnt vmcnt(0)
	v_subrev_u32_e32 v8, s13, v10
	ds_write_b32 v7, v8 offset:1024
	ds_write_b32 v6, v5 offset:1024
	s_andn2_b64 exec, exec, s[24:25]
	s_cbranch_execnz .LBB61_9
.LBB61_10:
	s_or_b64 exec, exec, s[22:23]
	v_add_u32_e32 v2, 1, v12
	v_and_b32_e32 v3, 0x7ffffffe, v2
	v_mad_u64_u32 v[0:1], s[22:23], v3, 9, v[0:1]
	v_cmp_ne_u32_e32 vcc, v2, v3
	s_orn2_b64 s[22:23], vcc, exec
.LBB61_11:
	s_or_b64 exec, exec, s[0:1]
	s_and_b64 exec, exec, s[22:23]
	s_cbranch_execz .LBB61_14
; %bb.12:
	v_add_u32_e32 v1, s13, v0
	v_subrev_u32_e32 v1, s26, v1
	v_mov_b32_e32 v2, 0x400
	v_lshl_add_u32 v4, v1, 2, v2
	v_ashrrev_i32_e32 v1, 31, v0
	v_lshlrev_b64 v[2:3], 2, v[0:1]
	v_mov_b32_e32 v1, s19
	v_add_co_u32_e32 v2, vcc, s18, v2
	v_addc_co_u32_e32 v3, vcc, v1, v3, vcc
	s_mov_b64 s[0:1], 0
.LBB61_13:                              ; =>This Inner Loop Header: Depth=1
	global_load_dword v1, v[2:3], off
	v_add_co_u32_e32 v2, vcc, 36, v2
	v_add_u32_e32 v0, 9, v0
	v_addc_co_u32_e32 v3, vcc, 0, v3, vcc
	v_cmp_lt_i32_e32 vcc, s30, v0
	s_or_b64 s[0:1], vcc, s[0:1]
	s_waitcnt vmcnt(0)
	v_subrev_u32_e32 v1, s13, v1
	ds_write_b32 v4, v1
	v_add_u32_e32 v4, 36, v4
	s_andn2_b64 exec, exec, s[0:1]
	s_cbranch_execnz .LBB61_13
.LBB61_14:
	s_or_b64 exec, exec, s[2:3]
	s_load_dword s33, s[4:5], 0x0
	v_lshlrev_b32_e32 v4, 4, v16
	v_lshl_add_u32 v21, v17, 6, v4
	v_mov_b32_e32 v0, 0
	v_add_u32_e32 v19, 0x240, v21
	v_mov_b32_e32 v1, v0
	v_mov_b32_e32 v2, v0
	;; [unrolled: 1-line block ×3, first 2 shown]
	s_cmp_ge_i32 s31, s30
	v_mad_u32_u24 v7, v16, 3, v17
	ds_write_b128 v21, v[0:3] offset:576
	s_waitcnt lgkmcnt(0)
	s_cbranch_scc1 .LBB61_52
; %bb.15:
	v_lshlrev_b32_e32 v3, 6, v17
	s_cmp_eq_u32 s33, 0
	v_add_u32_e32 v22, 0x180, v3
	v_add_u32_e32 v24, v3, v4
	;; [unrolled: 1-line block ×3, first 2 shown]
	v_or_b32_e32 v3, v16, v17
	v_mad_u32_u24 v2, v16, 3, v17
	s_cselect_b64 vcc, -1, 0
	s_cmp_lg_u32 s33, 0
	v_cmp_ne_u32_e64 s[0:1], 0, v3
	v_mov_b32_e32 v3, 0x180
	s_cselect_b64 s[4:5], -1, 0
	v_mul_u32_u24_e32 v1, 3, v16
	v_add_u32_e32 v23, v22, v4
	v_add_u32_e32 v26, v25, v4
	v_lshl_add_u32 v27, v16, 6, v3
	v_cndmask_b32_e32 v6, v2, v18, vcc
	v_mov_b32_e32 v28, 0x3ff00000
	s_mov_b32 s22, s31
	s_branch .LBB61_19
.LBB61_16:                              ;   in Loop: Header=BB61_19 Depth=1
	s_or_b64 exec, exec, s[24:25]
	v_mov_b32_e32 v10, 0
	v_mov_b32_e32 v11, 0x3ff00000
	v_pk_mov_b32 v[12:13], 0, 0
.LBB61_17:                              ;   in Loop: Header=BB61_19 Depth=1
	s_or_b64 exec, exec, s[2:3]
	ds_read_b128 v[30:33], v0 offset:128
	ds_read_b128 v[34:37], v25 offset:32
	ds_read_b128 v[38:41], v22
	ds_read_b128 v[42:45], v0 offset:144
	ds_read_b128 v[46:49], v22 offset:16
	s_add_i32 s22, s22, 1
	s_cmp_ge_i32 s22, s30
	s_waitcnt lgkmcnt(2)
	v_fmac_f64_e32 v[36:37], v[32:33], v[38:39]
	v_fma_f64 v[14:15], v[30:31], -v[40:41], v[36:37]
	v_fmac_f64_e32 v[34:35], v[30:31], v[38:39]
	v_mul_f64 v[30:31], v[12:13], v[12:13]
	v_fmac_f64_e32 v[30:31], v[10:11], v[10:11]
	v_fmac_f64_e32 v[34:35], v[32:33], v[40:41]
	v_div_scale_f64 v[32:33], s[2:3], v[30:31], v[30:31], 1.0
	v_rcp_f64_e32 v[36:37], v[32:33]
	s_waitcnt lgkmcnt(0)
	v_fmac_f64_e32 v[34:35], v[42:43], v[46:47]
	v_fmac_f64_e32 v[34:35], v[44:45], v[48:49]
	v_add_f64 v[34:35], v[2:3], -v[34:35]
	v_fma_f64 v[2:3], -v[32:33], v[36:37], 1.0
	v_fmac_f64_e32 v[36:37], v[36:37], v[2:3]
	v_fmac_f64_e32 v[14:15], v[44:45], v[46:47]
	v_fma_f64 v[2:3], -v[32:33], v[36:37], 1.0
	v_fma_f64 v[14:15], v[42:43], -v[48:49], v[14:15]
	v_fmac_f64_e32 v[36:37], v[36:37], v[2:3]
	v_div_scale_f64 v[2:3], vcc, 1.0, v[30:31], 1.0
	v_add_f64 v[4:5], v[4:5], -v[14:15]
	v_mul_f64 v[14:15], v[2:3], v[36:37]
	v_fma_f64 v[2:3], -v[32:33], v[14:15], v[2:3]
	s_nop 0
	v_div_fmas_f64 v[2:3], v[2:3], v[36:37], v[14:15]
	v_div_fixup_f64 v[14:15], v[2:3], v[30:31], 1.0
	v_mul_f64 v[2:3], v[12:13], v[4:5]
	v_mul_f64 v[12:13], v[12:13], -v[34:35]
	v_fmac_f64_e32 v[2:3], v[34:35], v[10:11]
	v_fmac_f64_e32 v[12:13], v[4:5], v[10:11]
	v_mul_f64 v[2:3], v[14:15], v[2:3]
	v_mul_f64 v[4:5], v[14:15], v[12:13]
	ds_write_b128 v22, v[2:5] offset:32
	s_waitcnt lgkmcnt(0)
	ds_read_b128 v[10:13], v27 offset:32
	ds_read_b128 v[30:33], v19
	s_cselect_b64 s[26:27], -1, 0
	s_waitcnt lgkmcnt(0)
	v_fmac_f64_e32 v[30:31], v[2:3], v[10:11]
	v_fmac_f64_e32 v[32:33], v[4:5], v[10:11]
	;; [unrolled: 1-line block ×3, first 2 shown]
	v_fma_f64 v[32:33], v[2:3], -v[12:13], v[32:33]
	ds_write_b128 v19, v[30:33]
	s_waitcnt lgkmcnt(0)
	ds_read2_b64 v[2:5], v23 offset1:1
	s_waitcnt lgkmcnt(0)
	global_store_dwordx4 v[8:9], v[2:5], off
	s_waitcnt vmcnt(0)
	buffer_wbinvl1_vol
.LBB61_18:                              ;   in Loop: Header=BB61_19 Depth=1
	s_and_b64 vcc, exec, s[26:27]
	s_cbranch_vccnz .LBB61_52
.LBB61_19:                              ; =>This Loop Header: Depth=1
                                        ;     Child Loop BB61_22 Depth 2
                                        ;     Child Loop BB61_33 Depth 2
	s_ashr_i32 s23, s22, 31
	s_lshl_b64 s[2:3], s[22:23], 2
	s_add_u32 s2, s18, s2
	s_addc_u32 s3, s19, s3
	s_load_dword s23, s[2:3], 0x0
	s_waitcnt lgkmcnt(0)
	s_sub_i32 s24, s23, s13
	s_ashr_i32 s25, s24, 31
	s_lshl_b64 s[2:3], s[24:25], 2
	s_add_u32 s26, s8, s2
	s_addc_u32 s27, s9, s3
	s_load_dword s25, s[26:27], 0x0
	s_mov_b64 s[26:27], -1
	s_waitcnt lgkmcnt(0)
	s_cmp_eq_u32 s25, -1
	s_cbranch_scc1 .LBB61_18
; %bb.20:                               ;   in Loop: Header=BB61_19 Depth=1
	v_mad_u64_u32 v[2:3], s[26:27], s22, 9, v[6:7]
	v_ashrrev_i32_e32 v3, 31, v2
	v_lshlrev_b64 v[2:3], 4, v[2:3]
	v_mov_b32_e32 v4, s21
	v_add_co_u32_e32 v8, vcc, s20, v2
	v_addc_co_u32_e32 v9, vcc, v4, v3, vcc
	global_load_dwordx4 v[2:5], v[8:9], off
	s_add_u32 s26, s16, s2
	s_addc_u32 s27, s17, s3
	s_load_dword s26, s[26:27], 0x0
	ds_read_b32 v10, v0 offset:1024
	s_mov_b32 s27, 0
	s_waitcnt lgkmcnt(0)
	s_sub_i32 s26, s26, s13
	s_cmp_le_i32 s26, s25
	v_cmp_ge_i32_e32 vcc, s24, v10
	s_cselect_b64 s[28:29], -1, 0
	s_and_b64 s[28:29], s[28:29], vcc
	s_andn2_b64 vcc, exec, s[28:29]
	s_waitcnt vmcnt(0)
	ds_write2_b64 v23, v[2:3], v[4:5] offset1:1
	s_cbranch_vccnz .LBB61_32
; %bb.21:                               ;   in Loop: Header=BB61_19 Depth=1
	s_mov_b32 s34, 0
	s_mov_b32 s35, 0
.LBB61_22:                              ;   Parent Loop BB61_19 Depth=1
                                        ; =>  This Inner Loop Header: Depth=2
	s_ashr_i32 s27, s26, 31
	s_lshl_b64 s[28:29], s[26:27], 2
	s_add_u32 s28, s18, s28
	s_addc_u32 s29, s19, s29
	s_load_dword s27, s[28:29], 0x0
	s_lshl_b32 s28, s35, 2
	v_mov_b32_e32 v2, s28
	ds_read_b32 v2, v2 offset:1024
	s_mov_b64 s[28:29], -1
	s_waitcnt lgkmcnt(0)
	s_sub_i32 s39, s27, s13
                                        ; implicit-def: $sgpr27
                                        ; implicit-def: $sgpr38
                                        ; implicit-def: $sgpr37
	v_cmp_ge_i32_e32 vcc, s39, v2
	v_readfirstlane_b32 s36, v2
	s_cbranch_vccz .LBB61_28
; %bb.23:                               ;   in Loop: Header=BB61_22 Depth=2
	s_cmp_le_i32 s39, s36
                                        ; implicit-def: $sgpr27
                                        ; implicit-def: $sgpr38
                                        ; implicit-def: $sgpr37
	s_cbranch_scc0 .LBB61_25
; %bb.24:                               ;   in Loop: Header=BB61_22 Depth=2
	s_add_i32 s27, s35, s31
	s_mul_i32 s27, s27, 9
	s_lshl_b32 s28, s34, 2
	v_mov_b32_e32 v3, s27
	s_mul_i32 s27, s26, 9
	v_mov_b32_e32 v2, s28
	v_mov_b32_e32 v4, s27
	ds_write2_b32 v2, v4, v3 offset0:192 offset1:224
	s_add_i32 s37, s35, 1
	s_add_i32 s38, s26, 1
	;; [unrolled: 1-line block ×3, first 2 shown]
	s_mov_b64 s[28:29], 0
.LBB61_25:                              ;   in Loop: Header=BB61_22 Depth=2
	s_andn2_b64 vcc, exec, s[28:29]
	s_cbranch_vccnz .LBB61_27
; %bb.26:                               ;   in Loop: Header=BB61_22 Depth=2
	s_add_i32 s37, s35, 1
	s_mov_b32 s27, s34
	s_mov_b32 s38, s26
.LBB61_27:                              ;   in Loop: Header=BB61_22 Depth=2
	s_mov_b64 s[28:29], 0
.LBB61_28:                              ;   in Loop: Header=BB61_22 Depth=2
	s_andn2_b64 vcc, exec, s[28:29]
	s_cbranch_vccnz .LBB61_30
; %bb.29:                               ;   in Loop: Header=BB61_22 Depth=2
	s_add_i32 s38, s26, 1
	s_mov_b32 s37, s35
	s_mov_b32 s27, s34
.LBB61_30:                              ;   in Loop: Header=BB61_22 Depth=2
	s_cmp_le_i32 s38, s25
	s_cselect_b64 s[28:29], -1, 0
	s_cmp_le_i32 s36, s24
	s_cselect_b64 s[34:35], -1, 0
	s_and_b64 s[28:29], s[28:29], s[34:35]
	s_and_b64 vcc, exec, s[28:29]
	s_cbranch_vccz .LBB61_32
; %bb.31:                               ;   in Loop: Header=BB61_22 Depth=2
	s_mov_b32 s34, s27
	s_mov_b32 s26, s38
	;; [unrolled: 1-line block ×3, first 2 shown]
	s_branch .LBB61_22
.LBB61_32:                              ;   in Loop: Header=BB61_19 Depth=1
	s_add_u32 s2, s10, s2
	s_addc_u32 s3, s11, s3
	s_waitcnt lgkmcnt(0)
.LBB61_33:                              ;   Parent Loop BB61_19 Depth=1
                                        ; =>  This Inner Loop Header: Depth=2
	global_load_dword v2, v0, s[2:3] glc
	s_waitcnt vmcnt(0)
	v_cmp_eq_u32_e32 vcc, 0, v2
	s_cbranch_vccnz .LBB61_33
; %bb.34:                               ;   in Loop: Header=BB61_19 Depth=1
	v_mad_u64_u32 v[2:3], s[2:3], s25, 9, v[6:7]
	v_ashrrev_i32_e32 v3, 31, v2
	v_lshlrev_b64 v[2:3], 4, v[2:3]
	v_mov_b32_e32 v4, s21
	v_add_co_u32_e32 v2, vcc, s20, v2
	v_addc_co_u32_e32 v3, vcc, v4, v3, vcc
	buffer_wbinvl1_vol
	global_load_dwordx4 v[10:13], v[2:3], off
	v_pk_mov_b32 v[4:5], 0, 0
	s_cmp_lt_i32 s27, 2
	v_pk_mov_b32 v[2:3], v[4:5], v[4:5] op_sel:[0,1]
	s_waitcnt vmcnt(0)
	ds_write2_b64 v24, v[10:11], v[12:13] offset1:1
	s_waitcnt lgkmcnt(0)
	s_cbranch_scc1 .LBB61_41
; %bb.35:                               ;   in Loop: Header=BB61_19 Depth=1
	v_pk_mov_b32 v[12:13], 0, 0
	s_add_i32 s24, s27, -1
	s_movk_i32 s25, 0x300
	v_pk_mov_b32 v[10:11], v[12:13], v[12:13] op_sel:[0,1]
	v_mov_b32_e32 v2, s25
	ds_read2_b32 v[14:15], v2 offset1:32
	s_and_b64 vcc, exec, s[4:5]
	s_cbranch_vccz .LBB61_37
.LBB61_36:                              ;   in Loop: Header=BB61_19 Depth=1
	s_waitcnt lgkmcnt(0)
	v_add_u32_e32 v2, v14, v16
	v_ashrrev_i32_e32 v3, 31, v2
	v_lshlrev_b64 v[4:5], 4, v[2:3]
	v_add_u32_e32 v46, v15, v17
	v_mov_b32_e32 v29, s21
	v_add_co_u32_e32 v4, vcc, s20, v4
	v_ashrrev_i32_e32 v47, 31, v46
	v_addc_co_u32_e32 v5, vcc, v29, v5, vcc
	v_lshlrev_b64 v[30:31], 4, v[46:47]
	v_add_co_u32_e32 v38, vcc, s20, v30
	v_addc_co_u32_e32 v39, vcc, v29, v31, vcc
	global_load_dwordx4 v[30:33], v[4:5], off
	global_load_dwordx4 v[34:37], v[38:39], off
	v_add_u32_e32 v4, 3, v2
	v_ashrrev_i32_e32 v5, 31, v4
	v_lshlrev_b64 v[4:5], 4, v[4:5]
	v_add_u32_e32 v38, 3, v46
	v_add_co_u32_e32 v4, vcc, s20, v4
	v_ashrrev_i32_e32 v39, 31, v38
	v_addc_co_u32_e32 v5, vcc, v29, v5, vcc
	v_lshlrev_b64 v[38:39], 4, v[38:39]
	v_add_u32_e32 v2, 6, v2
	v_add_co_u32_e32 v48, vcc, s20, v38
	v_ashrrev_i32_e32 v3, 31, v2
	v_addc_co_u32_e32 v49, vcc, v29, v39, vcc
	global_load_dwordx4 v[38:41], v[4:5], off
	global_load_dwordx4 v[42:45], v[48:49], off
	v_lshlrev_b64 v[2:3], 4, v[2:3]
	v_add_u32_e32 v4, 6, v46
	v_add_co_u32_e32 v2, vcc, s20, v2
	v_ashrrev_i32_e32 v5, 31, v4
	v_addc_co_u32_e32 v3, vcc, v29, v3, vcc
	v_lshlrev_b64 v[4:5], 4, v[4:5]
	v_add_co_u32_e32 v4, vcc, s20, v4
	v_addc_co_u32_e32 v5, vcc, v29, v5, vcc
	global_load_dwordx4 v[46:49], v[2:3], off
	global_load_dwordx4 v[50:53], v[4:5], off
	s_waitcnt vmcnt(4)
	v_fma_f64 v[2:3], v[30:31], v[34:35], v[10:11]
	v_fma_f64 v[4:5], v[32:33], v[34:35], v[12:13]
	v_fmac_f64_e32 v[2:3], v[32:33], v[36:37]
	v_fma_f64 v[4:5], v[30:31], -v[36:37], v[4:5]
	s_waitcnt vmcnt(2)
	v_fmac_f64_e32 v[2:3], v[38:39], v[42:43]
	v_fmac_f64_e32 v[4:5], v[40:41], v[42:43]
	;; [unrolled: 1-line block ×3, first 2 shown]
	v_fma_f64 v[4:5], v[38:39], -v[44:45], v[4:5]
	s_waitcnt vmcnt(0)
	v_fmac_f64_e32 v[2:3], v[46:47], v[50:51]
	v_fmac_f64_e32 v[4:5], v[48:49], v[50:51]
	;; [unrolled: 1-line block ×3, first 2 shown]
	v_fma_f64 v[4:5], v[46:47], -v[52:53], v[4:5]
	s_cbranch_execz .LBB61_38
	s_branch .LBB61_39
.LBB61_37:                              ;   in Loop: Header=BB61_19 Depth=1
                                        ; implicit-def: $vgpr4_vgpr5
.LBB61_38:                              ;   in Loop: Header=BB61_19 Depth=1
	s_waitcnt lgkmcnt(0)
	v_add_u32_e32 v2, v14, v1
	v_ashrrev_i32_e32 v3, 31, v2
	v_lshlrev_b64 v[2:3], 4, v[2:3]
	v_mov_b32_e32 v29, s21
	v_add_co_u32_e32 v50, vcc, s20, v2
	v_addc_co_u32_e32 v51, vcc, v29, v3, vcc
	v_add_u32_e32 v14, v15, v20
	global_load_dwordx4 v[2:5], v[50:51], off
	v_ashrrev_i32_e32 v15, 31, v14
	v_lshlrev_b64 v[14:15], 4, v[14:15]
	v_add_co_u32_e32 v14, vcc, s20, v14
	v_addc_co_u32_e32 v15, vcc, v29, v15, vcc
	global_load_dwordx4 v[30:33], v[14:15], off
	global_load_dwordx4 v[34:37], v[50:51], off offset:16
	global_load_dwordx4 v[38:41], v[14:15], off offset:16
	;; [unrolled: 1-line block ×4, first 2 shown]
	s_waitcnt vmcnt(4)
	v_fmac_f64_e32 v[10:11], v[2:3], v[30:31]
	v_fmac_f64_e32 v[12:13], v[4:5], v[30:31]
	v_fmac_f64_e32 v[10:11], v[4:5], v[32:33]
	v_fma_f64 v[2:3], v[2:3], -v[32:33], v[12:13]
	s_waitcnt vmcnt(2)
	v_fmac_f64_e32 v[10:11], v[34:35], v[38:39]
	v_fmac_f64_e32 v[2:3], v[36:37], v[38:39]
	v_fmac_f64_e32 v[10:11], v[36:37], v[40:41]
	v_fma_f64 v[2:3], v[34:35], -v[40:41], v[2:3]
	;; [unrolled: 5-line block ×3, first 2 shown]
	v_pk_mov_b32 v[2:3], v[10:11], v[10:11] op_sel:[0,1]
.LBB61_39:                              ;   in Loop: Header=BB61_19 Depth=1
	s_add_i32 s24, s24, -1
	s_add_i32 s25, s25, 4
	s_cmp_eq_u32 s24, 0
	s_cbranch_scc1 .LBB61_41
; %bb.40:                               ;   in Loop: Header=BB61_19 Depth=1
	v_pk_mov_b32 v[12:13], v[4:5], v[4:5] op_sel:[0,1]
	v_pk_mov_b32 v[10:11], v[2:3], v[2:3] op_sel:[0,1]
	v_mov_b32_e32 v2, s25
	s_waitcnt lgkmcnt(0)
	ds_read2_b32 v[14:15], v2 offset1:32
	s_and_b64 vcc, exec, s[4:5]
	s_cbranch_vccz .LBB61_37
	s_branch .LBB61_36
.LBB61_41:                              ;   in Loop: Header=BB61_19 Depth=1
	ds_write_b128 v26, v[2:5]
	s_waitcnt lgkmcnt(0)
	ds_read_b128 v[10:13], v0
	ds_read_b128 v[2:5], v22
	s_waitcnt lgkmcnt(1)
	v_cmp_neq_f64_e32 vcc, 0, v[10:11]
	v_cmp_neq_f64_e64 s[2:3], 0, v[12:13]
	s_or_b64 vcc, vcc, s[2:3]
	s_or_b64 s[2:3], vcc, s[0:1]
	v_cndmask_b32_e32 v11, v28, v11, vcc
	s_xor_b64 s[24:25], s[2:3], -1
	v_cndmask_b32_e32 v10, 0, v10, vcc
	v_cndmask_b32_e32 v13, 0, v13, vcc
	;; [unrolled: 1-line block ×3, first 2 shown]
	s_and_saveexec_b64 s[2:3], s[24:25]
	s_cbranch_execz .LBB61_45
; %bb.42:                               ;   in Loop: Header=BB61_19 Depth=1
	v_mbcnt_lo_u32_b32 v10, exec_lo, 0
	v_mbcnt_hi_u32_b32 v10, exec_hi, v10
	v_cmp_eq_u32_e32 vcc, 0, v10
	s_and_saveexec_b64 s[24:25], vcc
	s_cbranch_execz .LBB61_44
; %bb.43:                               ;   in Loop: Header=BB61_19 Depth=1
	v_mov_b32_e32 v10, s23
	global_atomic_smin v0, v10, s[14:15]
.LBB61_44:                              ;   in Loop: Header=BB61_19 Depth=1
	s_or_b64 exec, exec, s[24:25]
	v_mov_b32_e32 v10, 0
	v_mov_b32_e32 v11, 0x3ff00000
	v_pk_mov_b32 v[12:13], 0, 0
.LBB61_45:                              ;   in Loop: Header=BB61_19 Depth=1
	s_or_b64 exec, exec, s[2:3]
	v_mul_f64 v[14:15], v[12:13], v[12:13]
	v_fmac_f64_e32 v[14:15], v[10:11], v[10:11]
	ds_read_b128 v[30:33], v25
	v_div_scale_f64 v[34:35], s[2:3], v[14:15], v[14:15], 1.0
	v_rcp_f64_e32 v[36:37], v[34:35]
	s_waitcnt lgkmcnt(0)
	v_add_f64 v[30:31], v[2:3], -v[30:31]
	v_add_f64 v[4:5], v[4:5], -v[32:33]
	v_fma_f64 v[2:3], -v[34:35], v[36:37], 1.0
	v_fmac_f64_e32 v[36:37], v[36:37], v[2:3]
	v_fma_f64 v[2:3], -v[34:35], v[36:37], 1.0
	v_fmac_f64_e32 v[36:37], v[36:37], v[2:3]
	v_div_scale_f64 v[2:3], vcc, 1.0, v[14:15], 1.0
	v_mul_f64 v[32:33], v[2:3], v[36:37]
	v_fma_f64 v[2:3], -v[34:35], v[32:33], v[2:3]
	s_nop 1
	v_div_fmas_f64 v[2:3], v[2:3], v[36:37], v[32:33]
	v_div_fixup_f64 v[14:15], v[2:3], v[14:15], 1.0
	v_mul_f64 v[2:3], v[12:13], v[4:5]
	v_mul_f64 v[12:13], v[12:13], -v[30:31]
	v_fmac_f64_e32 v[2:3], v[30:31], v[10:11]
	v_fmac_f64_e32 v[12:13], v[4:5], v[10:11]
	v_mul_f64 v[2:3], v[14:15], v[2:3]
	v_mul_f64 v[4:5], v[14:15], v[12:13]
	ds_write_b128 v22, v[2:5]
	s_waitcnt lgkmcnt(0)
	ds_read_b128 v[10:13], v27
	ds_read_b128 v[30:33], v19
	s_waitcnt lgkmcnt(0)
	v_fmac_f64_e32 v[30:31], v[2:3], v[10:11]
	v_fmac_f64_e32 v[32:33], v[4:5], v[10:11]
	;; [unrolled: 1-line block ×3, first 2 shown]
	v_fma_f64 v[32:33], v[2:3], -v[12:13], v[32:33]
	ds_write_b128 v19, v[30:33]
	s_waitcnt lgkmcnt(0)
	ds_read_b128 v[10:13], v0 offset:80
	ds_read_b128 v[2:5], v22 offset:16
	s_waitcnt lgkmcnt(1)
	v_cmp_neq_f64_e32 vcc, 0, v[10:11]
	v_cmp_neq_f64_e64 s[2:3], 0, v[12:13]
	s_or_b64 vcc, vcc, s[2:3]
	s_or_b64 s[2:3], vcc, s[0:1]
	v_cndmask_b32_e32 v11, v28, v11, vcc
	s_xor_b64 s[24:25], s[2:3], -1
	v_cndmask_b32_e32 v10, 0, v10, vcc
	v_cndmask_b32_e32 v13, 0, v13, vcc
	;; [unrolled: 1-line block ×3, first 2 shown]
	s_and_saveexec_b64 s[2:3], s[24:25]
	s_cbranch_execz .LBB61_49
; %bb.46:                               ;   in Loop: Header=BB61_19 Depth=1
	v_mbcnt_lo_u32_b32 v10, exec_lo, 0
	v_mbcnt_hi_u32_b32 v10, exec_hi, v10
	v_cmp_eq_u32_e32 vcc, 0, v10
	s_and_saveexec_b64 s[24:25], vcc
	s_cbranch_execz .LBB61_48
; %bb.47:                               ;   in Loop: Header=BB61_19 Depth=1
	v_mov_b32_e32 v10, s23
	global_atomic_smin v0, v10, s[14:15]
.LBB61_48:                              ;   in Loop: Header=BB61_19 Depth=1
	s_or_b64 exec, exec, s[24:25]
	v_mov_b32_e32 v10, 0
	v_mov_b32_e32 v11, 0x3ff00000
	v_pk_mov_b32 v[12:13], 0, 0
.LBB61_49:                              ;   in Loop: Header=BB61_19 Depth=1
	s_or_b64 exec, exec, s[2:3]
	ds_read_b128 v[30:33], v0 offset:64
	ds_read_b128 v[34:37], v22
	ds_read_b128 v[38:41], v25 offset:16
	v_mul_f64 v[14:15], v[12:13], v[12:13]
	v_fmac_f64_e32 v[14:15], v[10:11], v[10:11]
	s_waitcnt lgkmcnt(0)
	v_fmac_f64_e32 v[40:41], v[32:33], v[34:35]
	v_fmac_f64_e32 v[38:39], v[30:31], v[34:35]
	v_div_scale_f64 v[34:35], s[2:3], v[14:15], v[14:15], 1.0
	v_fma_f64 v[30:31], v[30:31], -v[36:37], v[40:41]
	v_rcp_f64_e32 v[40:41], v[34:35]
	v_fmac_f64_e32 v[38:39], v[32:33], v[36:37]
	v_add_f64 v[32:33], v[2:3], -v[38:39]
	v_add_f64 v[4:5], v[4:5], -v[30:31]
	v_fma_f64 v[2:3], -v[34:35], v[40:41], 1.0
	v_fmac_f64_e32 v[40:41], v[40:41], v[2:3]
	v_fma_f64 v[2:3], -v[34:35], v[40:41], 1.0
	v_fmac_f64_e32 v[40:41], v[40:41], v[2:3]
	v_div_scale_f64 v[2:3], vcc, 1.0, v[14:15], 1.0
	v_mul_f64 v[30:31], v[2:3], v[40:41]
	v_fma_f64 v[2:3], -v[34:35], v[30:31], v[2:3]
	s_nop 1
	v_div_fmas_f64 v[2:3], v[2:3], v[40:41], v[30:31]
	v_div_fixup_f64 v[14:15], v[2:3], v[14:15], 1.0
	v_mul_f64 v[2:3], v[12:13], v[4:5]
	v_mul_f64 v[12:13], v[12:13], -v[32:33]
	v_fmac_f64_e32 v[2:3], v[32:33], v[10:11]
	v_fmac_f64_e32 v[12:13], v[4:5], v[10:11]
	v_mul_f64 v[2:3], v[14:15], v[2:3]
	v_mul_f64 v[4:5], v[14:15], v[12:13]
	ds_write_b128 v22, v[2:5] offset:16
	s_waitcnt lgkmcnt(0)
	ds_read_b128 v[10:13], v27 offset:16
	ds_read_b128 v[30:33], v19
	s_waitcnt lgkmcnt(0)
	v_fmac_f64_e32 v[30:31], v[2:3], v[10:11]
	v_fmac_f64_e32 v[32:33], v[4:5], v[10:11]
	;; [unrolled: 1-line block ×3, first 2 shown]
	v_fma_f64 v[32:33], v[2:3], -v[12:13], v[32:33]
	ds_write_b128 v19, v[30:33]
	s_waitcnt lgkmcnt(0)
	ds_read_b128 v[10:13], v0 offset:160
	ds_read_b128 v[2:5], v22 offset:32
	s_waitcnt lgkmcnt(1)
	v_cmp_neq_f64_e32 vcc, 0, v[10:11]
	v_cmp_neq_f64_e64 s[2:3], 0, v[12:13]
	s_or_b64 vcc, vcc, s[2:3]
	s_or_b64 s[2:3], vcc, s[0:1]
	v_cndmask_b32_e32 v11, v28, v11, vcc
	s_xor_b64 s[24:25], s[2:3], -1
	v_cndmask_b32_e32 v10, 0, v10, vcc
	v_cndmask_b32_e32 v13, 0, v13, vcc
	;; [unrolled: 1-line block ×3, first 2 shown]
	s_and_saveexec_b64 s[2:3], s[24:25]
	s_cbranch_execz .LBB61_17
; %bb.50:                               ;   in Loop: Header=BB61_19 Depth=1
	v_mbcnt_lo_u32_b32 v10, exec_lo, 0
	v_mbcnt_hi_u32_b32 v10, exec_hi, v10
	v_cmp_eq_u32_e32 vcc, 0, v10
	s_and_saveexec_b64 s[24:25], vcc
	s_cbranch_execz .LBB61_16
; %bb.51:                               ;   in Loop: Header=BB61_19 Depth=1
	v_mov_b32_e32 v10, s23
	global_atomic_smin v0, v10, s[14:15]
	s_branch .LBB61_16
.LBB61_52:
	s_cmp_lg_u32 s33, 0
	s_cselect_b64 s[8:9], -1, 0
	s_cmp_eq_u32 s33, 0
	v_mov_b32_e32 v0, v18
	s_cbranch_scc1 .LBB61_54
; %bb.53:
	v_mad_u32_u24 v0, v16, 3, v17
.LBB61_54:
	s_mul_i32 s30, s30, 9
	v_add_u32_e32 v0, s30, v0
	v_ashrrev_i32_e32 v1, 31, v0
	v_lshlrev_b64 v[0:1], 4, v[0:1]
	v_mov_b32_e32 v2, s21
	v_add_co_u32_e32 v0, vcc, s20, v0
	v_addc_co_u32_e32 v1, vcc, v2, v1, vcc
	global_load_dwordx4 v[0:3], v[0:1], off
	v_cmp_ne_u32_e64 s[2:3], 0, v17
	v_cmp_eq_u32_e32 vcc, 0, v17
	s_waitcnt vmcnt(0)
	ds_write2_b64 v21, v[0:1], v[2:3] offset0:48 offset1:49
	s_waitcnt lgkmcnt(0)
	s_and_saveexec_b64 s[0:1], vcc
	s_cbranch_execz .LBB61_63
; %bb.55:
	v_mov_b32_e32 v4, 0
	ds_read_b128 v[0:3], v4 offset:576
	ds_read_b128 v[8:11], v4 offset:384
	s_waitcnt lgkmcnt(0)
	v_add_f64 v[0:1], v[8:9], -v[0:1]
	v_add_f64 v[4:5], v[10:11], -v[2:3]
	v_xor_b32_e32 v2, 0x80000000, v1
	v_cmp_gt_f64_e32 vcc, 0, v[0:1]
	v_cndmask_b32_e32 v1, v1, v2, vcc
	v_cndmask_b32_e32 v0, v0, v0, vcc
	v_xor_b32_e32 v2, 0x80000000, v5
	v_cmp_gt_f64_e32 vcc, 0, v[4:5]
	v_cndmask_b32_e32 v3, v5, v2, vcc
	v_cndmask_b32_e32 v2, v4, v4, vcc
	v_cmp_ngt_f64_e32 vcc, v[0:1], v[2:3]
	s_cbranch_vccz .LBB61_59
; %bb.56:
	v_cmp_eq_f64_e32 vcc, 0, v[4:5]
	s_mov_b64 s[4:5], 0
	v_pk_mov_b32 v[4:5], 0, 0
	s_cbranch_vccnz .LBB61_60
; %bb.57:
	v_div_scale_f64 v[4:5], s[16:17], v[2:3], v[2:3], v[0:1]
	v_rcp_f64_e32 v[8:9], v[4:5]
	v_div_scale_f64 v[10:11], vcc, v[0:1], v[2:3], v[0:1]
	s_mov_b32 s16, 0
	v_fma_f64 v[12:13], -v[4:5], v[8:9], 1.0
	v_fmac_f64_e32 v[8:9], v[8:9], v[12:13]
	v_fma_f64 v[12:13], -v[4:5], v[8:9], 1.0
	v_fmac_f64_e32 v[8:9], v[8:9], v[12:13]
	v_mul_f64 v[12:13], v[10:11], v[8:9]
	v_fma_f64 v[4:5], -v[4:5], v[12:13], v[10:11]
	v_div_fmas_f64 v[4:5], v[4:5], v[8:9], v[12:13]
	v_div_fixup_f64 v[4:5], v[4:5], v[2:3], v[0:1]
	v_fma_f64 v[4:5], v[4:5], v[4:5], 1.0
	s_brev_b32 s17, 8
	v_cmp_gt_f64_e32 vcc, s[16:17], v[4:5]
	v_cndmask_b32_e64 v6, 0, 1, vcc
	v_lshlrev_b32_e32 v6, 8, v6
	v_ldexp_f64 v[4:5], v[4:5], v6
	v_rsq_f64_e32 v[8:9], v[4:5]
	s_and_b64 s[16:17], vcc, exec
	s_cselect_b32 s16, 0xffffff80, 0
	v_mov_b32_e32 v6, 0x260
	v_mul_f64 v[10:11], v[4:5], v[8:9]
	v_mul_f64 v[8:9], v[8:9], 0.5
	v_fma_f64 v[12:13], -v[8:9], v[10:11], 0.5
	v_fmac_f64_e32 v[10:11], v[10:11], v[12:13]
	v_fma_f64 v[14:15], -v[10:11], v[10:11], v[4:5]
	v_fmac_f64_e32 v[8:9], v[8:9], v[12:13]
	v_fmac_f64_e32 v[10:11], v[14:15], v[8:9]
	v_fma_f64 v[12:13], -v[10:11], v[10:11], v[4:5]
	v_fmac_f64_e32 v[10:11], v[12:13], v[8:9]
	v_ldexp_f64 v[8:9], v[10:11], s16
	v_cmp_class_f64_e32 vcc, v[4:5], v6
	v_cndmask_b32_e32 v5, v9, v5, vcc
	v_cndmask_b32_e32 v4, v8, v4, vcc
	v_mul_f64 v[4:5], v[2:3], v[4:5]
	s_branch .LBB61_60
.LBB61_58:
	s_mov_b64 s[0:1], 0
	s_cbranch_execnz .LBB61_96
	s_branch .LBB61_101
.LBB61_59:
	s_mov_b64 s[4:5], -1
                                        ; implicit-def: $vgpr4_vgpr5
.LBB61_60:
	s_andn2_b64 vcc, exec, s[4:5]
	s_cbranch_vccnz .LBB61_62
; %bb.61:
	v_div_scale_f64 v[4:5], s[4:5], v[0:1], v[0:1], v[2:3]
	v_rcp_f64_e32 v[8:9], v[4:5]
	v_div_scale_f64 v[10:11], vcc, v[2:3], v[0:1], v[2:3]
	s_mov_b32 s4, 0
	v_fma_f64 v[12:13], -v[4:5], v[8:9], 1.0
	v_fmac_f64_e32 v[8:9], v[8:9], v[12:13]
	v_fma_f64 v[12:13], -v[4:5], v[8:9], 1.0
	v_fmac_f64_e32 v[8:9], v[8:9], v[12:13]
	v_mul_f64 v[12:13], v[10:11], v[8:9]
	v_fma_f64 v[4:5], -v[4:5], v[12:13], v[10:11]
	v_div_fmas_f64 v[4:5], v[4:5], v[8:9], v[12:13]
	v_div_fixup_f64 v[2:3], v[4:5], v[0:1], v[2:3]
	v_fma_f64 v[2:3], v[2:3], v[2:3], 1.0
	s_brev_b32 s5, 8
	v_cmp_gt_f64_e32 vcc, s[4:5], v[2:3]
	v_cndmask_b32_e64 v4, 0, 1, vcc
	v_lshlrev_b32_e32 v4, 8, v4
	v_ldexp_f64 v[2:3], v[2:3], v4
	v_rsq_f64_e32 v[4:5], v[2:3]
	s_and_b64 s[4:5], vcc, exec
	s_cselect_b32 s4, 0xffffff80, 0
	v_mov_b32_e32 v6, 0x260
	v_mul_f64 v[8:9], v[2:3], v[4:5]
	v_mul_f64 v[4:5], v[4:5], 0.5
	v_fma_f64 v[10:11], -v[4:5], v[8:9], 0.5
	v_fmac_f64_e32 v[8:9], v[8:9], v[10:11]
	v_fma_f64 v[12:13], -v[8:9], v[8:9], v[2:3]
	v_fmac_f64_e32 v[4:5], v[4:5], v[10:11]
	v_fmac_f64_e32 v[8:9], v[12:13], v[4:5]
	v_fma_f64 v[10:11], -v[8:9], v[8:9], v[2:3]
	v_fmac_f64_e32 v[8:9], v[10:11], v[4:5]
	v_ldexp_f64 v[4:5], v[8:9], s4
	v_cmp_class_f64_e32 vcc, v[2:3], v6
	v_cndmask_b32_e32 v3, v5, v3, vcc
	v_cndmask_b32_e32 v2, v4, v2, vcc
	v_mul_f64 v[4:5], v[0:1], v[2:3]
.LBB61_62:
	s_mov_b32 s4, 0
	s_brev_b32 s5, 8
	v_cmp_gt_f64_e32 vcc, s[4:5], v[4:5]
	v_cndmask_b32_e64 v0, 0, 1, vcc
	v_lshlrev_b32_e32 v0, 8, v0
	v_ldexp_f64 v[0:1], v[4:5], v0
	v_rsq_f64_e32 v[2:3], v[0:1]
	s_and_b64 s[4:5], vcc, exec
	s_cselect_b32 s4, 0xffffff80, 0
	v_mul_f64 v[4:5], v[0:1], v[2:3]
	v_mul_f64 v[2:3], v[2:3], 0.5
	v_fma_f64 v[8:9], -v[2:3], v[4:5], 0.5
	v_fmac_f64_e32 v[4:5], v[4:5], v[8:9]
	v_fma_f64 v[10:11], -v[4:5], v[4:5], v[0:1]
	v_fmac_f64_e32 v[2:3], v[2:3], v[8:9]
	v_fmac_f64_e32 v[4:5], v[10:11], v[2:3]
	v_fma_f64 v[8:9], -v[4:5], v[4:5], v[0:1]
	v_fmac_f64_e32 v[4:5], v[8:9], v[2:3]
	v_ldexp_f64 v[2:3], v[4:5], s4
	v_mov_b32_e32 v4, 0x260
	v_cmp_class_f64_e32 vcc, v[0:1], v4
	v_cndmask_b32_e32 v0, v2, v0, vcc
	v_mov_b32_e32 v2, 0
	v_cndmask_b32_e32 v1, v3, v1, vcc
	v_mov_b32_e32 v3, v2
	ds_write_b128 v2, v[0:3] offset:384
.LBB61_63:
	s_or_b64 exec, exec, s[0:1]
	v_mov_b32_e32 v0, 0
	s_waitcnt lgkmcnt(0)
	ds_read_b128 v[0:3], v0 offset:384
	v_or_b32_e32 v8, v16, v17
	v_cmp_ne_u32_e64 s[0:1], 0, v8
	v_mov_b32_e32 v4, 0x3ff00000
	v_add_u32_e32 v6, 0x180, v21
	s_waitcnt lgkmcnt(0)
	v_cmp_neq_f64_e32 vcc, 0, v[0:1]
	v_cmp_neq_f64_e64 s[4:5], 0, v[2:3]
	s_or_b64 vcc, vcc, s[4:5]
	s_or_b64 s[4:5], vcc, s[0:1]
	s_add_i32 s18, s12, s13
	v_cndmask_b32_e32 v1, v4, v1, vcc
	s_xor_b64 s[16:17], s[4:5], -1
	v_cndmask_b32_e32 v0, 0, v0, vcc
	v_cndmask_b32_e32 v3, 0, v3, vcc
	v_cndmask_b32_e32 v2, 0, v2, vcc
	s_and_saveexec_b64 s[4:5], s[16:17]
	s_cbranch_execz .LBB61_67
; %bb.64:
	v_mbcnt_lo_u32_b32 v0, exec_lo, 0
	v_mbcnt_hi_u32_b32 v0, exec_hi, v0
	v_cmp_eq_u32_e32 vcc, 0, v0
	s_and_saveexec_b64 s[16:17], vcc
	s_cbranch_execz .LBB61_66
; %bb.65:
	v_mov_b32_e32 v0, 0
	v_mov_b32_e32 v1, s18
	global_atomic_smin v0, v1, s[14:15]
.LBB61_66:
	s_or_b64 exec, exec, s[16:17]
	v_mov_b32_e32 v0, 0
	v_mov_b32_e32 v1, 0x3ff00000
	v_pk_mov_b32 v[2:3], 0, 0
.LBB61_67:
	s_or_b64 exec, exec, s[4:5]
	s_and_saveexec_b64 s[4:5], s[2:3]
	s_cbranch_execz .LBB61_69
; %bb.68:
	v_mul_f64 v[4:5], v[2:3], v[2:3]
	v_lshlrev_b32_e32 v9, 6, v17
	v_fmac_f64_e32 v[4:5], v[0:1], v[0:1]
	ds_read_b128 v[10:13], v9 offset:384
	ds_read_b128 v[20:23], v9 offset:576
	v_div_scale_f64 v[14:15], s[2:3], v[4:5], v[4:5], 1.0
	v_rcp_f64_e32 v[24:25], v[14:15]
	s_waitcnt lgkmcnt(0)
	v_add_f64 v[20:21], v[10:11], -v[20:21]
	v_add_f64 v[12:13], v[12:13], -v[22:23]
	v_fma_f64 v[10:11], -v[14:15], v[24:25], 1.0
	v_fmac_f64_e32 v[24:25], v[24:25], v[10:11]
	v_fma_f64 v[10:11], -v[14:15], v[24:25], 1.0
	v_fmac_f64_e32 v[24:25], v[24:25], v[10:11]
	v_div_scale_f64 v[10:11], vcc, 1.0, v[4:5], 1.0
	v_mul_f64 v[22:23], v[10:11], v[24:25]
	v_fma_f64 v[10:11], -v[14:15], v[22:23], v[10:11]
	s_nop 1
	v_div_fmas_f64 v[10:11], v[10:11], v[24:25], v[22:23]
	v_div_fixup_f64 v[4:5], v[10:11], v[4:5], 1.0
	v_mul_f64 v[10:11], v[2:3], v[12:13]
	v_mul_f64 v[2:3], v[2:3], -v[20:21]
	v_fmac_f64_e32 v[10:11], v[20:21], v[0:1]
	v_fmac_f64_e32 v[2:3], v[12:13], v[0:1]
	v_mul_f64 v[10:11], v[4:5], v[10:11]
	v_mul_f64 v[12:13], v[4:5], v[2:3]
	v_lshlrev_b32_e32 v0, 6, v16
	ds_write_b128 v9, v[10:13] offset:384
	s_waitcnt lgkmcnt(0)
	ds_read_b128 v[0:3], v0 offset:384
	ds_read_b128 v[20:23], v19
	s_waitcnt lgkmcnt(0)
	v_fmac_f64_e32 v[20:21], v[10:11], v[0:1]
	v_fmac_f64_e32 v[22:23], v[12:13], v[0:1]
	;; [unrolled: 1-line block ×3, first 2 shown]
	v_fma_f64 v[22:23], v[10:11], -v[2:3], v[22:23]
	ds_write_b128 v19, v[20:23]
.LBB61_69:
	s_or_b64 exec, exec, s[4:5]
	v_cmp_eq_u32_e32 vcc, 1, v17
	s_waitcnt lgkmcnt(0)
	s_and_saveexec_b64 s[2:3], vcc
	s_cbranch_execz .LBB61_77
; %bb.70:
	v_mov_b32_e32 v4, 0
	ds_read_b128 v[0:3], v4 offset:656
	ds_read_b128 v[10:13], v4 offset:464
	s_waitcnt lgkmcnt(0)
	v_add_f64 v[0:1], v[10:11], -v[0:1]
	v_add_f64 v[4:5], v[12:13], -v[2:3]
	v_xor_b32_e32 v2, 0x80000000, v1
	v_cmp_gt_f64_e32 vcc, 0, v[0:1]
	v_cndmask_b32_e32 v1, v1, v2, vcc
	v_cndmask_b32_e32 v0, v0, v0, vcc
	v_xor_b32_e32 v2, 0x80000000, v5
	v_cmp_gt_f64_e32 vcc, 0, v[4:5]
	v_cndmask_b32_e32 v3, v5, v2, vcc
	v_cndmask_b32_e32 v2, v4, v4, vcc
	v_cmp_gt_f64_e32 vcc, v[0:1], v[2:3]
	s_cbranch_vccnz .LBB61_73
; %bb.71:
	v_cmp_eq_f64_e32 vcc, 0, v[4:5]
	s_mov_b64 s[4:5], 0
	v_pk_mov_b32 v[4:5], 0, 0
	s_cbranch_vccnz .LBB61_74
; %bb.72:
	v_div_scale_f64 v[4:5], s[16:17], v[2:3], v[2:3], v[0:1]
	v_rcp_f64_e32 v[10:11], v[4:5]
	v_div_scale_f64 v[12:13], vcc, v[0:1], v[2:3], v[0:1]
	s_mov_b32 s16, 0
	v_fma_f64 v[14:15], -v[4:5], v[10:11], 1.0
	v_fmac_f64_e32 v[10:11], v[10:11], v[14:15]
	v_fma_f64 v[14:15], -v[4:5], v[10:11], 1.0
	v_fmac_f64_e32 v[10:11], v[10:11], v[14:15]
	v_mul_f64 v[14:15], v[12:13], v[10:11]
	v_fma_f64 v[4:5], -v[4:5], v[14:15], v[12:13]
	v_div_fmas_f64 v[4:5], v[4:5], v[10:11], v[14:15]
	v_div_fixup_f64 v[4:5], v[4:5], v[2:3], v[0:1]
	v_fma_f64 v[4:5], v[4:5], v[4:5], 1.0
	s_brev_b32 s17, 8
	v_cmp_gt_f64_e32 vcc, s[16:17], v[4:5]
	v_cndmask_b32_e64 v9, 0, 1, vcc
	v_lshlrev_b32_e32 v9, 8, v9
	v_ldexp_f64 v[4:5], v[4:5], v9
	v_rsq_f64_e32 v[10:11], v[4:5]
	s_and_b64 s[16:17], vcc, exec
	s_cselect_b32 s16, 0xffffff80, 0
	v_mov_b32_e32 v9, 0x260
	v_mul_f64 v[12:13], v[4:5], v[10:11]
	v_mul_f64 v[10:11], v[10:11], 0.5
	v_fma_f64 v[14:15], -v[10:11], v[12:13], 0.5
	v_fmac_f64_e32 v[12:13], v[12:13], v[14:15]
	v_fma_f64 v[20:21], -v[12:13], v[12:13], v[4:5]
	v_fmac_f64_e32 v[10:11], v[10:11], v[14:15]
	v_fmac_f64_e32 v[12:13], v[20:21], v[10:11]
	v_fma_f64 v[14:15], -v[12:13], v[12:13], v[4:5]
	v_fmac_f64_e32 v[12:13], v[14:15], v[10:11]
	v_ldexp_f64 v[10:11], v[12:13], s16
	v_cmp_class_f64_e32 vcc, v[4:5], v9
	v_cndmask_b32_e32 v5, v11, v5, vcc
	v_cndmask_b32_e32 v4, v10, v4, vcc
	v_mul_f64 v[4:5], v[2:3], v[4:5]
	s_branch .LBB61_74
.LBB61_73:
	s_mov_b64 s[4:5], -1
                                        ; implicit-def: $vgpr4_vgpr5
.LBB61_74:
	s_andn2_b64 vcc, exec, s[4:5]
	s_cbranch_vccnz .LBB61_76
; %bb.75:
	v_div_scale_f64 v[4:5], s[4:5], v[0:1], v[0:1], v[2:3]
	v_rcp_f64_e32 v[10:11], v[4:5]
	v_div_scale_f64 v[12:13], vcc, v[2:3], v[0:1], v[2:3]
	s_mov_b32 s4, 0
	v_fma_f64 v[14:15], -v[4:5], v[10:11], 1.0
	v_fmac_f64_e32 v[10:11], v[10:11], v[14:15]
	v_fma_f64 v[14:15], -v[4:5], v[10:11], 1.0
	v_fmac_f64_e32 v[10:11], v[10:11], v[14:15]
	v_mul_f64 v[14:15], v[12:13], v[10:11]
	v_fma_f64 v[4:5], -v[4:5], v[14:15], v[12:13]
	v_div_fmas_f64 v[4:5], v[4:5], v[10:11], v[14:15]
	v_div_fixup_f64 v[2:3], v[4:5], v[0:1], v[2:3]
	v_fma_f64 v[2:3], v[2:3], v[2:3], 1.0
	s_brev_b32 s5, 8
	v_cmp_gt_f64_e32 vcc, s[4:5], v[2:3]
	v_cndmask_b32_e64 v4, 0, 1, vcc
	v_lshlrev_b32_e32 v4, 8, v4
	v_ldexp_f64 v[2:3], v[2:3], v4
	v_rsq_f64_e32 v[4:5], v[2:3]
	s_and_b64 s[4:5], vcc, exec
	s_cselect_b32 s4, 0xffffff80, 0
	v_mov_b32_e32 v9, 0x260
	v_mul_f64 v[10:11], v[2:3], v[4:5]
	v_mul_f64 v[4:5], v[4:5], 0.5
	v_fma_f64 v[12:13], -v[4:5], v[10:11], 0.5
	v_fmac_f64_e32 v[10:11], v[10:11], v[12:13]
	v_fma_f64 v[14:15], -v[10:11], v[10:11], v[2:3]
	v_fmac_f64_e32 v[4:5], v[4:5], v[12:13]
	v_fmac_f64_e32 v[10:11], v[14:15], v[4:5]
	v_fma_f64 v[12:13], -v[10:11], v[10:11], v[2:3]
	v_fmac_f64_e32 v[10:11], v[12:13], v[4:5]
	v_ldexp_f64 v[4:5], v[10:11], s4
	v_cmp_class_f64_e32 vcc, v[2:3], v9
	v_cndmask_b32_e32 v3, v5, v3, vcc
	v_cndmask_b32_e32 v2, v4, v2, vcc
	v_mul_f64 v[4:5], v[0:1], v[2:3]
.LBB61_76:
	s_mov_b32 s4, 0
	s_brev_b32 s5, 8
	v_cmp_gt_f64_e32 vcc, s[4:5], v[4:5]
	v_cndmask_b32_e64 v0, 0, 1, vcc
	v_lshlrev_b32_e32 v0, 8, v0
	v_ldexp_f64 v[0:1], v[4:5], v0
	v_rsq_f64_e32 v[2:3], v[0:1]
	s_and_b64 s[4:5], vcc, exec
	s_cselect_b32 s4, 0xffffff80, 0
	v_mul_f64 v[4:5], v[0:1], v[2:3]
	v_mul_f64 v[2:3], v[2:3], 0.5
	v_fma_f64 v[10:11], -v[2:3], v[4:5], 0.5
	v_fmac_f64_e32 v[4:5], v[4:5], v[10:11]
	v_fma_f64 v[12:13], -v[4:5], v[4:5], v[0:1]
	v_fmac_f64_e32 v[2:3], v[2:3], v[10:11]
	v_fmac_f64_e32 v[4:5], v[12:13], v[2:3]
	v_fma_f64 v[10:11], -v[4:5], v[4:5], v[0:1]
	v_fmac_f64_e32 v[4:5], v[10:11], v[2:3]
	v_ldexp_f64 v[2:3], v[4:5], s4
	v_mov_b32_e32 v4, 0x260
	v_cmp_class_f64_e32 vcc, v[0:1], v4
	v_cndmask_b32_e32 v0, v2, v0, vcc
	v_mov_b32_e32 v2, 0
	v_cndmask_b32_e32 v1, v3, v1, vcc
	v_mov_b32_e32 v3, v2
	ds_write_b128 v2, v[0:3] offset:464
.LBB61_77:
	s_or_b64 exec, exec, s[2:3]
	v_mov_b32_e32 v0, 0
	s_waitcnt lgkmcnt(0)
	ds_read_b128 v[0:3], v0 offset:464
	v_mov_b32_e32 v4, 0x3ff00000
	s_waitcnt lgkmcnt(0)
	v_cmp_neq_f64_e32 vcc, 0, v[0:1]
	v_cmp_neq_f64_e64 s[2:3], 0, v[2:3]
	s_or_b64 vcc, vcc, s[2:3]
	s_or_b64 s[2:3], vcc, s[0:1]
	v_cndmask_b32_e32 v1, v4, v1, vcc
	s_xor_b64 s[4:5], s[2:3], -1
	v_cndmask_b32_e32 v0, 0, v0, vcc
	v_cndmask_b32_e32 v3, 0, v3, vcc
	;; [unrolled: 1-line block ×3, first 2 shown]
	s_and_saveexec_b64 s[2:3], s[4:5]
	s_cbranch_execz .LBB61_81
; %bb.78:
	v_mbcnt_lo_u32_b32 v0, exec_lo, 0
	v_mbcnt_hi_u32_b32 v0, exec_hi, v0
	v_cmp_eq_u32_e32 vcc, 0, v0
	s_and_saveexec_b64 s[4:5], vcc
	s_cbranch_execz .LBB61_80
; %bb.79:
	v_mov_b32_e32 v0, 0
	v_mov_b32_e32 v1, s18
	global_atomic_smin v0, v1, s[14:15]
.LBB61_80:
	s_or_b64 exec, exec, s[4:5]
	v_mov_b32_e32 v0, 0
	v_mov_b32_e32 v1, 0x3ff00000
	v_pk_mov_b32 v[2:3], 0, 0
.LBB61_81:
	s_or_b64 exec, exec, s[2:3]
	v_cmp_lt_u32_e32 vcc, 1, v17
	s_and_saveexec_b64 s[2:3], vcc
	s_cbranch_execz .LBB61_83
; %bb.82:
	v_mul_f64 v[4:5], v[2:3], v[2:3]
	v_lshlrev_b32_e32 v9, 6, v17
	v_fmac_f64_e32 v[4:5], v[0:1], v[0:1]
	ds_read_b128 v[10:13], v9 offset:400
	ds_read_b128 v[20:23], v9 offset:592
	v_div_scale_f64 v[14:15], s[4:5], v[4:5], v[4:5], 1.0
	v_rcp_f64_e32 v[24:25], v[14:15]
	s_waitcnt lgkmcnt(0)
	v_add_f64 v[20:21], v[10:11], -v[20:21]
	v_add_f64 v[12:13], v[12:13], -v[22:23]
	v_fma_f64 v[10:11], -v[14:15], v[24:25], 1.0
	v_fmac_f64_e32 v[24:25], v[24:25], v[10:11]
	v_fma_f64 v[10:11], -v[14:15], v[24:25], 1.0
	v_fmac_f64_e32 v[24:25], v[24:25], v[10:11]
	v_div_scale_f64 v[10:11], vcc, 1.0, v[4:5], 1.0
	v_mul_f64 v[22:23], v[10:11], v[24:25]
	v_fma_f64 v[10:11], -v[14:15], v[22:23], v[10:11]
	s_nop 1
	v_div_fmas_f64 v[10:11], v[10:11], v[24:25], v[22:23]
	v_div_fixup_f64 v[4:5], v[10:11], v[4:5], 1.0
	v_mul_f64 v[10:11], v[2:3], v[12:13]
	v_mul_f64 v[2:3], v[2:3], -v[20:21]
	v_fmac_f64_e32 v[10:11], v[20:21], v[0:1]
	v_fmac_f64_e32 v[2:3], v[12:13], v[0:1]
	v_mul_f64 v[10:11], v[4:5], v[10:11]
	v_mul_f64 v[12:13], v[4:5], v[2:3]
	v_lshlrev_b32_e32 v0, 6, v16
	ds_write_b128 v9, v[10:13] offset:400
	s_waitcnt lgkmcnt(0)
	ds_read_b128 v[0:3], v0 offset:400
	ds_read_b128 v[20:23], v19
	s_waitcnt lgkmcnt(0)
	v_fmac_f64_e32 v[20:21], v[10:11], v[0:1]
	v_fmac_f64_e32 v[22:23], v[12:13], v[0:1]
	;; [unrolled: 1-line block ×3, first 2 shown]
	v_fma_f64 v[22:23], v[10:11], -v[2:3], v[22:23]
	ds_write_b128 v19, v[20:23]
.LBB61_83:
	s_or_b64 exec, exec, s[2:3]
	v_cmp_eq_u32_e32 vcc, 2, v17
	s_waitcnt lgkmcnt(0)
	s_and_saveexec_b64 s[2:3], vcc
	s_cbranch_execz .LBB61_91
; %bb.84:
	v_mov_b32_e32 v4, 0
	ds_read_b128 v[0:3], v4 offset:736
	ds_read_b128 v[10:13], v4 offset:544
	s_waitcnt lgkmcnt(0)
	v_add_f64 v[0:1], v[10:11], -v[0:1]
	v_add_f64 v[4:5], v[12:13], -v[2:3]
	v_xor_b32_e32 v2, 0x80000000, v1
	v_cmp_gt_f64_e32 vcc, 0, v[0:1]
	v_cndmask_b32_e32 v1, v1, v2, vcc
	v_cndmask_b32_e32 v0, v0, v0, vcc
	v_xor_b32_e32 v2, 0x80000000, v5
	v_cmp_gt_f64_e32 vcc, 0, v[4:5]
	v_cndmask_b32_e32 v3, v5, v2, vcc
	v_cndmask_b32_e32 v2, v4, v4, vcc
	v_cmp_gt_f64_e32 vcc, v[0:1], v[2:3]
	s_cbranch_vccnz .LBB61_87
; %bb.85:
	v_cmp_eq_f64_e32 vcc, 0, v[4:5]
	s_mov_b64 s[4:5], 0
	v_pk_mov_b32 v[4:5], 0, 0
	s_cbranch_vccnz .LBB61_88
; %bb.86:
	v_div_scale_f64 v[4:5], s[16:17], v[2:3], v[2:3], v[0:1]
	v_rcp_f64_e32 v[10:11], v[4:5]
	v_div_scale_f64 v[12:13], vcc, v[0:1], v[2:3], v[0:1]
	s_mov_b32 s16, 0
	v_fma_f64 v[14:15], -v[4:5], v[10:11], 1.0
	v_fmac_f64_e32 v[10:11], v[10:11], v[14:15]
	v_fma_f64 v[14:15], -v[4:5], v[10:11], 1.0
	v_fmac_f64_e32 v[10:11], v[10:11], v[14:15]
	v_mul_f64 v[14:15], v[12:13], v[10:11]
	v_fma_f64 v[4:5], -v[4:5], v[14:15], v[12:13]
	v_div_fmas_f64 v[4:5], v[4:5], v[10:11], v[14:15]
	v_div_fixup_f64 v[4:5], v[4:5], v[2:3], v[0:1]
	v_fma_f64 v[4:5], v[4:5], v[4:5], 1.0
	s_brev_b32 s17, 8
	v_cmp_gt_f64_e32 vcc, s[16:17], v[4:5]
	v_cndmask_b32_e64 v9, 0, 1, vcc
	v_lshlrev_b32_e32 v9, 8, v9
	v_ldexp_f64 v[4:5], v[4:5], v9
	v_rsq_f64_e32 v[10:11], v[4:5]
	s_and_b64 s[16:17], vcc, exec
	s_cselect_b32 s16, 0xffffff80, 0
	v_mov_b32_e32 v9, 0x260
	v_mul_f64 v[12:13], v[4:5], v[10:11]
	v_mul_f64 v[10:11], v[10:11], 0.5
	v_fma_f64 v[14:15], -v[10:11], v[12:13], 0.5
	v_fmac_f64_e32 v[12:13], v[12:13], v[14:15]
	v_fma_f64 v[20:21], -v[12:13], v[12:13], v[4:5]
	v_fmac_f64_e32 v[10:11], v[10:11], v[14:15]
	v_fmac_f64_e32 v[12:13], v[20:21], v[10:11]
	v_fma_f64 v[14:15], -v[12:13], v[12:13], v[4:5]
	v_fmac_f64_e32 v[12:13], v[14:15], v[10:11]
	v_ldexp_f64 v[10:11], v[12:13], s16
	v_cmp_class_f64_e32 vcc, v[4:5], v9
	v_cndmask_b32_e32 v5, v11, v5, vcc
	v_cndmask_b32_e32 v4, v10, v4, vcc
	v_mul_f64 v[4:5], v[2:3], v[4:5]
	s_branch .LBB61_88
.LBB61_87:
	s_mov_b64 s[4:5], -1
                                        ; implicit-def: $vgpr4_vgpr5
.LBB61_88:
	s_andn2_b64 vcc, exec, s[4:5]
	s_cbranch_vccnz .LBB61_90
; %bb.89:
	v_div_scale_f64 v[4:5], s[4:5], v[0:1], v[0:1], v[2:3]
	v_rcp_f64_e32 v[10:11], v[4:5]
	v_div_scale_f64 v[12:13], vcc, v[2:3], v[0:1], v[2:3]
	s_mov_b32 s4, 0
	v_fma_f64 v[14:15], -v[4:5], v[10:11], 1.0
	v_fmac_f64_e32 v[10:11], v[10:11], v[14:15]
	v_fma_f64 v[14:15], -v[4:5], v[10:11], 1.0
	v_fmac_f64_e32 v[10:11], v[10:11], v[14:15]
	v_mul_f64 v[14:15], v[12:13], v[10:11]
	v_fma_f64 v[4:5], -v[4:5], v[14:15], v[12:13]
	v_div_fmas_f64 v[4:5], v[4:5], v[10:11], v[14:15]
	v_div_fixup_f64 v[2:3], v[4:5], v[0:1], v[2:3]
	v_fma_f64 v[2:3], v[2:3], v[2:3], 1.0
	s_brev_b32 s5, 8
	v_cmp_gt_f64_e32 vcc, s[4:5], v[2:3]
	v_cndmask_b32_e64 v4, 0, 1, vcc
	v_lshlrev_b32_e32 v4, 8, v4
	v_ldexp_f64 v[2:3], v[2:3], v4
	v_rsq_f64_e32 v[4:5], v[2:3]
	s_and_b64 s[4:5], vcc, exec
	s_cselect_b32 s4, 0xffffff80, 0
	v_mov_b32_e32 v9, 0x260
	v_mul_f64 v[10:11], v[2:3], v[4:5]
	v_mul_f64 v[4:5], v[4:5], 0.5
	v_fma_f64 v[12:13], -v[4:5], v[10:11], 0.5
	v_fmac_f64_e32 v[10:11], v[10:11], v[12:13]
	v_fma_f64 v[14:15], -v[10:11], v[10:11], v[2:3]
	v_fmac_f64_e32 v[4:5], v[4:5], v[12:13]
	v_fmac_f64_e32 v[10:11], v[14:15], v[4:5]
	v_fma_f64 v[12:13], -v[10:11], v[10:11], v[2:3]
	v_fmac_f64_e32 v[10:11], v[12:13], v[4:5]
	v_ldexp_f64 v[4:5], v[10:11], s4
	v_cmp_class_f64_e32 vcc, v[2:3], v9
	v_cndmask_b32_e32 v3, v5, v3, vcc
	v_cndmask_b32_e32 v2, v4, v2, vcc
	v_mul_f64 v[4:5], v[0:1], v[2:3]
.LBB61_90:
	s_mov_b32 s4, 0
	s_brev_b32 s5, 8
	v_cmp_gt_f64_e32 vcc, s[4:5], v[4:5]
	v_cndmask_b32_e64 v0, 0, 1, vcc
	v_lshlrev_b32_e32 v0, 8, v0
	v_ldexp_f64 v[0:1], v[4:5], v0
	v_rsq_f64_e32 v[2:3], v[0:1]
	s_and_b64 s[4:5], vcc, exec
	s_cselect_b32 s4, 0xffffff80, 0
	v_mul_f64 v[4:5], v[0:1], v[2:3]
	v_mul_f64 v[2:3], v[2:3], 0.5
	v_fma_f64 v[10:11], -v[2:3], v[4:5], 0.5
	v_fmac_f64_e32 v[4:5], v[4:5], v[10:11]
	v_fma_f64 v[12:13], -v[4:5], v[4:5], v[0:1]
	v_fmac_f64_e32 v[2:3], v[2:3], v[10:11]
	v_fmac_f64_e32 v[4:5], v[12:13], v[2:3]
	v_fma_f64 v[10:11], -v[4:5], v[4:5], v[0:1]
	v_fmac_f64_e32 v[4:5], v[10:11], v[2:3]
	v_ldexp_f64 v[2:3], v[4:5], s4
	v_mov_b32_e32 v4, 0x260
	v_cmp_class_f64_e32 vcc, v[0:1], v4
	v_cndmask_b32_e32 v0, v2, v0, vcc
	v_mov_b32_e32 v2, 0
	v_cndmask_b32_e32 v1, v3, v1, vcc
	v_mov_b32_e32 v3, v2
	ds_write_b128 v2, v[0:3] offset:544
.LBB61_91:
	s_or_b64 exec, exec, s[2:3]
	v_mov_b32_e32 v0, 0
	s_waitcnt lgkmcnt(0)
	ds_read_b128 v[0:3], v0 offset:544
	v_mov_b32_e32 v4, 0x3ff00000
	s_waitcnt lgkmcnt(0)
	v_cmp_neq_f64_e32 vcc, 0, v[0:1]
	v_cmp_neq_f64_e64 s[2:3], 0, v[2:3]
	s_or_b64 vcc, vcc, s[2:3]
	s_or_b64 s[0:1], vcc, s[0:1]
	v_cndmask_b32_e32 v1, v4, v1, vcc
	s_xor_b64 s[2:3], s[0:1], -1
	v_cndmask_b32_e32 v0, 0, v0, vcc
	v_cndmask_b32_e32 v3, 0, v3, vcc
	;; [unrolled: 1-line block ×3, first 2 shown]
	s_and_saveexec_b64 s[0:1], s[2:3]
	s_cbranch_execnz .LBB61_104
; %bb.92:
	s_or_b64 exec, exec, s[0:1]
	v_cmp_lt_u32_e32 vcc, 2, v17
	s_and_saveexec_b64 s[0:1], vcc
	s_cbranch_execnz .LBB61_107
.LBB61_93:
	s_or_b64 exec, exec, s[0:1]
	s_andn2_b64 vcc, exec, s[8:9]
	s_cbranch_vccnz .LBB61_95
.LBB61_94:
	v_mov_b32_e32 v18, v7
.LBB61_95:
	v_add_u32_e32 v0, s30, v18
	v_ashrrev_i32_e32 v1, 31, v0
	v_lshlrev_b64 v[4:5], 4, v[0:1]
	ds_read2_b64 v[0:3], v6 offset1:1
	v_mov_b32_e32 v7, s21
	v_add_co_u32_e32 v4, vcc, s20, v4
	v_addc_co_u32_e32 v5, vcc, v7, v5, vcc
	s_waitcnt lgkmcnt(0)
	global_store_dwordx4 v[4:5], v[0:3], off
	v_cmp_eq_u32_e64 s[0:1], 0, v8
	s_branch .LBB61_101
.LBB61_96:
	v_or_b32_e32 v0, v16, v17
	v_cmp_eq_u32_e32 vcc, 0, v0
	s_and_saveexec_b64 s[2:3], vcc
	s_cbranch_execz .LBB61_100
; %bb.97:
	v_mbcnt_lo_u32_b32 v0, exec_lo, 0
	v_mbcnt_hi_u32_b32 v0, exec_hi, v0
	v_cmp_eq_u32_e32 vcc, 0, v0
	s_and_saveexec_b64 s[4:5], vcc
	s_cbranch_execz .LBB61_99
; %bb.98:
	s_add_i32 s8, s12, s13
	v_mov_b32_e32 v0, 0
	v_mov_b32_e32 v1, s8
	global_atomic_smin v0, v1, s[14:15]
.LBB61_99:
	s_or_b64 exec, exec, s[4:5]
	s_or_b64 s[0:1], s[0:1], exec
.LBB61_100:
	s_or_b64 exec, exec, s[2:3]
.LBB61_101:
	s_and_saveexec_b64 s[2:3], s[0:1]
	s_cbranch_execnz .LBB61_103
; %bb.102:
	s_endpgm
.LBB61_103:
	s_add_u32 s0, s10, s6
	s_addc_u32 s1, s11, s7
	v_mov_b32_e32 v0, 0
	v_mov_b32_e32 v1, 1
	s_waitcnt vmcnt(0)
	global_store_dword v0, v1, s[0:1]
	s_endpgm
.LBB61_104:
	v_mbcnt_lo_u32_b32 v0, exec_lo, 0
	v_mbcnt_hi_u32_b32 v0, exec_hi, v0
	v_cmp_eq_u32_e32 vcc, 0, v0
	s_and_saveexec_b64 s[2:3], vcc
	s_cbranch_execz .LBB61_106
; %bb.105:
	v_mov_b32_e32 v0, 0
	v_mov_b32_e32 v1, s18
	global_atomic_smin v0, v1, s[14:15]
.LBB61_106:
	s_or_b64 exec, exec, s[2:3]
	v_mov_b32_e32 v0, 0
	v_mov_b32_e32 v1, 0x3ff00000
	v_pk_mov_b32 v[2:3], 0, 0
	s_or_b64 exec, exec, s[0:1]
	v_cmp_lt_u32_e32 vcc, 2, v17
	s_and_saveexec_b64 s[0:1], vcc
	s_cbranch_execz .LBB61_93
.LBB61_107:
	v_mul_f64 v[4:5], v[2:3], v[2:3]
	v_lshlrev_b32_e32 v9, 6, v17
	v_fmac_f64_e32 v[4:5], v[0:1], v[0:1]
	ds_read_b128 v[10:13], v9 offset:416
	ds_read_b128 v[20:23], v9 offset:608
	v_div_scale_f64 v[14:15], s[2:3], v[4:5], v[4:5], 1.0
	v_rcp_f64_e32 v[24:25], v[14:15]
	s_waitcnt lgkmcnt(0)
	v_add_f64 v[20:21], v[10:11], -v[20:21]
	v_add_f64 v[12:13], v[12:13], -v[22:23]
	v_fma_f64 v[10:11], -v[14:15], v[24:25], 1.0
	v_fmac_f64_e32 v[24:25], v[24:25], v[10:11]
	v_fma_f64 v[10:11], -v[14:15], v[24:25], 1.0
	v_fmac_f64_e32 v[24:25], v[24:25], v[10:11]
	v_div_scale_f64 v[10:11], vcc, 1.0, v[4:5], 1.0
	v_mul_f64 v[22:23], v[10:11], v[24:25]
	v_fma_f64 v[10:11], -v[14:15], v[22:23], v[10:11]
	s_nop 1
	v_div_fmas_f64 v[10:11], v[10:11], v[24:25], v[22:23]
	v_div_fixup_f64 v[4:5], v[10:11], v[4:5], 1.0
	v_mul_f64 v[10:11], v[2:3], v[12:13]
	v_mul_f64 v[2:3], v[2:3], -v[20:21]
	v_fmac_f64_e32 v[10:11], v[20:21], v[0:1]
	v_fmac_f64_e32 v[2:3], v[12:13], v[0:1]
	v_mul_f64 v[10:11], v[4:5], v[10:11]
	v_mul_f64 v[12:13], v[4:5], v[2:3]
	v_lshlrev_b32_e32 v0, 6, v16
	ds_write_b128 v9, v[10:13] offset:416
	s_waitcnt lgkmcnt(0)
	ds_read_b128 v[0:3], v0 offset:416
	ds_read_b128 v[20:23], v19
	s_waitcnt lgkmcnt(0)
	v_fmac_f64_e32 v[20:21], v[10:11], v[0:1]
	v_fmac_f64_e32 v[22:23], v[12:13], v[0:1]
	v_fmac_f64_e32 v[20:21], v[12:13], v[2:3]
	v_fma_f64 v[22:23], v[10:11], -v[2:3], v[22:23]
	ds_write_b128 v19, v[20:23]
	s_or_b64 exec, exec, s[0:1]
	s_andn2_b64 vcc, exec, s[8:9]
	s_waitcnt lgkmcnt(0)
	s_cbranch_vccz .LBB61_94
	s_branch .LBB61_95
	.section	.rodata,"a",@progbits
	.p2align	6, 0x0
	.amdhsa_kernel _ZN9rocsparseL26bsric0_2_8_unrolled_kernelILi9ELi32ELi3E21rocsparse_complex_numIdEEEv20rocsparse_direction_iiPKiS5_PT2_S5_PiS5_S8_21rocsparse_index_base_
		.amdhsa_group_segment_fixed_size 1152
		.amdhsa_private_segment_fixed_size 0
		.amdhsa_kernarg_size 76
		.amdhsa_user_sgpr_count 6
		.amdhsa_user_sgpr_private_segment_buffer 1
		.amdhsa_user_sgpr_dispatch_ptr 0
		.amdhsa_user_sgpr_queue_ptr 0
		.amdhsa_user_sgpr_kernarg_segment_ptr 1
		.amdhsa_user_sgpr_dispatch_id 0
		.amdhsa_user_sgpr_flat_scratch_init 0
		.amdhsa_user_sgpr_kernarg_preload_length 0
		.amdhsa_user_sgpr_kernarg_preload_offset 0
		.amdhsa_user_sgpr_private_segment_size 0
		.amdhsa_uses_dynamic_stack 0
		.amdhsa_system_sgpr_private_segment_wavefront_offset 0
		.amdhsa_system_sgpr_workgroup_id_x 1
		.amdhsa_system_sgpr_workgroup_id_y 0
		.amdhsa_system_sgpr_workgroup_id_z 0
		.amdhsa_system_sgpr_workgroup_info 0
		.amdhsa_system_vgpr_workitem_id 1
		.amdhsa_next_free_vgpr 74
		.amdhsa_next_free_sgpr 40
		.amdhsa_accum_offset 76
		.amdhsa_reserve_vcc 1
		.amdhsa_reserve_flat_scratch 0
		.amdhsa_float_round_mode_32 0
		.amdhsa_float_round_mode_16_64 0
		.amdhsa_float_denorm_mode_32 3
		.amdhsa_float_denorm_mode_16_64 3
		.amdhsa_dx10_clamp 1
		.amdhsa_ieee_mode 1
		.amdhsa_fp16_overflow 0
		.amdhsa_tg_split 0
		.amdhsa_exception_fp_ieee_invalid_op 0
		.amdhsa_exception_fp_denorm_src 0
		.amdhsa_exception_fp_ieee_div_zero 0
		.amdhsa_exception_fp_ieee_overflow 0
		.amdhsa_exception_fp_ieee_underflow 0
		.amdhsa_exception_fp_ieee_inexact 0
		.amdhsa_exception_int_div_zero 0
	.end_amdhsa_kernel
	.section	.text._ZN9rocsparseL26bsric0_2_8_unrolled_kernelILi9ELi32ELi3E21rocsparse_complex_numIdEEEv20rocsparse_direction_iiPKiS5_PT2_S5_PiS5_S8_21rocsparse_index_base_,"axG",@progbits,_ZN9rocsparseL26bsric0_2_8_unrolled_kernelILi9ELi32ELi3E21rocsparse_complex_numIdEEEv20rocsparse_direction_iiPKiS5_PT2_S5_PiS5_S8_21rocsparse_index_base_,comdat
.Lfunc_end61:
	.size	_ZN9rocsparseL26bsric0_2_8_unrolled_kernelILi9ELi32ELi3E21rocsparse_complex_numIdEEEv20rocsparse_direction_iiPKiS5_PT2_S5_PiS5_S8_21rocsparse_index_base_, .Lfunc_end61-_ZN9rocsparseL26bsric0_2_8_unrolled_kernelILi9ELi32ELi3E21rocsparse_complex_numIdEEEv20rocsparse_direction_iiPKiS5_PT2_S5_PiS5_S8_21rocsparse_index_base_
                                        ; -- End function
	.section	.AMDGPU.csdata,"",@progbits
; Kernel info:
; codeLenInByte = 7916
; NumSgprs: 44
; NumVgprs: 74
; NumAgprs: 0
; TotalNumVgprs: 74
; ScratchSize: 0
; MemoryBound: 1
; FloatMode: 240
; IeeeMode: 1
; LDSByteSize: 1152 bytes/workgroup (compile time only)
; SGPRBlocks: 5
; VGPRBlocks: 9
; NumSGPRsForWavesPerEU: 44
; NumVGPRsForWavesPerEU: 74
; AccumOffset: 76
; Occupancy: 6
; WaveLimiterHint : 1
; COMPUTE_PGM_RSRC2:SCRATCH_EN: 0
; COMPUTE_PGM_RSRC2:USER_SGPR: 6
; COMPUTE_PGM_RSRC2:TRAP_HANDLER: 0
; COMPUTE_PGM_RSRC2:TGID_X_EN: 1
; COMPUTE_PGM_RSRC2:TGID_Y_EN: 0
; COMPUTE_PGM_RSRC2:TGID_Z_EN: 0
; COMPUTE_PGM_RSRC2:TIDIG_COMP_CNT: 1
; COMPUTE_PGM_RSRC3_GFX90A:ACCUM_OFFSET: 18
; COMPUTE_PGM_RSRC3_GFX90A:TG_SPLIT: 0
	.section	.text._ZN9rocsparseL26bsric0_2_8_unrolled_kernelILi16ELi32ELi4E21rocsparse_complex_numIdEEEv20rocsparse_direction_iiPKiS5_PT2_S5_PiS5_S8_21rocsparse_index_base_,"axG",@progbits,_ZN9rocsparseL26bsric0_2_8_unrolled_kernelILi16ELi32ELi4E21rocsparse_complex_numIdEEEv20rocsparse_direction_iiPKiS5_PT2_S5_PiS5_S8_21rocsparse_index_base_,comdat
	.globl	_ZN9rocsparseL26bsric0_2_8_unrolled_kernelILi16ELi32ELi4E21rocsparse_complex_numIdEEEv20rocsparse_direction_iiPKiS5_PT2_S5_PiS5_S8_21rocsparse_index_base_ ; -- Begin function _ZN9rocsparseL26bsric0_2_8_unrolled_kernelILi16ELi32ELi4E21rocsparse_complex_numIdEEEv20rocsparse_direction_iiPKiS5_PT2_S5_PiS5_S8_21rocsparse_index_base_
	.p2align	8
	.type	_ZN9rocsparseL26bsric0_2_8_unrolled_kernelILi16ELi32ELi4E21rocsparse_complex_numIdEEEv20rocsparse_direction_iiPKiS5_PT2_S5_PiS5_S8_21rocsparse_index_base_,@function
_ZN9rocsparseL26bsric0_2_8_unrolled_kernelILi16ELi32ELi4E21rocsparse_complex_numIdEEEv20rocsparse_direction_iiPKiS5_PT2_S5_PiS5_S8_21rocsparse_index_base_: ; @_ZN9rocsparseL26bsric0_2_8_unrolled_kernelILi16ELi32ELi4E21rocsparse_complex_numIdEEEv20rocsparse_direction_iiPKiS5_PT2_S5_PiS5_S8_21rocsparse_index_base_
; %bb.0:
	s_load_dwordx8 s[8:15], s[4:5], 0x28
	s_mov_b32 s7, 0
	s_lshl_b64 s[0:1], s[6:7], 2
	v_and_b32_e32 v12, 0x3ff, v0
	v_bfe_u32 v13, v0, 10, 10
	s_waitcnt lgkmcnt(0)
	s_add_u32 s0, s12, s0
	s_addc_u32 s1, s13, s1
	s_load_dword s12, s[0:1], 0x0
	s_waitcnt lgkmcnt(0)
	s_ashr_i32 s13, s12, 31
	s_lshl_b64 s[6:7], s[12:13], 2
	s_add_u32 s0, s8, s6
	s_addc_u32 s1, s9, s7
	s_load_dword s30, s[0:1], 0x0
	s_load_dword s13, s[4:5], 0x48
	s_waitcnt lgkmcnt(0)
	s_cmp_lg_u32 s30, -1
	s_cbranch_scc0 .LBB62_16
; %bb.1:
	s_load_dwordx4 s[16:19], s[4:5], 0x10
	v_lshlrev_b32_e32 v17, 2, v13
	v_add_u32_e32 v16, v17, v12
	s_waitcnt lgkmcnt(0)
	s_add_u32 s0, s16, s6
	s_addc_u32 s1, s17, s7
	s_load_dword s24, s[0:1], 0x0
	s_waitcnt lgkmcnt(0)
	s_sub_i32 s31, s24, s13
	v_add_u32_e32 v0, s31, v16
	v_cmp_ge_i32_e32 vcc, s30, v0
	s_and_saveexec_b64 s[0:1], vcc
	s_cbranch_execz .LBB62_14
; %bb.2:
	v_add_u32_e32 v1, s24, v16
	v_subrev_u32_e32 v1, s13, v1
	v_add_u32_e32 v1, 16, v1
	s_add_i32 s2, s30, 1
	v_max_i32_e32 v1, s2, v1
	v_not_b32_e32 v2, v12
	v_add3_u32 v1, v1, s13, v2
	v_add_u32_e32 v2, s24, v17
	v_sub_u32_e32 v1, v1, v2
	v_cmp_lt_u32_e32 vcc, 15, v1
	s_mov_b64 s[20:21], -1
	s_and_saveexec_b64 s[2:3], vcc
	s_cbranch_execz .LBB62_11
; %bb.3:
	v_lshrrev_b32_e32 v14, 4, v1
	v_add_u32_e32 v2, -1, v14
	v_add_u32_e32 v1, 16, v0
	v_lshrrev_b32_e32 v3, 1, v2
	v_add_u32_e32 v15, 1, v3
	v_cmp_lt_u32_e32 vcc, 13, v2
	v_pk_mov_b32 v[2:3], v[0:1], v[0:1] op_sel:[0,1]
	s_and_saveexec_b64 s[20:21], vcc
	s_cbranch_execz .LBB62_7
; %bb.4:
	v_and_b32_e32 v18, -8, v15
	s_mov_b64 s[22:23], 0
	v_mov_b32_e32 v19, s19
	v_pk_mov_b32 v[2:3], v[0:1], v[0:1] op_sel:[0,1]
.LBB62_5:                               ; =>This Inner Loop Header: Depth=1
	v_ashrrev_i32_e32 v23, 31, v2
	v_mov_b32_e32 v22, v2
	v_lshlrev_b64 v[22:23], 2, v[22:23]
	v_ashrrev_i32_e32 v21, 31, v3
	v_mov_b32_e32 v20, v3
	v_add_co_u32_e32 v22, vcc, s18, v22
	v_add_u32_e32 v4, 32, v2
	v_lshlrev_b64 v[20:21], 2, v[20:21]
	v_addc_co_u32_e32 v23, vcc, v19, v23, vcc
	v_ashrrev_i32_e32 v5, 31, v4
	v_add_co_u32_e32 v20, vcc, s18, v20
	v_add_u32_e32 v6, 32, v3
	v_addc_co_u32_e32 v21, vcc, v19, v21, vcc
	v_lshlrev_b64 v[42:43], 2, v[4:5]
	v_ashrrev_i32_e32 v7, 31, v6
	v_add_co_u32_e32 v42, vcc, s18, v42
	v_add_u32_e32 v8, 64, v2
	v_lshlrev_b64 v[44:45], 2, v[6:7]
	v_addc_co_u32_e32 v43, vcc, v19, v43, vcc
	v_ashrrev_i32_e32 v9, 31, v8
	v_add_co_u32_e32 v44, vcc, s18, v44
	v_add_u32_e32 v10, 64, v3
	v_lshlrev_b64 v[46:47], 2, v[8:9]
	v_addc_co_u32_e32 v45, vcc, v19, v45, vcc
	v_ashrrev_i32_e32 v11, 31, v10
	v_add_co_u32_e32 v46, vcc, s18, v46
	v_add_u32_e32 v24, 0x60, v2
	v_lshlrev_b64 v[48:49], 2, v[10:11]
	v_addc_co_u32_e32 v47, vcc, v19, v47, vcc
	v_ashrrev_i32_e32 v25, 31, v24
	v_add_co_u32_e32 v48, vcc, s18, v48
	v_add_u32_e32 v26, 0x60, v3
	v_lshlrev_b64 v[50:51], 2, v[24:25]
	v_addc_co_u32_e32 v49, vcc, v19, v49, vcc
	v_ashrrev_i32_e32 v27, 31, v26
	v_add_co_u32_e32 v50, vcc, s18, v50
	v_add_u32_e32 v28, 0x80, v2
	v_lshlrev_b64 v[52:53], 2, v[26:27]
	v_addc_co_u32_e32 v51, vcc, v19, v51, vcc
	v_ashrrev_i32_e32 v29, 31, v28
	v_add_co_u32_e32 v52, vcc, s18, v52
	v_add_u32_e32 v30, 0x80, v3
	v_lshlrev_b64 v[54:55], 2, v[28:29]
	v_addc_co_u32_e32 v53, vcc, v19, v53, vcc
	v_ashrrev_i32_e32 v31, 31, v30
	v_add_co_u32_e32 v54, vcc, s18, v54
	v_add_u32_e32 v32, 0xa0, v2
	v_lshlrev_b64 v[56:57], 2, v[30:31]
	v_addc_co_u32_e32 v55, vcc, v19, v55, vcc
	v_ashrrev_i32_e32 v33, 31, v32
	v_add_co_u32_e32 v56, vcc, s18, v56
	v_add_u32_e32 v34, 0xa0, v3
	v_lshlrev_b64 v[58:59], 2, v[32:33]
	v_addc_co_u32_e32 v57, vcc, v19, v57, vcc
	v_ashrrev_i32_e32 v35, 31, v34
	v_add_co_u32_e32 v58, vcc, s18, v58
	v_add_u32_e32 v36, 0xc0, v2
	v_lshlrev_b64 v[60:61], 2, v[34:35]
	v_addc_co_u32_e32 v59, vcc, v19, v59, vcc
	v_ashrrev_i32_e32 v37, 31, v36
	v_add_co_u32_e32 v60, vcc, s18, v60
	v_add_u32_e32 v38, 0xc0, v3
	v_lshlrev_b64 v[62:63], 2, v[36:37]
	v_addc_co_u32_e32 v61, vcc, v19, v61, vcc
	v_ashrrev_i32_e32 v39, 31, v38
	v_add_co_u32_e32 v62, vcc, s18, v62
	v_add_u32_e32 v40, 0xe0, v2
	v_lshlrev_b64 v[64:65], 2, v[38:39]
	v_addc_co_u32_e32 v63, vcc, v19, v63, vcc
	v_ashrrev_i32_e32 v41, 31, v40
	v_add_co_u32_e32 v64, vcc, s18, v64
	v_addc_co_u32_e32 v65, vcc, v19, v65, vcc
	v_lshlrev_b64 v[66:67], 2, v[40:41]
	v_add_u32_e32 v68, 0xe0, v3
	v_add_co_u32_e32 v66, vcc, s18, v66
	v_ashrrev_i32_e32 v69, 31, v68
	v_addc_co_u32_e32 v67, vcc, v19, v67, vcc
	v_lshlrev_b64 v[70:71], 2, v[68:69]
	v_add_co_u32_e32 v70, vcc, s18, v70
	v_addc_co_u32_e32 v71, vcc, v19, v71, vcc
	global_load_dword v1, v[20:21], off
	global_load_dword v5, v[22:23], off
	;; [unrolled: 1-line block ×15, first 2 shown]
                                        ; kill: killed $vgpr64 killed $vgpr65
                                        ; kill: killed $vgpr62 killed $vgpr63
                                        ; kill: killed $vgpr60 killed $vgpr61
                                        ; kill: killed $vgpr20 killed $vgpr21
                                        ; kill: killed $vgpr58 killed $vgpr59
                                        ; kill: killed $vgpr56 killed $vgpr57
                                        ; kill: killed $vgpr22 killed $vgpr23
                                        ; kill: killed $vgpr52 killed $vgpr53
                                        ; kill: killed $vgpr54 killed $vgpr55
                                        ; kill: killed $vgpr48 killed $vgpr49
                                        ; kill: killed $vgpr50 killed $vgpr51
                                        ; kill: killed $vgpr44 killed $vgpr45
                                        ; kill: killed $vgpr46 killed $vgpr47
                                        ; kill: killed $vgpr70 killed $vgpr71
                                        ; kill: killed $vgpr42 killed $vgpr43
	global_load_dword v20, v[66:67], off
	v_subrev_u32_e32 v22, s31, v2
	v_add_u32_e32 v18, -8, v18
	v_subrev_u32_e32 v21, s31, v3
	v_lshlrev_b32_e32 v22, 2, v22
	v_subrev_u32_e32 v4, s31, v4
	v_cmp_eq_u32_e32 vcc, 0, v18
	v_add_u32_e32 v3, 0x100, v3
	v_add_u32_e32 v2, 0x100, v2
	v_lshlrev_b32_e32 v21, 2, v21
	v_subrev_u32_e32 v6, s31, v6
	v_subrev_u32_e32 v10, s31, v10
	;; [unrolled: 1-line block ×13, first 2 shown]
	v_lshlrev_b32_e32 v4, 2, v4
	s_or_b64 s[22:23], vcc, s[22:23]
	v_lshlrev_b32_e32 v6, 2, v6
	v_lshlrev_b32_e32 v8, 2, v8
	v_lshlrev_b32_e32 v10, 2, v10
	v_lshlrev_b32_e32 v24, 2, v24
	v_lshlrev_b32_e32 v23, 2, v23
	v_lshlrev_b32_e32 v28, 2, v28
	v_lshlrev_b32_e32 v26, 2, v26
	v_lshlrev_b32_e32 v32, 2, v32
	v_lshlrev_b32_e32 v30, 2, v30
	v_lshlrev_b32_e32 v36, 2, v36
	v_lshlrev_b32_e32 v34, 2, v34
	v_lshlrev_b32_e32 v40, 2, v40
	v_lshlrev_b32_e32 v38, 2, v38
	s_waitcnt vmcnt(15)
	v_subrev_u32_e32 v1, s13, v1
	s_waitcnt vmcnt(14)
	v_subrev_u32_e32 v5, s13, v5
	ds_write_b32 v22, v5 offset:1536
	ds_write_b32 v21, v1 offset:1536
	s_waitcnt vmcnt(12)
	v_subrev_u32_e32 v5, s13, v9
	v_subrev_u32_e32 v1, s13, v7
	s_waitcnt vmcnt(11)
	v_subrev_u32_e32 v7, s13, v11
	s_waitcnt vmcnt(10)
	;; [unrolled: 2-line block ×12, first 2 shown]
	v_subrev_u32_e32 v20, s13, v20
	ds_write_b32 v4, v5 offset:1536
	ds_write_b32 v6, v1 offset:1536
	;; [unrolled: 1-line block ×14, first 2 shown]
	s_andn2_b64 exec, exec, s[22:23]
	s_cbranch_execnz .LBB62_5
; %bb.6:
	s_or_b64 exec, exec, s[22:23]
.LBB62_7:
	s_or_b64 exec, exec, s[20:21]
	v_and_b32_e32 v1, 7, v15
	v_cmp_ne_u32_e32 vcc, 0, v1
	s_and_saveexec_b64 s[20:21], vcc
	s_cbranch_execz .LBB62_10
; %bb.8:
	s_mov_b64 s[22:23], 0
	v_mov_b32_e32 v4, s19
.LBB62_9:                               ; =>This Inner Loop Header: Depth=1
	v_ashrrev_i32_e32 v9, 31, v2
	v_mov_b32_e32 v8, v2
	v_lshlrev_b64 v[8:9], 2, v[8:9]
	v_ashrrev_i32_e32 v7, 31, v3
	v_mov_b32_e32 v6, v3
	v_add_co_u32_e32 v8, vcc, s18, v8
	v_lshlrev_b64 v[6:7], 2, v[6:7]
	v_addc_co_u32_e32 v9, vcc, v4, v9, vcc
	v_add_co_u32_e32 v6, vcc, s18, v6
	v_addc_co_u32_e32 v7, vcc, v4, v7, vcc
	global_load_dword v5, v[6:7], off
	global_load_dword v10, v[8:9], off
	v_add_u32_e32 v1, -1, v1
	v_subrev_u32_e32 v7, s31, v2
	v_cmp_eq_u32_e32 vcc, 0, v1
	v_subrev_u32_e32 v6, s31, v3
	v_add_u32_e32 v3, 32, v3
	v_add_u32_e32 v2, 32, v2
	v_lshlrev_b32_e32 v7, 2, v7
	s_or_b64 s[22:23], vcc, s[22:23]
	v_lshlrev_b32_e32 v6, 2, v6
	s_waitcnt vmcnt(1)
	v_subrev_u32_e32 v5, s13, v5
	s_waitcnt vmcnt(0)
	v_subrev_u32_e32 v8, s13, v10
	ds_write_b32 v7, v8 offset:1536
	ds_write_b32 v6, v5 offset:1536
	s_andn2_b64 exec, exec, s[22:23]
	s_cbranch_execnz .LBB62_9
.LBB62_10:
	s_or_b64 exec, exec, s[20:21]
	v_add_u32_e32 v1, 1, v14
	v_and_b32_e32 v2, 0x1ffffffe, v1
	v_cmp_ne_u32_e32 vcc, v1, v2
	v_lshl_add_u32 v0, v2, 4, v0
	s_orn2_b64 s[20:21], vcc, exec
.LBB62_11:
	s_or_b64 exec, exec, s[2:3]
	s_and_b64 exec, exec, s[20:21]
	s_cbranch_execz .LBB62_14
; %bb.12:
	v_add_u32_e32 v1, s13, v0
	v_subrev_u32_e32 v1, s24, v1
	v_mov_b32_e32 v2, 0x600
	v_lshl_add_u32 v4, v1, 2, v2
	v_ashrrev_i32_e32 v1, 31, v0
	v_lshlrev_b64 v[2:3], 2, v[0:1]
	v_mov_b32_e32 v1, s19
	v_add_co_u32_e32 v2, vcc, s18, v2
	v_addc_co_u32_e32 v3, vcc, v1, v3, vcc
	s_mov_b64 s[2:3], 0
.LBB62_13:                              ; =>This Inner Loop Header: Depth=1
	global_load_dword v1, v[2:3], off
	v_add_co_u32_e32 v2, vcc, 64, v2
	v_add_u32_e32 v0, 16, v0
	v_addc_co_u32_e32 v3, vcc, 0, v3, vcc
	v_cmp_lt_i32_e32 vcc, s30, v0
	s_or_b64 s[2:3], vcc, s[2:3]
	s_waitcnt vmcnt(0)
	v_subrev_u32_e32 v1, s13, v1
	ds_write_b32 v4, v1
	v_add_u32_e32 v4, 64, v4
	s_andn2_b64 exec, exec, s[2:3]
	s_cbranch_execnz .LBB62_13
.LBB62_14:
	s_or_b64 exec, exec, s[0:1]
	s_load_dwordx2 s[20:21], s[4:5], 0x20
	v_lshlrev_b32_e32 v18, 4, v12
	s_movk_i32 s0, 0x50
	v_mov_b32_e32 v2, 0
	v_mad_u32_u24 v0, v13, s0, v18
	v_mov_b32_e32 v3, v2
	v_mov_b32_e32 v4, v2
	;; [unrolled: 1-line block ×3, first 2 shown]
	s_cmp_lt_i32 s31, s30
	ds_write_b128 v0, v[2:5] offset:960
	s_waitcnt lgkmcnt(0)
	s_cbranch_scc1 .LBB62_17
; %bb.15:
	v_lshl_add_u32 v19, v12, 2, v13
	v_or_b32_e32 v14, v12, v13
	s_load_dword s33, s[4:5], 0x0
	v_add_u32_e32 v15, 0x3c0, v0
	s_cbranch_execz .LBB62_18
	s_branch .LBB62_59
.LBB62_16:
	s_mov_b64 s[0:1], 0
	s_cbranch_execnz .LBB62_116
	s_branch .LBB62_121
.LBB62_17:
                                        ; implicit-def: $vgpr19
                                        ; implicit-def: $vgpr14
	s_load_dword s33, s[4:5], 0x0
	v_add_u32_e32 v15, 0x3c0, v0
.LBB62_18:
	s_waitcnt lgkmcnt(0)
	s_cmp_eq_u32 s33, 0
	v_lshlrev_b32_e32 v20, 2, v12
	s_movk_i32 s2, 0x50
	v_mov_b32_e32 v0, 0x280
	v_mov_b32_e32 v1, 0x140
	v_add_u32_e32 v19, v20, v13
	s_cselect_b64 vcc, -1, 0
	s_cmp_lg_u32 s33, 0
	v_mad_u32_u24 v21, v13, s2, v0
	v_mad_u32_u24 v24, v13, s2, v1
	v_or_b32_e32 v14, v12, v13
	s_cselect_b64 s[4:5], -1, 0
	v_add_u32_e32 v22, v21, v18
	v_mad_u32_u24 v23, v13, s2, v18
	v_add_u32_e32 v25, v24, v18
	v_cmp_ne_u32_e64 s[0:1], 0, v14
	v_mad_u32_u24 v26, v12, s2, v0
	v_cndmask_b32_e32 v27, v19, v16, vcc
	v_mov_b32_e32 v28, 0
	v_mov_b32_e32 v29, 0x3ff00000
	s_mov_b32 s22, s31
	s_branch .LBB62_22
.LBB62_19:                              ;   in Loop: Header=BB62_22 Depth=1
	s_or_b64 exec, exec, s[24:25]
	v_mov_b32_e32 v6, 0
	v_mov_b32_e32 v7, 0x3ff00000
	v_pk_mov_b32 v[8:9], 0, 0
.LBB62_20:                              ;   in Loop: Header=BB62_22 Depth=1
	s_or_b64 exec, exec, s[2:3]
	ds_read_b128 v[30:33], v21
	ds_read_b128 v[34:37], v24 offset:48
	ds_read_b128 v[38:41], v28 offset:240
	;; [unrolled: 1-line block ×6, first 2 shown]
	s_waitcnt lgkmcnt(4)
	v_fmac_f64_e32 v[36:37], v[40:41], v[30:31]
	v_fmac_f64_e32 v[34:35], v[38:39], v[30:31]
	v_mul_f64 v[30:31], v[8:9], v[8:9]
	v_fmac_f64_e32 v[30:31], v[6:7], v[6:7]
	v_fma_f64 v[10:11], v[38:39], -v[32:33], v[36:37]
	v_fmac_f64_e32 v[34:35], v[40:41], v[32:33]
	v_div_scale_f64 v[32:33], s[2:3], v[30:31], v[30:31], 1.0
	s_waitcnt lgkmcnt(2)
	v_fmac_f64_e32 v[34:35], v[42:43], v[46:47]
	v_rcp_f64_e32 v[36:37], v[32:33]
	v_fmac_f64_e32 v[34:35], v[44:45], v[48:49]
	s_waitcnt lgkmcnt(0)
	v_fmac_f64_e32 v[34:35], v[54:55], v[50:51]
	v_fmac_f64_e32 v[34:35], v[56:57], v[52:53]
	;; [unrolled: 1-line block ×3, first 2 shown]
	v_add_f64 v[34:35], v[0:1], -v[34:35]
	v_fma_f64 v[0:1], -v[32:33], v[36:37], 1.0
	v_fma_f64 v[10:11], v[42:43], -v[48:49], v[10:11]
	v_fmac_f64_e32 v[36:37], v[36:37], v[0:1]
	v_fmac_f64_e32 v[10:11], v[56:57], v[50:51]
	v_fma_f64 v[0:1], -v[32:33], v[36:37], 1.0
	v_fma_f64 v[10:11], v[54:55], -v[52:53], v[10:11]
	v_fmac_f64_e32 v[36:37], v[36:37], v[0:1]
	v_div_scale_f64 v[0:1], vcc, 1.0, v[30:31], 1.0
	v_add_f64 v[2:3], v[2:3], -v[10:11]
	v_mul_f64 v[10:11], v[0:1], v[36:37]
	v_fma_f64 v[0:1], -v[32:33], v[10:11], v[0:1]
	s_nop 0
	v_div_fmas_f64 v[0:1], v[0:1], v[36:37], v[10:11]
	v_div_fixup_f64 v[10:11], v[0:1], v[30:31], 1.0
	v_mul_f64 v[0:1], v[8:9], v[2:3]
	v_mul_f64 v[8:9], v[8:9], -v[34:35]
	v_fmac_f64_e32 v[0:1], v[34:35], v[6:7]
	v_fmac_f64_e32 v[8:9], v[2:3], v[6:7]
	v_mul_f64 v[0:1], v[10:11], v[0:1]
	v_mul_f64 v[2:3], v[10:11], v[8:9]
	ds_write_b128 v21, v[0:3] offset:48
	s_waitcnt lgkmcnt(0)
	ds_read_b128 v[6:9], v26 offset:48
	ds_read_b128 v[30:33], v15
	s_add_i32 s22, s22, 1
	s_cmp_ge_i32 s22, s30
	s_cselect_b64 s[26:27], -1, 0
	s_waitcnt lgkmcnt(0)
	v_fmac_f64_e32 v[30:31], v[0:1], v[6:7]
	v_fmac_f64_e32 v[32:33], v[2:3], v[6:7]
	;; [unrolled: 1-line block ×3, first 2 shown]
	v_fma_f64 v[32:33], v[0:1], -v[8:9], v[32:33]
	ds_write_b128 v15, v[30:33]
	s_waitcnt lgkmcnt(0)
	ds_read2_b64 v[0:3], v22 offset1:1
	s_waitcnt lgkmcnt(0)
	global_store_dwordx4 v[4:5], v[0:3], off
	s_waitcnt vmcnt(0)
	buffer_wbinvl1_vol
.LBB62_21:                              ;   in Loop: Header=BB62_22 Depth=1
	s_and_b64 vcc, exec, s[26:27]
	s_cbranch_vccnz .LBB62_59
.LBB62_22:                              ; =>This Loop Header: Depth=1
                                        ;     Child Loop BB62_25 Depth 2
                                        ;     Child Loop BB62_36 Depth 2
	s_ashr_i32 s23, s22, 31
	s_lshl_b64 s[2:3], s[22:23], 2
	s_add_u32 s2, s18, s2
	s_addc_u32 s3, s19, s3
	s_load_dword s23, s[2:3], 0x0
	s_waitcnt lgkmcnt(0)
	s_sub_i32 s24, s23, s13
	s_ashr_i32 s25, s24, 31
	s_lshl_b64 s[2:3], s[24:25], 2
	s_add_u32 s26, s8, s2
	s_addc_u32 s27, s9, s3
	s_load_dword s25, s[26:27], 0x0
	s_mov_b64 s[26:27], -1
	s_waitcnt lgkmcnt(0)
	s_cmp_eq_u32 s25, -1
	s_cbranch_scc1 .LBB62_21
; %bb.23:                               ;   in Loop: Header=BB62_22 Depth=1
	v_lshl_add_u32 v0, s22, 4, v27
	v_ashrrev_i32_e32 v1, 31, v0
	v_lshlrev_b64 v[0:1], 4, v[0:1]
	v_mov_b32_e32 v2, s21
	v_add_co_u32_e32 v4, vcc, s20, v0
	v_addc_co_u32_e32 v5, vcc, v2, v1, vcc
	global_load_dwordx4 v[0:3], v[4:5], off
	s_add_u32 s26, s16, s2
	s_addc_u32 s27, s17, s3
	s_load_dword s26, s[26:27], 0x0
	ds_read_b32 v6, v28 offset:1536
	s_mov_b32 s27, 0
	s_waitcnt lgkmcnt(0)
	s_sub_i32 s26, s26, s13
	s_cmp_le_i32 s26, s25
	v_cmp_ge_i32_e32 vcc, s24, v6
	s_cselect_b64 s[28:29], -1, 0
	s_and_b64 s[28:29], s[28:29], vcc
	s_andn2_b64 vcc, exec, s[28:29]
	s_waitcnt vmcnt(0)
	ds_write2_b64 v22, v[0:1], v[2:3] offset1:1
	s_cbranch_vccnz .LBB62_35
; %bb.24:                               ;   in Loop: Header=BB62_22 Depth=1
	s_mov_b32 s34, 0
	s_mov_b32 s35, 0
.LBB62_25:                              ;   Parent Loop BB62_22 Depth=1
                                        ; =>  This Inner Loop Header: Depth=2
	s_ashr_i32 s27, s26, 31
	s_lshl_b64 s[28:29], s[26:27], 2
	s_add_u32 s28, s18, s28
	s_addc_u32 s29, s19, s29
	s_load_dword s27, s[28:29], 0x0
	s_lshl_b32 s28, s35, 2
	v_mov_b32_e32 v0, s28
	ds_read_b32 v0, v0 offset:1536
	s_mov_b64 s[28:29], -1
	s_waitcnt lgkmcnt(0)
	s_sub_i32 s39, s27, s13
                                        ; implicit-def: $sgpr27
                                        ; implicit-def: $sgpr38
                                        ; implicit-def: $sgpr37
	v_cmp_ge_i32_e32 vcc, s39, v0
	v_readfirstlane_b32 s36, v0
	s_cbranch_vccz .LBB62_31
; %bb.26:                               ;   in Loop: Header=BB62_25 Depth=2
	s_cmp_le_i32 s39, s36
                                        ; implicit-def: $sgpr27
                                        ; implicit-def: $sgpr38
                                        ; implicit-def: $sgpr37
	s_cbranch_scc0 .LBB62_28
; %bb.27:                               ;   in Loop: Header=BB62_25 Depth=2
	s_add_i32 s27, s35, s31
	s_lshl_b32 s27, s27, 4
	s_lshl_b32 s28, s34, 2
	v_mov_b32_e32 v0, s28
	v_mov_b32_e32 v1, s27
	s_lshl_b32 s27, s26, 4
	v_mov_b32_e32 v2, s27
	v_add_u32_e32 v0, 0x400, v0
	ds_write2_b32 v0, v2, v1 offset0:64 offset1:96
	s_add_i32 s37, s35, 1
	s_add_i32 s38, s26, 1
	;; [unrolled: 1-line block ×3, first 2 shown]
	s_mov_b64 s[28:29], 0
.LBB62_28:                              ;   in Loop: Header=BB62_25 Depth=2
	s_andn2_b64 vcc, exec, s[28:29]
	s_cbranch_vccnz .LBB62_30
; %bb.29:                               ;   in Loop: Header=BB62_25 Depth=2
	s_add_i32 s37, s35, 1
	s_mov_b32 s27, s34
	s_mov_b32 s38, s26
.LBB62_30:                              ;   in Loop: Header=BB62_25 Depth=2
	s_mov_b64 s[28:29], 0
.LBB62_31:                              ;   in Loop: Header=BB62_25 Depth=2
	s_andn2_b64 vcc, exec, s[28:29]
	s_cbranch_vccnz .LBB62_33
; %bb.32:                               ;   in Loop: Header=BB62_25 Depth=2
	s_add_i32 s38, s26, 1
	s_mov_b32 s37, s35
	s_mov_b32 s27, s34
.LBB62_33:                              ;   in Loop: Header=BB62_25 Depth=2
	s_cmp_le_i32 s38, s25
	s_cselect_b64 s[28:29], -1, 0
	s_cmp_le_i32 s36, s24
	s_cselect_b64 s[34:35], -1, 0
	s_and_b64 s[28:29], s[28:29], s[34:35]
	s_and_b64 vcc, exec, s[28:29]
	s_cbranch_vccz .LBB62_35
; %bb.34:                               ;   in Loop: Header=BB62_25 Depth=2
	s_mov_b32 s34, s27
	s_mov_b32 s26, s38
	;; [unrolled: 1-line block ×3, first 2 shown]
	s_branch .LBB62_25
.LBB62_35:                              ;   in Loop: Header=BB62_22 Depth=1
	s_add_u32 s2, s10, s2
	s_addc_u32 s3, s11, s3
	s_waitcnt lgkmcnt(0)
.LBB62_36:                              ;   Parent Loop BB62_22 Depth=1
                                        ; =>  This Inner Loop Header: Depth=2
	global_load_dword v0, v28, s[2:3] glc
	s_waitcnt vmcnt(0)
	v_cmp_eq_u32_e32 vcc, 0, v0
	s_cbranch_vccnz .LBB62_36
; %bb.37:                               ;   in Loop: Header=BB62_22 Depth=1
	v_lshl_add_u32 v0, s25, 4, v27
	v_ashrrev_i32_e32 v1, 31, v0
	v_lshlrev_b64 v[0:1], 4, v[0:1]
	v_mov_b32_e32 v2, s21
	v_add_co_u32_e32 v0, vcc, s20, v0
	v_addc_co_u32_e32 v1, vcc, v2, v1, vcc
	buffer_wbinvl1_vol
	global_load_dwordx4 v[6:9], v[0:1], off
	v_pk_mov_b32 v[2:3], 0, 0
	s_cmp_lt_i32 s27, 2
	v_pk_mov_b32 v[0:1], v[2:3], v[2:3] op_sel:[0,1]
	s_waitcnt vmcnt(0)
	ds_write2_b64 v23, v[6:7], v[8:9] offset1:1
	s_waitcnt lgkmcnt(0)
	s_cbranch_scc1 .LBB62_44
; %bb.38:                               ;   in Loop: Header=BB62_22 Depth=1
	v_pk_mov_b32 v[8:9], 0, 0
	s_add_i32 s24, s27, -1
	s_movk_i32 s25, 0x500
	v_pk_mov_b32 v[6:7], v[8:9], v[8:9] op_sel:[0,1]
	v_mov_b32_e32 v0, s25
	ds_read2_b32 v[10:11], v0 offset1:32
	s_and_b64 vcc, exec, s[4:5]
	s_cbranch_vccz .LBB62_40
.LBB62_39:                              ;   in Loop: Header=BB62_22 Depth=1
	s_waitcnt lgkmcnt(0)
	v_add_u32_e32 v0, v10, v12
	v_ashrrev_i32_e32 v1, 31, v0
	v_lshlrev_b64 v[2:3], 4, v[0:1]
	v_add_u32_e32 v54, v11, v13
	v_mov_b32_e32 v58, s21
	v_add_co_u32_e32 v2, vcc, s20, v2
	v_ashrrev_i32_e32 v55, 31, v54
	v_addc_co_u32_e32 v3, vcc, v58, v3, vcc
	v_lshlrev_b64 v[30:31], 4, v[54:55]
	v_add_co_u32_e32 v38, vcc, s20, v30
	v_addc_co_u32_e32 v39, vcc, v58, v31, vcc
	global_load_dwordx4 v[30:33], v[2:3], off
	global_load_dwordx4 v[34:37], v[38:39], off
	v_add_u32_e32 v2, 4, v0
	v_ashrrev_i32_e32 v3, 31, v2
	v_lshlrev_b64 v[2:3], 4, v[2:3]
	v_add_u32_e32 v38, 4, v54
	v_add_co_u32_e32 v2, vcc, s20, v2
	v_ashrrev_i32_e32 v39, 31, v38
	v_addc_co_u32_e32 v3, vcc, v58, v3, vcc
	v_lshlrev_b64 v[38:39], 4, v[38:39]
	v_add_co_u32_e32 v46, vcc, s20, v38
	v_addc_co_u32_e32 v47, vcc, v58, v39, vcc
	global_load_dwordx4 v[38:41], v[2:3], off
	global_load_dwordx4 v[42:45], v[46:47], off
	v_add_u32_e32 v2, 8, v0
	v_ashrrev_i32_e32 v3, 31, v2
	v_lshlrev_b64 v[2:3], 4, v[2:3]
	v_add_u32_e32 v46, 8, v54
	v_add_co_u32_e32 v2, vcc, s20, v2
	v_ashrrev_i32_e32 v47, 31, v46
	v_addc_co_u32_e32 v3, vcc, v58, v3, vcc
	v_lshlrev_b64 v[46:47], 4, v[46:47]
	v_add_u32_e32 v0, 12, v0
	v_add_co_u32_e32 v56, vcc, s20, v46
	v_ashrrev_i32_e32 v1, 31, v0
	v_addc_co_u32_e32 v57, vcc, v58, v47, vcc
	global_load_dwordx4 v[46:49], v[2:3], off
	global_load_dwordx4 v[50:53], v[56:57], off
	v_lshlrev_b64 v[0:1], 4, v[0:1]
	v_add_u32_e32 v2, 12, v54
	v_add_co_u32_e32 v0, vcc, s20, v0
	v_ashrrev_i32_e32 v3, 31, v2
	v_addc_co_u32_e32 v1, vcc, v58, v1, vcc
	v_lshlrev_b64 v[2:3], 4, v[2:3]
	v_add_co_u32_e32 v2, vcc, s20, v2
	v_addc_co_u32_e32 v3, vcc, v58, v3, vcc
	global_load_dwordx4 v[54:57], v[0:1], off
	global_load_dwordx4 v[58:61], v[2:3], off
	s_waitcnt vmcnt(6)
	v_fma_f64 v[0:1], v[30:31], v[34:35], v[6:7]
	v_fma_f64 v[2:3], v[32:33], v[34:35], v[8:9]
	v_fmac_f64_e32 v[0:1], v[32:33], v[36:37]
	v_fma_f64 v[2:3], v[30:31], -v[36:37], v[2:3]
	s_waitcnt vmcnt(4)
	v_fmac_f64_e32 v[0:1], v[38:39], v[42:43]
	v_fmac_f64_e32 v[2:3], v[40:41], v[42:43]
	v_fmac_f64_e32 v[0:1], v[40:41], v[44:45]
	v_fma_f64 v[2:3], v[38:39], -v[44:45], v[2:3]
	s_waitcnt vmcnt(2)
	v_fmac_f64_e32 v[0:1], v[46:47], v[50:51]
	v_fmac_f64_e32 v[2:3], v[48:49], v[50:51]
	;; [unrolled: 5-line block ×3, first 2 shown]
	v_fmac_f64_e32 v[0:1], v[56:57], v[60:61]
	v_fma_f64 v[2:3], v[54:55], -v[60:61], v[2:3]
	s_cbranch_execz .LBB62_41
	s_branch .LBB62_42
.LBB62_40:                              ;   in Loop: Header=BB62_22 Depth=1
                                        ; implicit-def: $vgpr2_vgpr3
.LBB62_41:                              ;   in Loop: Header=BB62_22 Depth=1
	s_waitcnt lgkmcnt(0)
	v_add_u32_e32 v0, v10, v20
	v_ashrrev_i32_e32 v1, 31, v0
	v_lshlrev_b64 v[0:1], 4, v[0:1]
	v_mov_b32_e32 v30, s21
	v_add_co_u32_e32 v58, vcc, s20, v0
	v_addc_co_u32_e32 v59, vcc, v30, v1, vcc
	global_load_dwordx4 v[0:3], v[58:59], off
	v_add_u32_e32 v10, v11, v17
	v_ashrrev_i32_e32 v11, 31, v10
	v_lshlrev_b64 v[10:11], 4, v[10:11]
	v_add_co_u32_e32 v10, vcc, s20, v10
	v_addc_co_u32_e32 v11, vcc, v30, v11, vcc
	global_load_dwordx4 v[30:33], v[10:11], off
	global_load_dwordx4 v[34:37], v[58:59], off offset:16
	global_load_dwordx4 v[38:41], v[10:11], off offset:16
	global_load_dwordx4 v[42:45], v[58:59], off offset:32
	global_load_dwordx4 v[46:49], v[10:11], off offset:32
	global_load_dwordx4 v[50:53], v[58:59], off offset:48
	global_load_dwordx4 v[54:57], v[10:11], off offset:48
	s_waitcnt vmcnt(6)
	v_fmac_f64_e32 v[6:7], v[0:1], v[30:31]
	v_fmac_f64_e32 v[8:9], v[2:3], v[30:31]
	v_fmac_f64_e32 v[6:7], v[2:3], v[32:33]
	v_fma_f64 v[0:1], v[0:1], -v[32:33], v[8:9]
	s_waitcnt vmcnt(4)
	v_fmac_f64_e32 v[6:7], v[34:35], v[38:39]
	v_fmac_f64_e32 v[0:1], v[36:37], v[38:39]
	v_fmac_f64_e32 v[6:7], v[36:37], v[40:41]
	v_fma_f64 v[0:1], v[34:35], -v[40:41], v[0:1]
	;; [unrolled: 5-line block ×4, first 2 shown]
	v_pk_mov_b32 v[0:1], v[6:7], v[6:7] op_sel:[0,1]
.LBB62_42:                              ;   in Loop: Header=BB62_22 Depth=1
	s_add_i32 s24, s24, -1
	s_add_i32 s25, s25, 4
	s_cmp_eq_u32 s24, 0
	s_cbranch_scc1 .LBB62_44
; %bb.43:                               ;   in Loop: Header=BB62_22 Depth=1
	v_pk_mov_b32 v[8:9], v[2:3], v[2:3] op_sel:[0,1]
	v_pk_mov_b32 v[6:7], v[0:1], v[0:1] op_sel:[0,1]
	v_mov_b32_e32 v0, s25
	s_waitcnt lgkmcnt(0)
	ds_read2_b32 v[10:11], v0 offset1:32
	s_and_b64 vcc, exec, s[4:5]
	s_cbranch_vccz .LBB62_40
	s_branch .LBB62_39
.LBB62_44:                              ;   in Loop: Header=BB62_22 Depth=1
	ds_write_b128 v25, v[0:3]
	s_waitcnt lgkmcnt(0)
	ds_read_b128 v[6:9], v28
	ds_read_b128 v[0:3], v21
	s_waitcnt lgkmcnt(1)
	v_cmp_neq_f64_e32 vcc, 0, v[6:7]
	v_cmp_neq_f64_e64 s[2:3], 0, v[8:9]
	s_or_b64 vcc, vcc, s[2:3]
	s_or_b64 s[2:3], vcc, s[0:1]
	v_cndmask_b32_e32 v7, v29, v7, vcc
	s_xor_b64 s[24:25], s[2:3], -1
	v_cndmask_b32_e32 v6, 0, v6, vcc
	v_cndmask_b32_e32 v9, 0, v9, vcc
	;; [unrolled: 1-line block ×3, first 2 shown]
	s_and_saveexec_b64 s[2:3], s[24:25]
	s_cbranch_execz .LBB62_48
; %bb.45:                               ;   in Loop: Header=BB62_22 Depth=1
	v_mbcnt_lo_u32_b32 v6, exec_lo, 0
	v_mbcnt_hi_u32_b32 v6, exec_hi, v6
	v_cmp_eq_u32_e32 vcc, 0, v6
	s_and_saveexec_b64 s[24:25], vcc
	s_cbranch_execz .LBB62_47
; %bb.46:                               ;   in Loop: Header=BB62_22 Depth=1
	v_mov_b32_e32 v6, s23
	global_atomic_smin v28, v6, s[14:15]
.LBB62_47:                              ;   in Loop: Header=BB62_22 Depth=1
	s_or_b64 exec, exec, s[24:25]
	v_mov_b32_e32 v6, 0
	v_mov_b32_e32 v7, 0x3ff00000
	v_pk_mov_b32 v[8:9], 0, 0
.LBB62_48:                              ;   in Loop: Header=BB62_22 Depth=1
	s_or_b64 exec, exec, s[2:3]
	v_mul_f64 v[10:11], v[8:9], v[8:9]
	v_fmac_f64_e32 v[10:11], v[6:7], v[6:7]
	ds_read_b128 v[30:33], v24
	v_div_scale_f64 v[34:35], s[2:3], v[10:11], v[10:11], 1.0
	v_rcp_f64_e32 v[36:37], v[34:35]
	s_waitcnt lgkmcnt(0)
	v_add_f64 v[30:31], v[0:1], -v[30:31]
	v_add_f64 v[2:3], v[2:3], -v[32:33]
	v_fma_f64 v[0:1], -v[34:35], v[36:37], 1.0
	v_fmac_f64_e32 v[36:37], v[36:37], v[0:1]
	v_fma_f64 v[0:1], -v[34:35], v[36:37], 1.0
	v_fmac_f64_e32 v[36:37], v[36:37], v[0:1]
	v_div_scale_f64 v[0:1], vcc, 1.0, v[10:11], 1.0
	v_mul_f64 v[32:33], v[0:1], v[36:37]
	v_fma_f64 v[0:1], -v[34:35], v[32:33], v[0:1]
	s_nop 1
	v_div_fmas_f64 v[0:1], v[0:1], v[36:37], v[32:33]
	v_div_fixup_f64 v[10:11], v[0:1], v[10:11], 1.0
	v_mul_f64 v[0:1], v[8:9], v[2:3]
	v_mul_f64 v[8:9], v[8:9], -v[30:31]
	v_fmac_f64_e32 v[0:1], v[30:31], v[6:7]
	v_fmac_f64_e32 v[8:9], v[2:3], v[6:7]
	v_mul_f64 v[0:1], v[10:11], v[0:1]
	v_mul_f64 v[2:3], v[10:11], v[8:9]
	ds_write_b128 v21, v[0:3]
	s_waitcnt lgkmcnt(0)
	ds_read_b128 v[6:9], v26
	ds_read_b128 v[30:33], v15
	s_waitcnt lgkmcnt(0)
	v_fmac_f64_e32 v[30:31], v[0:1], v[6:7]
	v_fmac_f64_e32 v[32:33], v[2:3], v[6:7]
	;; [unrolled: 1-line block ×3, first 2 shown]
	v_fma_f64 v[32:33], v[0:1], -v[8:9], v[32:33]
	ds_write_b128 v15, v[30:33]
	s_waitcnt lgkmcnt(0)
	ds_read_b128 v[6:9], v28 offset:96
	ds_read_b128 v[0:3], v21 offset:16
	s_waitcnt lgkmcnt(1)
	v_cmp_neq_f64_e32 vcc, 0, v[6:7]
	v_cmp_neq_f64_e64 s[2:3], 0, v[8:9]
	s_or_b64 vcc, vcc, s[2:3]
	s_or_b64 s[2:3], vcc, s[0:1]
	v_cndmask_b32_e32 v7, v29, v7, vcc
	s_xor_b64 s[24:25], s[2:3], -1
	v_cndmask_b32_e32 v6, 0, v6, vcc
	v_cndmask_b32_e32 v9, 0, v9, vcc
	;; [unrolled: 1-line block ×3, first 2 shown]
	s_and_saveexec_b64 s[2:3], s[24:25]
	s_cbranch_execz .LBB62_52
; %bb.49:                               ;   in Loop: Header=BB62_22 Depth=1
	v_mbcnt_lo_u32_b32 v6, exec_lo, 0
	v_mbcnt_hi_u32_b32 v6, exec_hi, v6
	v_cmp_eq_u32_e32 vcc, 0, v6
	s_and_saveexec_b64 s[24:25], vcc
	s_cbranch_execz .LBB62_51
; %bb.50:                               ;   in Loop: Header=BB62_22 Depth=1
	v_mov_b32_e32 v6, s23
	global_atomic_smin v28, v6, s[14:15]
.LBB62_51:                              ;   in Loop: Header=BB62_22 Depth=1
	s_or_b64 exec, exec, s[24:25]
	v_mov_b32_e32 v6, 0
	v_mov_b32_e32 v7, 0x3ff00000
	v_pk_mov_b32 v[8:9], 0, 0
.LBB62_52:                              ;   in Loop: Header=BB62_22 Depth=1
	s_or_b64 exec, exec, s[2:3]
	ds_read_b128 v[30:33], v28 offset:80
	ds_read_b128 v[34:37], v21
	ds_read_b128 v[38:41], v24 offset:16
	v_mul_f64 v[10:11], v[8:9], v[8:9]
	v_fmac_f64_e32 v[10:11], v[6:7], v[6:7]
	s_waitcnt lgkmcnt(0)
	v_fmac_f64_e32 v[40:41], v[32:33], v[34:35]
	v_fmac_f64_e32 v[38:39], v[30:31], v[34:35]
	v_div_scale_f64 v[34:35], s[2:3], v[10:11], v[10:11], 1.0
	v_fma_f64 v[30:31], v[30:31], -v[36:37], v[40:41]
	v_rcp_f64_e32 v[40:41], v[34:35]
	v_fmac_f64_e32 v[38:39], v[32:33], v[36:37]
	v_add_f64 v[32:33], v[0:1], -v[38:39]
	v_add_f64 v[2:3], v[2:3], -v[30:31]
	v_fma_f64 v[0:1], -v[34:35], v[40:41], 1.0
	v_fmac_f64_e32 v[40:41], v[40:41], v[0:1]
	v_fma_f64 v[0:1], -v[34:35], v[40:41], 1.0
	v_fmac_f64_e32 v[40:41], v[40:41], v[0:1]
	v_div_scale_f64 v[0:1], vcc, 1.0, v[10:11], 1.0
	v_mul_f64 v[30:31], v[0:1], v[40:41]
	v_fma_f64 v[0:1], -v[34:35], v[30:31], v[0:1]
	s_nop 1
	v_div_fmas_f64 v[0:1], v[0:1], v[40:41], v[30:31]
	v_div_fixup_f64 v[10:11], v[0:1], v[10:11], 1.0
	v_mul_f64 v[0:1], v[8:9], v[2:3]
	v_mul_f64 v[8:9], v[8:9], -v[32:33]
	v_fmac_f64_e32 v[0:1], v[32:33], v[6:7]
	v_fmac_f64_e32 v[8:9], v[2:3], v[6:7]
	v_mul_f64 v[0:1], v[10:11], v[0:1]
	v_mul_f64 v[2:3], v[10:11], v[8:9]
	ds_write_b128 v21, v[0:3] offset:16
	s_waitcnt lgkmcnt(0)
	ds_read_b128 v[6:9], v26 offset:16
	ds_read_b128 v[30:33], v15
	s_waitcnt lgkmcnt(0)
	v_fmac_f64_e32 v[30:31], v[0:1], v[6:7]
	v_fmac_f64_e32 v[32:33], v[2:3], v[6:7]
	v_fmac_f64_e32 v[30:31], v[2:3], v[8:9]
	v_fma_f64 v[32:33], v[0:1], -v[8:9], v[32:33]
	ds_write_b128 v15, v[30:33]
	s_waitcnt lgkmcnt(0)
	ds_read_b128 v[6:9], v28 offset:192
	ds_read_b128 v[0:3], v21 offset:32
	s_waitcnt lgkmcnt(1)
	v_cmp_neq_f64_e32 vcc, 0, v[6:7]
	v_cmp_neq_f64_e64 s[2:3], 0, v[8:9]
	s_or_b64 vcc, vcc, s[2:3]
	s_or_b64 s[2:3], vcc, s[0:1]
	v_cndmask_b32_e32 v7, v29, v7, vcc
	s_xor_b64 s[24:25], s[2:3], -1
	v_cndmask_b32_e32 v6, 0, v6, vcc
	v_cndmask_b32_e32 v9, 0, v9, vcc
	v_cndmask_b32_e32 v8, 0, v8, vcc
	s_and_saveexec_b64 s[2:3], s[24:25]
	s_cbranch_execz .LBB62_56
; %bb.53:                               ;   in Loop: Header=BB62_22 Depth=1
	v_mbcnt_lo_u32_b32 v6, exec_lo, 0
	v_mbcnt_hi_u32_b32 v6, exec_hi, v6
	v_cmp_eq_u32_e32 vcc, 0, v6
	s_and_saveexec_b64 s[24:25], vcc
	s_cbranch_execz .LBB62_55
; %bb.54:                               ;   in Loop: Header=BB62_22 Depth=1
	v_mov_b32_e32 v6, s23
	global_atomic_smin v28, v6, s[14:15]
.LBB62_55:                              ;   in Loop: Header=BB62_22 Depth=1
	s_or_b64 exec, exec, s[24:25]
	v_mov_b32_e32 v6, 0
	v_mov_b32_e32 v7, 0x3ff00000
	v_pk_mov_b32 v[8:9], 0, 0
.LBB62_56:                              ;   in Loop: Header=BB62_22 Depth=1
	s_or_b64 exec, exec, s[2:3]
	ds_read_b128 v[30:33], v28 offset:160
	ds_read_b128 v[34:37], v24 offset:32
	ds_read_b128 v[38:41], v21
	ds_read_b128 v[42:45], v28 offset:176
	ds_read_b128 v[46:49], v21 offset:16
	s_waitcnt lgkmcnt(2)
	v_fmac_f64_e32 v[36:37], v[32:33], v[38:39]
	v_fma_f64 v[10:11], v[30:31], -v[40:41], v[36:37]
	v_fmac_f64_e32 v[34:35], v[30:31], v[38:39]
	v_mul_f64 v[30:31], v[8:9], v[8:9]
	v_fmac_f64_e32 v[30:31], v[6:7], v[6:7]
	v_fmac_f64_e32 v[34:35], v[32:33], v[40:41]
	v_div_scale_f64 v[32:33], s[2:3], v[30:31], v[30:31], 1.0
	v_rcp_f64_e32 v[36:37], v[32:33]
	s_waitcnt lgkmcnt(0)
	v_fmac_f64_e32 v[34:35], v[42:43], v[46:47]
	v_fmac_f64_e32 v[34:35], v[44:45], v[48:49]
	v_add_f64 v[34:35], v[0:1], -v[34:35]
	v_fma_f64 v[0:1], -v[32:33], v[36:37], 1.0
	v_fmac_f64_e32 v[36:37], v[36:37], v[0:1]
	v_fmac_f64_e32 v[10:11], v[44:45], v[46:47]
	v_fma_f64 v[0:1], -v[32:33], v[36:37], 1.0
	v_fma_f64 v[10:11], v[42:43], -v[48:49], v[10:11]
	v_fmac_f64_e32 v[36:37], v[36:37], v[0:1]
	v_div_scale_f64 v[0:1], vcc, 1.0, v[30:31], 1.0
	v_add_f64 v[2:3], v[2:3], -v[10:11]
	v_mul_f64 v[10:11], v[0:1], v[36:37]
	v_fma_f64 v[0:1], -v[32:33], v[10:11], v[0:1]
	s_nop 0
	v_div_fmas_f64 v[0:1], v[0:1], v[36:37], v[10:11]
	v_div_fixup_f64 v[10:11], v[0:1], v[30:31], 1.0
	v_mul_f64 v[0:1], v[8:9], v[2:3]
	v_mul_f64 v[8:9], v[8:9], -v[34:35]
	v_fmac_f64_e32 v[0:1], v[34:35], v[6:7]
	v_fmac_f64_e32 v[8:9], v[2:3], v[6:7]
	v_mul_f64 v[0:1], v[10:11], v[0:1]
	v_mul_f64 v[2:3], v[10:11], v[8:9]
	ds_write_b128 v21, v[0:3] offset:32
	s_waitcnt lgkmcnt(0)
	ds_read_b128 v[6:9], v26 offset:32
	ds_read_b128 v[30:33], v15
	s_waitcnt lgkmcnt(0)
	v_fmac_f64_e32 v[30:31], v[0:1], v[6:7]
	v_fmac_f64_e32 v[32:33], v[2:3], v[6:7]
	;; [unrolled: 1-line block ×3, first 2 shown]
	v_fma_f64 v[32:33], v[0:1], -v[8:9], v[32:33]
	ds_write_b128 v15, v[30:33]
	s_waitcnt lgkmcnt(0)
	ds_read_b128 v[6:9], v28 offset:288
	ds_read_b128 v[0:3], v21 offset:48
	s_waitcnt lgkmcnt(1)
	v_cmp_neq_f64_e32 vcc, 0, v[6:7]
	v_cmp_neq_f64_e64 s[2:3], 0, v[8:9]
	s_or_b64 vcc, vcc, s[2:3]
	s_or_b64 s[2:3], vcc, s[0:1]
	v_cndmask_b32_e32 v7, v29, v7, vcc
	s_xor_b64 s[24:25], s[2:3], -1
	v_cndmask_b32_e32 v6, 0, v6, vcc
	v_cndmask_b32_e32 v9, 0, v9, vcc
	;; [unrolled: 1-line block ×3, first 2 shown]
	s_and_saveexec_b64 s[2:3], s[24:25]
	s_cbranch_execz .LBB62_20
; %bb.57:                               ;   in Loop: Header=BB62_22 Depth=1
	v_mbcnt_lo_u32_b32 v6, exec_lo, 0
	v_mbcnt_hi_u32_b32 v6, exec_hi, v6
	v_cmp_eq_u32_e32 vcc, 0, v6
	s_and_saveexec_b64 s[24:25], vcc
	s_cbranch_execz .LBB62_19
; %bb.58:                               ;   in Loop: Header=BB62_22 Depth=1
	v_mov_b32_e32 v6, s23
	global_atomic_smin v28, v6, s[14:15]
	s_branch .LBB62_19
.LBB62_59:
	s_waitcnt lgkmcnt(0)
	s_cmp_eq_u32 s33, 0
	s_cselect_b64 vcc, -1, 0
	v_cndmask_b32_e32 v0, v19, v16, vcc
	v_lshl_add_u32 v0, s30, 4, v0
	v_ashrrev_i32_e32 v1, 31, v0
	v_lshlrev_b64 v[0:1], 4, v[0:1]
	v_mov_b32_e32 v2, s21
	v_add_co_u32_e32 v0, vcc, s20, v0
	v_addc_co_u32_e32 v1, vcc, v2, v1, vcc
	global_load_dwordx4 v[2:5], v[0:1], off
	s_movk_i32 s0, 0x50
	v_cmp_ne_u32_e64 s[2:3], 0, v13
	v_mad_u32_u24 v8, v13, s0, v18
	v_cmp_eq_u32_e32 vcc, 0, v13
	s_waitcnt vmcnt(0)
	ds_write2_b64 v8, v[2:3], v[4:5] offset0:80 offset1:81
	s_waitcnt lgkmcnt(0)
	s_and_saveexec_b64 s[0:1], vcc
	s_cbranch_execz .LBB62_67
; %bb.60:
	v_mov_b32_e32 v6, 0
	ds_read_b128 v[2:5], v6 offset:960
	ds_read_b128 v[16:19], v6 offset:640
	s_waitcnt lgkmcnt(0)
	v_add_f64 v[2:3], v[16:17], -v[2:3]
	v_add_f64 v[6:7], v[18:19], -v[4:5]
	v_xor_b32_e32 v4, 0x80000000, v3
	v_cmp_gt_f64_e32 vcc, 0, v[2:3]
	v_cndmask_b32_e32 v3, v3, v4, vcc
	v_cndmask_b32_e32 v2, v2, v2, vcc
	v_xor_b32_e32 v4, 0x80000000, v7
	v_cmp_gt_f64_e32 vcc, 0, v[6:7]
	v_cndmask_b32_e32 v5, v7, v4, vcc
	v_cndmask_b32_e32 v4, v6, v6, vcc
	v_cmp_ngt_f64_e32 vcc, v[2:3], v[4:5]
	s_cbranch_vccz .LBB62_63
; %bb.61:
	v_cmp_eq_f64_e32 vcc, 0, v[6:7]
	s_mov_b64 s[4:5], 0
	v_pk_mov_b32 v[6:7], 0, 0
	s_cbranch_vccnz .LBB62_64
; %bb.62:
	v_div_scale_f64 v[6:7], s[8:9], v[4:5], v[4:5], v[2:3]
	v_rcp_f64_e32 v[10:11], v[6:7]
	v_div_scale_f64 v[16:17], vcc, v[2:3], v[4:5], v[2:3]
	s_mov_b32 s8, 0
	v_fma_f64 v[18:19], -v[6:7], v[10:11], 1.0
	v_fmac_f64_e32 v[10:11], v[10:11], v[18:19]
	v_fma_f64 v[18:19], -v[6:7], v[10:11], 1.0
	v_fmac_f64_e32 v[10:11], v[10:11], v[18:19]
	v_mul_f64 v[18:19], v[16:17], v[10:11]
	v_fma_f64 v[6:7], -v[6:7], v[18:19], v[16:17]
	v_div_fmas_f64 v[6:7], v[6:7], v[10:11], v[18:19]
	v_div_fixup_f64 v[6:7], v[6:7], v[4:5], v[2:3]
	v_fma_f64 v[6:7], v[6:7], v[6:7], 1.0
	s_brev_b32 s9, 8
	v_cmp_gt_f64_e32 vcc, s[8:9], v[6:7]
	v_cndmask_b32_e64 v9, 0, 1, vcc
	v_lshlrev_b32_e32 v9, 8, v9
	v_ldexp_f64 v[6:7], v[6:7], v9
	v_rsq_f64_e32 v[10:11], v[6:7]
	s_and_b64 s[8:9], vcc, exec
	s_cselect_b32 s8, 0xffffff80, 0
	v_mov_b32_e32 v9, 0x260
	v_mul_f64 v[16:17], v[6:7], v[10:11]
	v_mul_f64 v[10:11], v[10:11], 0.5
	v_fma_f64 v[18:19], -v[10:11], v[16:17], 0.5
	v_fmac_f64_e32 v[16:17], v[16:17], v[18:19]
	v_fma_f64 v[20:21], -v[16:17], v[16:17], v[6:7]
	v_fmac_f64_e32 v[10:11], v[10:11], v[18:19]
	v_fmac_f64_e32 v[16:17], v[20:21], v[10:11]
	v_fma_f64 v[18:19], -v[16:17], v[16:17], v[6:7]
	v_fmac_f64_e32 v[16:17], v[18:19], v[10:11]
	v_ldexp_f64 v[10:11], v[16:17], s8
	v_cmp_class_f64_e32 vcc, v[6:7], v9
	v_cndmask_b32_e32 v7, v11, v7, vcc
	v_cndmask_b32_e32 v6, v10, v6, vcc
	v_mul_f64 v[6:7], v[4:5], v[6:7]
	s_branch .LBB62_64
.LBB62_63:
	s_mov_b64 s[4:5], -1
                                        ; implicit-def: $vgpr6_vgpr7
.LBB62_64:
	s_andn2_b64 vcc, exec, s[4:5]
	s_cbranch_vccnz .LBB62_66
; %bb.65:
	v_div_scale_f64 v[6:7], s[4:5], v[2:3], v[2:3], v[4:5]
	v_rcp_f64_e32 v[10:11], v[6:7]
	v_div_scale_f64 v[16:17], vcc, v[4:5], v[2:3], v[4:5]
	s_mov_b32 s4, 0
	v_fma_f64 v[18:19], -v[6:7], v[10:11], 1.0
	v_fmac_f64_e32 v[10:11], v[10:11], v[18:19]
	v_fma_f64 v[18:19], -v[6:7], v[10:11], 1.0
	v_fmac_f64_e32 v[10:11], v[10:11], v[18:19]
	v_mul_f64 v[18:19], v[16:17], v[10:11]
	v_fma_f64 v[6:7], -v[6:7], v[18:19], v[16:17]
	v_div_fmas_f64 v[6:7], v[6:7], v[10:11], v[18:19]
	v_div_fixup_f64 v[4:5], v[6:7], v[2:3], v[4:5]
	v_fma_f64 v[4:5], v[4:5], v[4:5], 1.0
	s_brev_b32 s5, 8
	v_cmp_gt_f64_e32 vcc, s[4:5], v[4:5]
	v_cndmask_b32_e64 v6, 0, 1, vcc
	v_lshlrev_b32_e32 v6, 8, v6
	v_ldexp_f64 v[4:5], v[4:5], v6
	v_rsq_f64_e32 v[6:7], v[4:5]
	s_and_b64 s[4:5], vcc, exec
	s_cselect_b32 s4, 0xffffff80, 0
	v_mov_b32_e32 v9, 0x260
	v_mul_f64 v[10:11], v[4:5], v[6:7]
	v_mul_f64 v[6:7], v[6:7], 0.5
	v_fma_f64 v[16:17], -v[6:7], v[10:11], 0.5
	v_fmac_f64_e32 v[10:11], v[10:11], v[16:17]
	v_fma_f64 v[18:19], -v[10:11], v[10:11], v[4:5]
	v_fmac_f64_e32 v[6:7], v[6:7], v[16:17]
	v_fmac_f64_e32 v[10:11], v[18:19], v[6:7]
	v_fma_f64 v[16:17], -v[10:11], v[10:11], v[4:5]
	v_fmac_f64_e32 v[10:11], v[16:17], v[6:7]
	v_ldexp_f64 v[6:7], v[10:11], s4
	v_cmp_class_f64_e32 vcc, v[4:5], v9
	v_cndmask_b32_e32 v5, v7, v5, vcc
	v_cndmask_b32_e32 v4, v6, v4, vcc
	v_mul_f64 v[6:7], v[2:3], v[4:5]
.LBB62_66:
	s_mov_b32 s4, 0
	s_brev_b32 s5, 8
	v_cmp_gt_f64_e32 vcc, s[4:5], v[6:7]
	v_cndmask_b32_e64 v2, 0, 1, vcc
	v_lshlrev_b32_e32 v2, 8, v2
	v_ldexp_f64 v[2:3], v[6:7], v2
	v_rsq_f64_e32 v[4:5], v[2:3]
	s_and_b64 s[4:5], vcc, exec
	s_cselect_b32 s4, 0xffffff80, 0
	v_mul_f64 v[6:7], v[2:3], v[4:5]
	v_mul_f64 v[4:5], v[4:5], 0.5
	v_fma_f64 v[10:11], -v[4:5], v[6:7], 0.5
	v_fmac_f64_e32 v[6:7], v[6:7], v[10:11]
	v_fma_f64 v[16:17], -v[6:7], v[6:7], v[2:3]
	v_fmac_f64_e32 v[4:5], v[4:5], v[10:11]
	v_fmac_f64_e32 v[6:7], v[16:17], v[4:5]
	v_fma_f64 v[10:11], -v[6:7], v[6:7], v[2:3]
	v_fmac_f64_e32 v[6:7], v[10:11], v[4:5]
	v_ldexp_f64 v[4:5], v[6:7], s4
	v_mov_b32_e32 v6, 0x260
	v_cmp_class_f64_e32 vcc, v[2:3], v6
	v_cndmask_b32_e32 v2, v4, v2, vcc
	v_mov_b32_e32 v4, 0
	v_cndmask_b32_e32 v3, v5, v3, vcc
	v_mov_b32_e32 v5, v4
	ds_write_b128 v4, v[2:5] offset:640
.LBB62_67:
	s_or_b64 exec, exec, s[0:1]
	v_mov_b32_e32 v2, 0
	s_waitcnt lgkmcnt(0)
	ds_read_b128 v[2:5], v2 offset:640
	v_cmp_ne_u32_e64 s[0:1], 0, v14
	v_mov_b32_e32 v6, 0x3ff00000
	v_add_u32_e32 v8, 0x280, v8
	s_add_i32 s16, s12, s13
	s_waitcnt lgkmcnt(0)
	v_cmp_neq_f64_e32 vcc, 0, v[2:3]
	v_cmp_neq_f64_e64 s[4:5], 0, v[4:5]
	s_or_b64 vcc, vcc, s[4:5]
	s_or_b64 s[4:5], vcc, s[0:1]
	v_cndmask_b32_e32 v3, v6, v3, vcc
	s_xor_b64 s[8:9], s[4:5], -1
	v_cndmask_b32_e32 v2, 0, v2, vcc
	v_cndmask_b32_e32 v5, 0, v5, vcc
	;; [unrolled: 1-line block ×3, first 2 shown]
	s_and_saveexec_b64 s[4:5], s[8:9]
	s_cbranch_execz .LBB62_71
; %bb.68:
	v_mbcnt_lo_u32_b32 v2, exec_lo, 0
	v_mbcnt_hi_u32_b32 v2, exec_hi, v2
	v_cmp_eq_u32_e32 vcc, 0, v2
	s_and_saveexec_b64 s[8:9], vcc
	s_cbranch_execz .LBB62_70
; %bb.69:
	v_mov_b32_e32 v2, 0
	v_mov_b32_e32 v3, s16
	global_atomic_smin v2, v3, s[14:15]
.LBB62_70:
	s_or_b64 exec, exec, s[8:9]
	v_mov_b32_e32 v2, 0
	v_mov_b32_e32 v3, 0x3ff00000
	v_pk_mov_b32 v[4:5], 0, 0
.LBB62_71:
	s_or_b64 exec, exec, s[4:5]
	s_and_saveexec_b64 s[4:5], s[2:3]
	s_cbranch_execz .LBB62_73
; %bb.72:
	v_mul_f64 v[6:7], v[4:5], v[4:5]
	v_mul_u32_u24_e32 v9, 0x50, v13
	v_fmac_f64_e32 v[6:7], v[2:3], v[2:3]
	ds_read_b128 v[16:19], v9 offset:640
	ds_read_b128 v[20:23], v9 offset:960
	v_div_scale_f64 v[10:11], s[2:3], v[6:7], v[6:7], 1.0
	v_rcp_f64_e32 v[24:25], v[10:11]
	s_waitcnt lgkmcnt(0)
	v_add_f64 v[20:21], v[16:17], -v[20:21]
	v_add_f64 v[18:19], v[18:19], -v[22:23]
	v_fma_f64 v[16:17], -v[10:11], v[24:25], 1.0
	v_fmac_f64_e32 v[24:25], v[24:25], v[16:17]
	v_fma_f64 v[16:17], -v[10:11], v[24:25], 1.0
	v_fmac_f64_e32 v[24:25], v[24:25], v[16:17]
	v_div_scale_f64 v[16:17], vcc, 1.0, v[6:7], 1.0
	v_mul_f64 v[22:23], v[16:17], v[24:25]
	v_fma_f64 v[10:11], -v[10:11], v[22:23], v[16:17]
	s_nop 1
	v_div_fmas_f64 v[10:11], v[10:11], v[24:25], v[22:23]
	v_div_fixup_f64 v[6:7], v[10:11], v[6:7], 1.0
	v_mul_f64 v[10:11], v[4:5], v[18:19]
	v_mul_f64 v[4:5], v[4:5], -v[20:21]
	v_fmac_f64_e32 v[10:11], v[20:21], v[2:3]
	v_fmac_f64_e32 v[4:5], v[18:19], v[2:3]
	v_mul_f64 v[16:17], v[6:7], v[10:11]
	v_mul_f64 v[18:19], v[6:7], v[4:5]
	v_mul_u32_u24_e32 v2, 0x50, v12
	ds_write_b128 v9, v[16:19] offset:640
	s_waitcnt lgkmcnt(0)
	ds_read_b128 v[2:5], v2 offset:640
	ds_read_b128 v[20:23], v15
	s_waitcnt lgkmcnt(0)
	v_fmac_f64_e32 v[20:21], v[16:17], v[2:3]
	v_fmac_f64_e32 v[22:23], v[18:19], v[2:3]
	;; [unrolled: 1-line block ×3, first 2 shown]
	v_fma_f64 v[22:23], v[16:17], -v[4:5], v[22:23]
	ds_write_b128 v15, v[20:23]
.LBB62_73:
	s_or_b64 exec, exec, s[4:5]
	v_cmp_eq_u32_e32 vcc, 1, v13
	s_waitcnt lgkmcnt(0)
	s_and_saveexec_b64 s[2:3], vcc
	s_cbranch_execz .LBB62_81
; %bb.74:
	v_mov_b32_e32 v6, 0
	ds_read_b128 v[2:5], v6 offset:1056
	ds_read_b128 v[16:19], v6 offset:736
	s_waitcnt lgkmcnt(0)
	v_add_f64 v[2:3], v[16:17], -v[2:3]
	v_add_f64 v[6:7], v[18:19], -v[4:5]
	v_xor_b32_e32 v4, 0x80000000, v3
	v_cmp_gt_f64_e32 vcc, 0, v[2:3]
	v_cndmask_b32_e32 v3, v3, v4, vcc
	v_cndmask_b32_e32 v2, v2, v2, vcc
	v_xor_b32_e32 v4, 0x80000000, v7
	v_cmp_gt_f64_e32 vcc, 0, v[6:7]
	v_cndmask_b32_e32 v5, v7, v4, vcc
	v_cndmask_b32_e32 v4, v6, v6, vcc
	v_cmp_gt_f64_e32 vcc, v[2:3], v[4:5]
	s_cbranch_vccnz .LBB62_77
; %bb.75:
	v_cmp_eq_f64_e32 vcc, 0, v[6:7]
	s_mov_b64 s[4:5], 0
	v_pk_mov_b32 v[6:7], 0, 0
	s_cbranch_vccnz .LBB62_78
; %bb.76:
	v_div_scale_f64 v[6:7], s[8:9], v[4:5], v[4:5], v[2:3]
	v_rcp_f64_e32 v[10:11], v[6:7]
	v_div_scale_f64 v[16:17], vcc, v[2:3], v[4:5], v[2:3]
	s_mov_b32 s8, 0
	v_fma_f64 v[18:19], -v[6:7], v[10:11], 1.0
	v_fmac_f64_e32 v[10:11], v[10:11], v[18:19]
	v_fma_f64 v[18:19], -v[6:7], v[10:11], 1.0
	v_fmac_f64_e32 v[10:11], v[10:11], v[18:19]
	v_mul_f64 v[18:19], v[16:17], v[10:11]
	v_fma_f64 v[6:7], -v[6:7], v[18:19], v[16:17]
	v_div_fmas_f64 v[6:7], v[6:7], v[10:11], v[18:19]
	v_div_fixup_f64 v[6:7], v[6:7], v[4:5], v[2:3]
	v_fma_f64 v[6:7], v[6:7], v[6:7], 1.0
	s_brev_b32 s9, 8
	v_cmp_gt_f64_e32 vcc, s[8:9], v[6:7]
	v_cndmask_b32_e64 v9, 0, 1, vcc
	v_lshlrev_b32_e32 v9, 8, v9
	v_ldexp_f64 v[6:7], v[6:7], v9
	v_rsq_f64_e32 v[10:11], v[6:7]
	s_and_b64 s[8:9], vcc, exec
	s_cselect_b32 s8, 0xffffff80, 0
	v_mov_b32_e32 v9, 0x260
	v_mul_f64 v[16:17], v[6:7], v[10:11]
	v_mul_f64 v[10:11], v[10:11], 0.5
	v_fma_f64 v[18:19], -v[10:11], v[16:17], 0.5
	v_fmac_f64_e32 v[16:17], v[16:17], v[18:19]
	v_fma_f64 v[20:21], -v[16:17], v[16:17], v[6:7]
	v_fmac_f64_e32 v[10:11], v[10:11], v[18:19]
	v_fmac_f64_e32 v[16:17], v[20:21], v[10:11]
	v_fma_f64 v[18:19], -v[16:17], v[16:17], v[6:7]
	v_fmac_f64_e32 v[16:17], v[18:19], v[10:11]
	v_ldexp_f64 v[10:11], v[16:17], s8
	v_cmp_class_f64_e32 vcc, v[6:7], v9
	v_cndmask_b32_e32 v7, v11, v7, vcc
	v_cndmask_b32_e32 v6, v10, v6, vcc
	v_mul_f64 v[6:7], v[4:5], v[6:7]
	s_branch .LBB62_78
.LBB62_77:
	s_mov_b64 s[4:5], -1
                                        ; implicit-def: $vgpr6_vgpr7
.LBB62_78:
	s_andn2_b64 vcc, exec, s[4:5]
	s_cbranch_vccnz .LBB62_80
; %bb.79:
	v_div_scale_f64 v[6:7], s[4:5], v[2:3], v[2:3], v[4:5]
	v_rcp_f64_e32 v[10:11], v[6:7]
	v_div_scale_f64 v[16:17], vcc, v[4:5], v[2:3], v[4:5]
	s_mov_b32 s4, 0
	v_fma_f64 v[18:19], -v[6:7], v[10:11], 1.0
	v_fmac_f64_e32 v[10:11], v[10:11], v[18:19]
	v_fma_f64 v[18:19], -v[6:7], v[10:11], 1.0
	v_fmac_f64_e32 v[10:11], v[10:11], v[18:19]
	v_mul_f64 v[18:19], v[16:17], v[10:11]
	v_fma_f64 v[6:7], -v[6:7], v[18:19], v[16:17]
	v_div_fmas_f64 v[6:7], v[6:7], v[10:11], v[18:19]
	v_div_fixup_f64 v[4:5], v[6:7], v[2:3], v[4:5]
	v_fma_f64 v[4:5], v[4:5], v[4:5], 1.0
	s_brev_b32 s5, 8
	v_cmp_gt_f64_e32 vcc, s[4:5], v[4:5]
	v_cndmask_b32_e64 v6, 0, 1, vcc
	v_lshlrev_b32_e32 v6, 8, v6
	v_ldexp_f64 v[4:5], v[4:5], v6
	v_rsq_f64_e32 v[6:7], v[4:5]
	s_and_b64 s[4:5], vcc, exec
	s_cselect_b32 s4, 0xffffff80, 0
	v_mov_b32_e32 v9, 0x260
	v_mul_f64 v[10:11], v[4:5], v[6:7]
	v_mul_f64 v[6:7], v[6:7], 0.5
	v_fma_f64 v[16:17], -v[6:7], v[10:11], 0.5
	v_fmac_f64_e32 v[10:11], v[10:11], v[16:17]
	v_fma_f64 v[18:19], -v[10:11], v[10:11], v[4:5]
	v_fmac_f64_e32 v[6:7], v[6:7], v[16:17]
	v_fmac_f64_e32 v[10:11], v[18:19], v[6:7]
	v_fma_f64 v[16:17], -v[10:11], v[10:11], v[4:5]
	v_fmac_f64_e32 v[10:11], v[16:17], v[6:7]
	v_ldexp_f64 v[6:7], v[10:11], s4
	v_cmp_class_f64_e32 vcc, v[4:5], v9
	v_cndmask_b32_e32 v5, v7, v5, vcc
	v_cndmask_b32_e32 v4, v6, v4, vcc
	v_mul_f64 v[6:7], v[2:3], v[4:5]
.LBB62_80:
	s_mov_b32 s4, 0
	s_brev_b32 s5, 8
	v_cmp_gt_f64_e32 vcc, s[4:5], v[6:7]
	v_cndmask_b32_e64 v2, 0, 1, vcc
	v_lshlrev_b32_e32 v2, 8, v2
	v_ldexp_f64 v[2:3], v[6:7], v2
	v_rsq_f64_e32 v[4:5], v[2:3]
	s_and_b64 s[4:5], vcc, exec
	s_cselect_b32 s4, 0xffffff80, 0
	v_mul_f64 v[6:7], v[2:3], v[4:5]
	v_mul_f64 v[4:5], v[4:5], 0.5
	v_fma_f64 v[10:11], -v[4:5], v[6:7], 0.5
	v_fmac_f64_e32 v[6:7], v[6:7], v[10:11]
	v_fma_f64 v[16:17], -v[6:7], v[6:7], v[2:3]
	v_fmac_f64_e32 v[4:5], v[4:5], v[10:11]
	v_fmac_f64_e32 v[6:7], v[16:17], v[4:5]
	v_fma_f64 v[10:11], -v[6:7], v[6:7], v[2:3]
	v_fmac_f64_e32 v[6:7], v[10:11], v[4:5]
	v_ldexp_f64 v[4:5], v[6:7], s4
	v_mov_b32_e32 v6, 0x260
	v_cmp_class_f64_e32 vcc, v[2:3], v6
	v_cndmask_b32_e32 v2, v4, v2, vcc
	v_mov_b32_e32 v4, 0
	v_cndmask_b32_e32 v3, v5, v3, vcc
	v_mov_b32_e32 v5, v4
	ds_write_b128 v4, v[2:5] offset:736
.LBB62_81:
	s_or_b64 exec, exec, s[2:3]
	v_mov_b32_e32 v2, 0
	s_waitcnt lgkmcnt(0)
	ds_read_b128 v[2:5], v2 offset:736
	v_mov_b32_e32 v6, 0x3ff00000
	s_waitcnt lgkmcnt(0)
	v_cmp_neq_f64_e32 vcc, 0, v[2:3]
	v_cmp_neq_f64_e64 s[2:3], 0, v[4:5]
	s_or_b64 vcc, vcc, s[2:3]
	s_or_b64 s[2:3], vcc, s[0:1]
	v_cndmask_b32_e32 v3, v6, v3, vcc
	s_xor_b64 s[4:5], s[2:3], -1
	v_cndmask_b32_e32 v2, 0, v2, vcc
	v_cndmask_b32_e32 v5, 0, v5, vcc
	;; [unrolled: 1-line block ×3, first 2 shown]
	s_and_saveexec_b64 s[2:3], s[4:5]
	s_cbranch_execz .LBB62_85
; %bb.82:
	v_mbcnt_lo_u32_b32 v2, exec_lo, 0
	v_mbcnt_hi_u32_b32 v2, exec_hi, v2
	v_cmp_eq_u32_e32 vcc, 0, v2
	s_and_saveexec_b64 s[4:5], vcc
	s_cbranch_execz .LBB62_84
; %bb.83:
	v_mov_b32_e32 v2, 0
	v_mov_b32_e32 v3, s16
	global_atomic_smin v2, v3, s[14:15]
.LBB62_84:
	s_or_b64 exec, exec, s[4:5]
	v_mov_b32_e32 v2, 0
	v_mov_b32_e32 v3, 0x3ff00000
	v_pk_mov_b32 v[4:5], 0, 0
.LBB62_85:
	s_or_b64 exec, exec, s[2:3]
	v_cmp_lt_u32_e32 vcc, 1, v13
	s_and_saveexec_b64 s[2:3], vcc
	s_cbranch_execz .LBB62_87
; %bb.86:
	v_mul_f64 v[6:7], v[4:5], v[4:5]
	v_mul_u32_u24_e32 v9, 0x50, v13
	v_fmac_f64_e32 v[6:7], v[2:3], v[2:3]
	ds_read_b128 v[16:19], v9 offset:656
	ds_read_b128 v[20:23], v9 offset:976
	v_div_scale_f64 v[10:11], s[4:5], v[6:7], v[6:7], 1.0
	v_rcp_f64_e32 v[24:25], v[10:11]
	s_waitcnt lgkmcnt(0)
	v_add_f64 v[20:21], v[16:17], -v[20:21]
	v_add_f64 v[18:19], v[18:19], -v[22:23]
	v_fma_f64 v[16:17], -v[10:11], v[24:25], 1.0
	v_fmac_f64_e32 v[24:25], v[24:25], v[16:17]
	v_fma_f64 v[16:17], -v[10:11], v[24:25], 1.0
	v_fmac_f64_e32 v[24:25], v[24:25], v[16:17]
	v_div_scale_f64 v[16:17], vcc, 1.0, v[6:7], 1.0
	v_mul_f64 v[22:23], v[16:17], v[24:25]
	v_fma_f64 v[10:11], -v[10:11], v[22:23], v[16:17]
	s_nop 1
	v_div_fmas_f64 v[10:11], v[10:11], v[24:25], v[22:23]
	v_div_fixup_f64 v[6:7], v[10:11], v[6:7], 1.0
	v_mul_f64 v[10:11], v[4:5], v[18:19]
	v_mul_f64 v[4:5], v[4:5], -v[20:21]
	v_fmac_f64_e32 v[10:11], v[20:21], v[2:3]
	v_fmac_f64_e32 v[4:5], v[18:19], v[2:3]
	v_mul_f64 v[16:17], v[6:7], v[10:11]
	v_mul_f64 v[18:19], v[6:7], v[4:5]
	v_mul_u32_u24_e32 v2, 0x50, v12
	ds_write_b128 v9, v[16:19] offset:656
	s_waitcnt lgkmcnt(0)
	ds_read_b128 v[2:5], v2 offset:656
	ds_read_b128 v[20:23], v15
	s_waitcnt lgkmcnt(0)
	v_fmac_f64_e32 v[20:21], v[16:17], v[2:3]
	v_fmac_f64_e32 v[22:23], v[18:19], v[2:3]
	;; [unrolled: 1-line block ×3, first 2 shown]
	v_fma_f64 v[22:23], v[16:17], -v[4:5], v[22:23]
	ds_write_b128 v15, v[20:23]
.LBB62_87:
	s_or_b64 exec, exec, s[2:3]
	v_cmp_eq_u32_e32 vcc, 2, v13
	s_waitcnt lgkmcnt(0)
	s_and_saveexec_b64 s[2:3], vcc
	s_cbranch_execz .LBB62_95
; %bb.88:
	v_mov_b32_e32 v6, 0
	ds_read_b128 v[2:5], v6 offset:1152
	ds_read_b128 v[16:19], v6 offset:832
	s_waitcnt lgkmcnt(0)
	v_add_f64 v[2:3], v[16:17], -v[2:3]
	v_add_f64 v[6:7], v[18:19], -v[4:5]
	v_xor_b32_e32 v4, 0x80000000, v3
	v_cmp_gt_f64_e32 vcc, 0, v[2:3]
	v_cndmask_b32_e32 v3, v3, v4, vcc
	v_cndmask_b32_e32 v2, v2, v2, vcc
	v_xor_b32_e32 v4, 0x80000000, v7
	v_cmp_gt_f64_e32 vcc, 0, v[6:7]
	v_cndmask_b32_e32 v5, v7, v4, vcc
	v_cndmask_b32_e32 v4, v6, v6, vcc
	v_cmp_gt_f64_e32 vcc, v[2:3], v[4:5]
	s_cbranch_vccnz .LBB62_91
; %bb.89:
	v_cmp_eq_f64_e32 vcc, 0, v[6:7]
	s_mov_b64 s[4:5], 0
	v_pk_mov_b32 v[6:7], 0, 0
	s_cbranch_vccnz .LBB62_92
; %bb.90:
	v_div_scale_f64 v[6:7], s[8:9], v[4:5], v[4:5], v[2:3]
	v_rcp_f64_e32 v[10:11], v[6:7]
	v_div_scale_f64 v[16:17], vcc, v[2:3], v[4:5], v[2:3]
	s_mov_b32 s8, 0
	v_fma_f64 v[18:19], -v[6:7], v[10:11], 1.0
	v_fmac_f64_e32 v[10:11], v[10:11], v[18:19]
	v_fma_f64 v[18:19], -v[6:7], v[10:11], 1.0
	v_fmac_f64_e32 v[10:11], v[10:11], v[18:19]
	v_mul_f64 v[18:19], v[16:17], v[10:11]
	v_fma_f64 v[6:7], -v[6:7], v[18:19], v[16:17]
	v_div_fmas_f64 v[6:7], v[6:7], v[10:11], v[18:19]
	v_div_fixup_f64 v[6:7], v[6:7], v[4:5], v[2:3]
	v_fma_f64 v[6:7], v[6:7], v[6:7], 1.0
	s_brev_b32 s9, 8
	v_cmp_gt_f64_e32 vcc, s[8:9], v[6:7]
	v_cndmask_b32_e64 v9, 0, 1, vcc
	v_lshlrev_b32_e32 v9, 8, v9
	v_ldexp_f64 v[6:7], v[6:7], v9
	v_rsq_f64_e32 v[10:11], v[6:7]
	s_and_b64 s[8:9], vcc, exec
	s_cselect_b32 s8, 0xffffff80, 0
	v_mov_b32_e32 v9, 0x260
	v_mul_f64 v[16:17], v[6:7], v[10:11]
	v_mul_f64 v[10:11], v[10:11], 0.5
	v_fma_f64 v[18:19], -v[10:11], v[16:17], 0.5
	v_fmac_f64_e32 v[16:17], v[16:17], v[18:19]
	v_fma_f64 v[20:21], -v[16:17], v[16:17], v[6:7]
	v_fmac_f64_e32 v[10:11], v[10:11], v[18:19]
	v_fmac_f64_e32 v[16:17], v[20:21], v[10:11]
	v_fma_f64 v[18:19], -v[16:17], v[16:17], v[6:7]
	v_fmac_f64_e32 v[16:17], v[18:19], v[10:11]
	v_ldexp_f64 v[10:11], v[16:17], s8
	v_cmp_class_f64_e32 vcc, v[6:7], v9
	v_cndmask_b32_e32 v7, v11, v7, vcc
	v_cndmask_b32_e32 v6, v10, v6, vcc
	v_mul_f64 v[6:7], v[4:5], v[6:7]
	s_branch .LBB62_92
.LBB62_91:
	s_mov_b64 s[4:5], -1
                                        ; implicit-def: $vgpr6_vgpr7
.LBB62_92:
	s_andn2_b64 vcc, exec, s[4:5]
	s_cbranch_vccnz .LBB62_94
; %bb.93:
	v_div_scale_f64 v[6:7], s[4:5], v[2:3], v[2:3], v[4:5]
	v_rcp_f64_e32 v[10:11], v[6:7]
	v_div_scale_f64 v[16:17], vcc, v[4:5], v[2:3], v[4:5]
	s_mov_b32 s4, 0
	v_fma_f64 v[18:19], -v[6:7], v[10:11], 1.0
	v_fmac_f64_e32 v[10:11], v[10:11], v[18:19]
	v_fma_f64 v[18:19], -v[6:7], v[10:11], 1.0
	v_fmac_f64_e32 v[10:11], v[10:11], v[18:19]
	v_mul_f64 v[18:19], v[16:17], v[10:11]
	v_fma_f64 v[6:7], -v[6:7], v[18:19], v[16:17]
	v_div_fmas_f64 v[6:7], v[6:7], v[10:11], v[18:19]
	v_div_fixup_f64 v[4:5], v[6:7], v[2:3], v[4:5]
	v_fma_f64 v[4:5], v[4:5], v[4:5], 1.0
	s_brev_b32 s5, 8
	v_cmp_gt_f64_e32 vcc, s[4:5], v[4:5]
	v_cndmask_b32_e64 v6, 0, 1, vcc
	v_lshlrev_b32_e32 v6, 8, v6
	v_ldexp_f64 v[4:5], v[4:5], v6
	v_rsq_f64_e32 v[6:7], v[4:5]
	s_and_b64 s[4:5], vcc, exec
	s_cselect_b32 s4, 0xffffff80, 0
	v_mov_b32_e32 v9, 0x260
	v_mul_f64 v[10:11], v[4:5], v[6:7]
	v_mul_f64 v[6:7], v[6:7], 0.5
	v_fma_f64 v[16:17], -v[6:7], v[10:11], 0.5
	v_fmac_f64_e32 v[10:11], v[10:11], v[16:17]
	v_fma_f64 v[18:19], -v[10:11], v[10:11], v[4:5]
	v_fmac_f64_e32 v[6:7], v[6:7], v[16:17]
	v_fmac_f64_e32 v[10:11], v[18:19], v[6:7]
	v_fma_f64 v[16:17], -v[10:11], v[10:11], v[4:5]
	v_fmac_f64_e32 v[10:11], v[16:17], v[6:7]
	v_ldexp_f64 v[6:7], v[10:11], s4
	v_cmp_class_f64_e32 vcc, v[4:5], v9
	v_cndmask_b32_e32 v5, v7, v5, vcc
	v_cndmask_b32_e32 v4, v6, v4, vcc
	v_mul_f64 v[6:7], v[2:3], v[4:5]
.LBB62_94:
	s_mov_b32 s4, 0
	s_brev_b32 s5, 8
	v_cmp_gt_f64_e32 vcc, s[4:5], v[6:7]
	v_cndmask_b32_e64 v2, 0, 1, vcc
	v_lshlrev_b32_e32 v2, 8, v2
	v_ldexp_f64 v[2:3], v[6:7], v2
	v_rsq_f64_e32 v[4:5], v[2:3]
	s_and_b64 s[4:5], vcc, exec
	s_cselect_b32 s4, 0xffffff80, 0
	v_mul_f64 v[6:7], v[2:3], v[4:5]
	v_mul_f64 v[4:5], v[4:5], 0.5
	v_fma_f64 v[10:11], -v[4:5], v[6:7], 0.5
	v_fmac_f64_e32 v[6:7], v[6:7], v[10:11]
	v_fma_f64 v[16:17], -v[6:7], v[6:7], v[2:3]
	v_fmac_f64_e32 v[4:5], v[4:5], v[10:11]
	v_fmac_f64_e32 v[6:7], v[16:17], v[4:5]
	v_fma_f64 v[10:11], -v[6:7], v[6:7], v[2:3]
	v_fmac_f64_e32 v[6:7], v[10:11], v[4:5]
	v_ldexp_f64 v[4:5], v[6:7], s4
	v_mov_b32_e32 v6, 0x260
	v_cmp_class_f64_e32 vcc, v[2:3], v6
	v_cndmask_b32_e32 v2, v4, v2, vcc
	v_mov_b32_e32 v4, 0
	v_cndmask_b32_e32 v3, v5, v3, vcc
	v_mov_b32_e32 v5, v4
	ds_write_b128 v4, v[2:5] offset:832
.LBB62_95:
	s_or_b64 exec, exec, s[2:3]
	v_mov_b32_e32 v2, 0
	s_waitcnt lgkmcnt(0)
	ds_read_b128 v[2:5], v2 offset:832
	v_mov_b32_e32 v6, 0x3ff00000
	s_waitcnt lgkmcnt(0)
	v_cmp_neq_f64_e32 vcc, 0, v[2:3]
	v_cmp_neq_f64_e64 s[2:3], 0, v[4:5]
	s_or_b64 vcc, vcc, s[2:3]
	s_or_b64 s[2:3], vcc, s[0:1]
	v_cndmask_b32_e32 v3, v6, v3, vcc
	s_xor_b64 s[4:5], s[2:3], -1
	v_cndmask_b32_e32 v2, 0, v2, vcc
	v_cndmask_b32_e32 v5, 0, v5, vcc
	;; [unrolled: 1-line block ×3, first 2 shown]
	s_and_saveexec_b64 s[2:3], s[4:5]
	s_cbranch_execz .LBB62_99
; %bb.96:
	v_mbcnt_lo_u32_b32 v2, exec_lo, 0
	v_mbcnt_hi_u32_b32 v2, exec_hi, v2
	v_cmp_eq_u32_e32 vcc, 0, v2
	s_and_saveexec_b64 s[4:5], vcc
	s_cbranch_execz .LBB62_98
; %bb.97:
	v_mov_b32_e32 v2, 0
	v_mov_b32_e32 v3, s16
	global_atomic_smin v2, v3, s[14:15]
.LBB62_98:
	s_or_b64 exec, exec, s[4:5]
	v_mov_b32_e32 v2, 0
	v_mov_b32_e32 v3, 0x3ff00000
	v_pk_mov_b32 v[4:5], 0, 0
.LBB62_99:
	s_or_b64 exec, exec, s[2:3]
	v_cmp_lt_u32_e32 vcc, 2, v13
	s_and_saveexec_b64 s[2:3], vcc
	s_cbranch_execz .LBB62_101
; %bb.100:
	v_mul_f64 v[6:7], v[4:5], v[4:5]
	v_mul_u32_u24_e32 v9, 0x50, v13
	v_fmac_f64_e32 v[6:7], v[2:3], v[2:3]
	ds_read_b128 v[16:19], v9 offset:672
	ds_read_b128 v[20:23], v9 offset:992
	v_div_scale_f64 v[10:11], s[4:5], v[6:7], v[6:7], 1.0
	v_rcp_f64_e32 v[24:25], v[10:11]
	s_waitcnt lgkmcnt(0)
	v_add_f64 v[20:21], v[16:17], -v[20:21]
	v_add_f64 v[18:19], v[18:19], -v[22:23]
	v_fma_f64 v[16:17], -v[10:11], v[24:25], 1.0
	v_fmac_f64_e32 v[24:25], v[24:25], v[16:17]
	v_fma_f64 v[16:17], -v[10:11], v[24:25], 1.0
	v_fmac_f64_e32 v[24:25], v[24:25], v[16:17]
	v_div_scale_f64 v[16:17], vcc, 1.0, v[6:7], 1.0
	v_mul_f64 v[22:23], v[16:17], v[24:25]
	v_fma_f64 v[10:11], -v[10:11], v[22:23], v[16:17]
	s_nop 1
	v_div_fmas_f64 v[10:11], v[10:11], v[24:25], v[22:23]
	v_div_fixup_f64 v[6:7], v[10:11], v[6:7], 1.0
	v_mul_f64 v[10:11], v[4:5], v[18:19]
	v_mul_f64 v[4:5], v[4:5], -v[20:21]
	v_fmac_f64_e32 v[10:11], v[20:21], v[2:3]
	v_fmac_f64_e32 v[4:5], v[18:19], v[2:3]
	v_mul_f64 v[16:17], v[6:7], v[10:11]
	v_mul_f64 v[18:19], v[6:7], v[4:5]
	v_mul_u32_u24_e32 v2, 0x50, v12
	ds_write_b128 v9, v[16:19] offset:672
	s_waitcnt lgkmcnt(0)
	ds_read_b128 v[2:5], v2 offset:672
	ds_read_b128 v[20:23], v15
	s_waitcnt lgkmcnt(0)
	v_fmac_f64_e32 v[20:21], v[16:17], v[2:3]
	v_fmac_f64_e32 v[22:23], v[18:19], v[2:3]
	;; [unrolled: 1-line block ×3, first 2 shown]
	v_fma_f64 v[22:23], v[16:17], -v[4:5], v[22:23]
	ds_write_b128 v15, v[20:23]
.LBB62_101:
	s_or_b64 exec, exec, s[2:3]
	v_cmp_eq_u32_e32 vcc, 3, v13
	s_waitcnt lgkmcnt(0)
	s_and_saveexec_b64 s[2:3], vcc
	s_cbranch_execz .LBB62_109
; %bb.102:
	v_mov_b32_e32 v6, 0
	ds_read_b128 v[2:5], v6 offset:1248
	ds_read_b128 v[16:19], v6 offset:928
	s_waitcnt lgkmcnt(0)
	v_add_f64 v[2:3], v[16:17], -v[2:3]
	v_add_f64 v[6:7], v[18:19], -v[4:5]
	v_xor_b32_e32 v4, 0x80000000, v3
	v_cmp_gt_f64_e32 vcc, 0, v[2:3]
	v_cndmask_b32_e32 v3, v3, v4, vcc
	v_cndmask_b32_e32 v2, v2, v2, vcc
	v_xor_b32_e32 v4, 0x80000000, v7
	v_cmp_gt_f64_e32 vcc, 0, v[6:7]
	v_cndmask_b32_e32 v5, v7, v4, vcc
	v_cndmask_b32_e32 v4, v6, v6, vcc
	v_cmp_gt_f64_e32 vcc, v[2:3], v[4:5]
	s_cbranch_vccnz .LBB62_105
; %bb.103:
	v_cmp_eq_f64_e32 vcc, 0, v[6:7]
	s_mov_b64 s[4:5], 0
	v_pk_mov_b32 v[6:7], 0, 0
	s_cbranch_vccnz .LBB62_106
; %bb.104:
	v_div_scale_f64 v[6:7], s[8:9], v[4:5], v[4:5], v[2:3]
	v_rcp_f64_e32 v[10:11], v[6:7]
	v_div_scale_f64 v[16:17], vcc, v[2:3], v[4:5], v[2:3]
	s_mov_b32 s8, 0
	v_fma_f64 v[18:19], -v[6:7], v[10:11], 1.0
	v_fmac_f64_e32 v[10:11], v[10:11], v[18:19]
	v_fma_f64 v[18:19], -v[6:7], v[10:11], 1.0
	v_fmac_f64_e32 v[10:11], v[10:11], v[18:19]
	v_mul_f64 v[18:19], v[16:17], v[10:11]
	v_fma_f64 v[6:7], -v[6:7], v[18:19], v[16:17]
	v_div_fmas_f64 v[6:7], v[6:7], v[10:11], v[18:19]
	v_div_fixup_f64 v[6:7], v[6:7], v[4:5], v[2:3]
	v_fma_f64 v[6:7], v[6:7], v[6:7], 1.0
	s_brev_b32 s9, 8
	v_cmp_gt_f64_e32 vcc, s[8:9], v[6:7]
	v_cndmask_b32_e64 v9, 0, 1, vcc
	v_lshlrev_b32_e32 v9, 8, v9
	v_ldexp_f64 v[6:7], v[6:7], v9
	v_rsq_f64_e32 v[10:11], v[6:7]
	s_and_b64 s[8:9], vcc, exec
	s_cselect_b32 s8, 0xffffff80, 0
	v_mov_b32_e32 v9, 0x260
	v_mul_f64 v[16:17], v[6:7], v[10:11]
	v_mul_f64 v[10:11], v[10:11], 0.5
	v_fma_f64 v[18:19], -v[10:11], v[16:17], 0.5
	v_fmac_f64_e32 v[16:17], v[16:17], v[18:19]
	v_fma_f64 v[20:21], -v[16:17], v[16:17], v[6:7]
	v_fmac_f64_e32 v[10:11], v[10:11], v[18:19]
	v_fmac_f64_e32 v[16:17], v[20:21], v[10:11]
	v_fma_f64 v[18:19], -v[16:17], v[16:17], v[6:7]
	v_fmac_f64_e32 v[16:17], v[18:19], v[10:11]
	v_ldexp_f64 v[10:11], v[16:17], s8
	v_cmp_class_f64_e32 vcc, v[6:7], v9
	v_cndmask_b32_e32 v7, v11, v7, vcc
	v_cndmask_b32_e32 v6, v10, v6, vcc
	v_mul_f64 v[6:7], v[4:5], v[6:7]
	s_branch .LBB62_106
.LBB62_105:
	s_mov_b64 s[4:5], -1
                                        ; implicit-def: $vgpr6_vgpr7
.LBB62_106:
	s_andn2_b64 vcc, exec, s[4:5]
	s_cbranch_vccnz .LBB62_108
; %bb.107:
	v_div_scale_f64 v[6:7], s[4:5], v[2:3], v[2:3], v[4:5]
	v_rcp_f64_e32 v[10:11], v[6:7]
	v_div_scale_f64 v[16:17], vcc, v[4:5], v[2:3], v[4:5]
	s_mov_b32 s4, 0
	v_fma_f64 v[18:19], -v[6:7], v[10:11], 1.0
	v_fmac_f64_e32 v[10:11], v[10:11], v[18:19]
	v_fma_f64 v[18:19], -v[6:7], v[10:11], 1.0
	v_fmac_f64_e32 v[10:11], v[10:11], v[18:19]
	v_mul_f64 v[18:19], v[16:17], v[10:11]
	v_fma_f64 v[6:7], -v[6:7], v[18:19], v[16:17]
	v_div_fmas_f64 v[6:7], v[6:7], v[10:11], v[18:19]
	v_div_fixup_f64 v[4:5], v[6:7], v[2:3], v[4:5]
	v_fma_f64 v[4:5], v[4:5], v[4:5], 1.0
	s_brev_b32 s5, 8
	v_cmp_gt_f64_e32 vcc, s[4:5], v[4:5]
	v_cndmask_b32_e64 v6, 0, 1, vcc
	v_lshlrev_b32_e32 v6, 8, v6
	v_ldexp_f64 v[4:5], v[4:5], v6
	v_rsq_f64_e32 v[6:7], v[4:5]
	s_and_b64 s[4:5], vcc, exec
	s_cselect_b32 s4, 0xffffff80, 0
	v_mov_b32_e32 v9, 0x260
	v_mul_f64 v[10:11], v[4:5], v[6:7]
	v_mul_f64 v[6:7], v[6:7], 0.5
	v_fma_f64 v[16:17], -v[6:7], v[10:11], 0.5
	v_fmac_f64_e32 v[10:11], v[10:11], v[16:17]
	v_fma_f64 v[18:19], -v[10:11], v[10:11], v[4:5]
	v_fmac_f64_e32 v[6:7], v[6:7], v[16:17]
	v_fmac_f64_e32 v[10:11], v[18:19], v[6:7]
	v_fma_f64 v[16:17], -v[10:11], v[10:11], v[4:5]
	v_fmac_f64_e32 v[10:11], v[16:17], v[6:7]
	v_ldexp_f64 v[6:7], v[10:11], s4
	v_cmp_class_f64_e32 vcc, v[4:5], v9
	v_cndmask_b32_e32 v5, v7, v5, vcc
	v_cndmask_b32_e32 v4, v6, v4, vcc
	v_mul_f64 v[6:7], v[2:3], v[4:5]
.LBB62_108:
	s_mov_b32 s4, 0
	s_brev_b32 s5, 8
	v_cmp_gt_f64_e32 vcc, s[4:5], v[6:7]
	v_cndmask_b32_e64 v2, 0, 1, vcc
	v_lshlrev_b32_e32 v2, 8, v2
	v_ldexp_f64 v[2:3], v[6:7], v2
	v_rsq_f64_e32 v[4:5], v[2:3]
	s_and_b64 s[4:5], vcc, exec
	s_cselect_b32 s4, 0xffffff80, 0
	v_mul_f64 v[6:7], v[2:3], v[4:5]
	v_mul_f64 v[4:5], v[4:5], 0.5
	v_fma_f64 v[10:11], -v[4:5], v[6:7], 0.5
	v_fmac_f64_e32 v[6:7], v[6:7], v[10:11]
	v_fma_f64 v[16:17], -v[6:7], v[6:7], v[2:3]
	v_fmac_f64_e32 v[4:5], v[4:5], v[10:11]
	v_fmac_f64_e32 v[6:7], v[16:17], v[4:5]
	v_fma_f64 v[10:11], -v[6:7], v[6:7], v[2:3]
	v_fmac_f64_e32 v[6:7], v[10:11], v[4:5]
	v_ldexp_f64 v[4:5], v[6:7], s4
	v_mov_b32_e32 v6, 0x260
	v_cmp_class_f64_e32 vcc, v[2:3], v6
	v_cndmask_b32_e32 v2, v4, v2, vcc
	v_mov_b32_e32 v4, 0
	v_cndmask_b32_e32 v3, v5, v3, vcc
	v_mov_b32_e32 v5, v4
	ds_write_b128 v4, v[2:5] offset:928
.LBB62_109:
	s_or_b64 exec, exec, s[2:3]
	v_mov_b32_e32 v2, 0
	s_waitcnt lgkmcnt(0)
	ds_read_b128 v[2:5], v2 offset:928
	v_mov_b32_e32 v6, 0x3ff00000
	s_waitcnt lgkmcnt(0)
	v_cmp_neq_f64_e32 vcc, 0, v[2:3]
	v_cmp_neq_f64_e64 s[2:3], 0, v[4:5]
	s_or_b64 vcc, vcc, s[2:3]
	s_or_b64 s[0:1], vcc, s[0:1]
	v_cndmask_b32_e32 v3, v6, v3, vcc
	s_xor_b64 s[2:3], s[0:1], -1
	v_cndmask_b32_e32 v2, 0, v2, vcc
	v_cndmask_b32_e32 v5, 0, v5, vcc
	;; [unrolled: 1-line block ×3, first 2 shown]
	s_and_saveexec_b64 s[0:1], s[2:3]
	s_cbranch_execz .LBB62_113
; %bb.110:
	v_mbcnt_lo_u32_b32 v2, exec_lo, 0
	v_mbcnt_hi_u32_b32 v2, exec_hi, v2
	v_cmp_eq_u32_e32 vcc, 0, v2
	s_and_saveexec_b64 s[2:3], vcc
	s_cbranch_execz .LBB62_112
; %bb.111:
	v_mov_b32_e32 v2, 0
	v_mov_b32_e32 v3, s16
	global_atomic_smin v2, v3, s[14:15]
.LBB62_112:
	s_or_b64 exec, exec, s[2:3]
	v_mov_b32_e32 v2, 0
	v_mov_b32_e32 v3, 0x3ff00000
	v_pk_mov_b32 v[4:5], 0, 0
.LBB62_113:
	s_or_b64 exec, exec, s[0:1]
	v_cmp_lt_u32_e32 vcc, 3, v13
	s_and_saveexec_b64 s[0:1], vcc
	s_cbranch_execz .LBB62_115
; %bb.114:
	v_mul_f64 v[6:7], v[4:5], v[4:5]
	v_mul_u32_u24_e32 v9, 0x50, v13
	v_fmac_f64_e32 v[6:7], v[2:3], v[2:3]
	ds_read_b128 v[16:19], v9 offset:688
	ds_read_b128 v[20:23], v9 offset:1008
	v_div_scale_f64 v[10:11], s[2:3], v[6:7], v[6:7], 1.0
	v_rcp_f64_e32 v[24:25], v[10:11]
	s_waitcnt lgkmcnt(0)
	v_add_f64 v[20:21], v[16:17], -v[20:21]
	v_add_f64 v[18:19], v[18:19], -v[22:23]
	v_fma_f64 v[16:17], -v[10:11], v[24:25], 1.0
	v_fmac_f64_e32 v[24:25], v[24:25], v[16:17]
	v_fma_f64 v[16:17], -v[10:11], v[24:25], 1.0
	v_fmac_f64_e32 v[24:25], v[24:25], v[16:17]
	v_div_scale_f64 v[16:17], vcc, 1.0, v[6:7], 1.0
	v_mul_f64 v[22:23], v[16:17], v[24:25]
	v_fma_f64 v[10:11], -v[10:11], v[22:23], v[16:17]
	s_nop 1
	v_div_fmas_f64 v[10:11], v[10:11], v[24:25], v[22:23]
	v_div_fixup_f64 v[6:7], v[10:11], v[6:7], 1.0
	v_mul_f64 v[10:11], v[4:5], v[18:19]
	v_mul_f64 v[4:5], v[4:5], -v[20:21]
	v_fmac_f64_e32 v[10:11], v[20:21], v[2:3]
	v_fmac_f64_e32 v[4:5], v[18:19], v[2:3]
	v_mul_f64 v[16:17], v[6:7], v[10:11]
	v_mul_f64 v[18:19], v[6:7], v[4:5]
	v_mul_u32_u24_e32 v2, 0x50, v12
	ds_write_b128 v9, v[16:19] offset:688
	s_waitcnt lgkmcnt(0)
	ds_read_b128 v[2:5], v2 offset:688
	ds_read_b128 v[20:23], v15
	s_waitcnt lgkmcnt(0)
	v_fmac_f64_e32 v[20:21], v[16:17], v[2:3]
	v_fmac_f64_e32 v[22:23], v[18:19], v[2:3]
	;; [unrolled: 1-line block ×3, first 2 shown]
	v_fma_f64 v[22:23], v[16:17], -v[4:5], v[22:23]
	ds_write_b128 v15, v[20:23]
.LBB62_115:
	s_or_b64 exec, exec, s[0:1]
	s_waitcnt lgkmcnt(0)
	ds_read2_b64 v[2:5], v8 offset1:1
	v_cmp_eq_u32_e64 s[0:1], 0, v14
	s_waitcnt lgkmcnt(0)
	global_store_dwordx4 v[0:1], v[2:5], off
	s_branch .LBB62_121
.LBB62_116:
	v_or_b32_e32 v0, v12, v13
	v_cmp_eq_u32_e32 vcc, 0, v0
	s_and_saveexec_b64 s[2:3], vcc
	s_cbranch_execz .LBB62_120
; %bb.117:
	v_mbcnt_lo_u32_b32 v0, exec_lo, 0
	v_mbcnt_hi_u32_b32 v0, exec_hi, v0
	v_cmp_eq_u32_e32 vcc, 0, v0
	s_and_saveexec_b64 s[4:5], vcc
	s_cbranch_execz .LBB62_119
; %bb.118:
	s_add_i32 s8, s12, s13
	v_mov_b32_e32 v0, 0
	v_mov_b32_e32 v1, s8
	global_atomic_smin v0, v1, s[14:15]
.LBB62_119:
	s_or_b64 exec, exec, s[4:5]
	s_or_b64 s[0:1], s[0:1], exec
.LBB62_120:
	s_or_b64 exec, exec, s[2:3]
.LBB62_121:
	s_and_saveexec_b64 s[2:3], s[0:1]
	s_cbranch_execnz .LBB62_123
; %bb.122:
	s_endpgm
.LBB62_123:
	s_add_u32 s0, s10, s6
	s_addc_u32 s1, s11, s7
	v_mov_b32_e32 v0, 0
	v_mov_b32_e32 v1, 1
	s_waitcnt vmcnt(0)
	global_store_dword v0, v1, s[0:1]
	s_endpgm
	.section	.rodata,"a",@progbits
	.p2align	6, 0x0
	.amdhsa_kernel _ZN9rocsparseL26bsric0_2_8_unrolled_kernelILi16ELi32ELi4E21rocsparse_complex_numIdEEEv20rocsparse_direction_iiPKiS5_PT2_S5_PiS5_S8_21rocsparse_index_base_
		.amdhsa_group_segment_fixed_size 1664
		.amdhsa_private_segment_fixed_size 0
		.amdhsa_kernarg_size 76
		.amdhsa_user_sgpr_count 6
		.amdhsa_user_sgpr_private_segment_buffer 1
		.amdhsa_user_sgpr_dispatch_ptr 0
		.amdhsa_user_sgpr_queue_ptr 0
		.amdhsa_user_sgpr_kernarg_segment_ptr 1
		.amdhsa_user_sgpr_dispatch_id 0
		.amdhsa_user_sgpr_flat_scratch_init 0
		.amdhsa_user_sgpr_kernarg_preload_length 0
		.amdhsa_user_sgpr_kernarg_preload_offset 0
		.amdhsa_user_sgpr_private_segment_size 0
		.amdhsa_uses_dynamic_stack 0
		.amdhsa_system_sgpr_private_segment_wavefront_offset 0
		.amdhsa_system_sgpr_workgroup_id_x 1
		.amdhsa_system_sgpr_workgroup_id_y 0
		.amdhsa_system_sgpr_workgroup_id_z 0
		.amdhsa_system_sgpr_workgroup_info 0
		.amdhsa_system_vgpr_workitem_id 1
		.amdhsa_next_free_vgpr 72
		.amdhsa_next_free_sgpr 40
		.amdhsa_accum_offset 72
		.amdhsa_reserve_vcc 1
		.amdhsa_reserve_flat_scratch 0
		.amdhsa_float_round_mode_32 0
		.amdhsa_float_round_mode_16_64 0
		.amdhsa_float_denorm_mode_32 3
		.amdhsa_float_denorm_mode_16_64 3
		.amdhsa_dx10_clamp 1
		.amdhsa_ieee_mode 1
		.amdhsa_fp16_overflow 0
		.amdhsa_tg_split 0
		.amdhsa_exception_fp_ieee_invalid_op 0
		.amdhsa_exception_fp_denorm_src 0
		.amdhsa_exception_fp_ieee_div_zero 0
		.amdhsa_exception_fp_ieee_overflow 0
		.amdhsa_exception_fp_ieee_underflow 0
		.amdhsa_exception_fp_ieee_inexact 0
		.amdhsa_exception_int_div_zero 0
	.end_amdhsa_kernel
	.section	.text._ZN9rocsparseL26bsric0_2_8_unrolled_kernelILi16ELi32ELi4E21rocsparse_complex_numIdEEEv20rocsparse_direction_iiPKiS5_PT2_S5_PiS5_S8_21rocsparse_index_base_,"axG",@progbits,_ZN9rocsparseL26bsric0_2_8_unrolled_kernelILi16ELi32ELi4E21rocsparse_complex_numIdEEEv20rocsparse_direction_iiPKiS5_PT2_S5_PiS5_S8_21rocsparse_index_base_,comdat
.Lfunc_end62:
	.size	_ZN9rocsparseL26bsric0_2_8_unrolled_kernelILi16ELi32ELi4E21rocsparse_complex_numIdEEEv20rocsparse_direction_iiPKiS5_PT2_S5_PiS5_S8_21rocsparse_index_base_, .Lfunc_end62-_ZN9rocsparseL26bsric0_2_8_unrolled_kernelILi16ELi32ELi4E21rocsparse_complex_numIdEEEv20rocsparse_direction_iiPKiS5_PT2_S5_PiS5_S8_21rocsparse_index_base_
                                        ; -- End function
	.section	.AMDGPU.csdata,"",@progbits
; Kernel info:
; codeLenInByte = 9644
; NumSgprs: 44
; NumVgprs: 72
; NumAgprs: 0
; TotalNumVgprs: 72
; ScratchSize: 0
; MemoryBound: 1
; FloatMode: 240
; IeeeMode: 1
; LDSByteSize: 1664 bytes/workgroup (compile time only)
; SGPRBlocks: 5
; VGPRBlocks: 8
; NumSGPRsForWavesPerEU: 44
; NumVGPRsForWavesPerEU: 72
; AccumOffset: 72
; Occupancy: 7
; WaveLimiterHint : 1
; COMPUTE_PGM_RSRC2:SCRATCH_EN: 0
; COMPUTE_PGM_RSRC2:USER_SGPR: 6
; COMPUTE_PGM_RSRC2:TRAP_HANDLER: 0
; COMPUTE_PGM_RSRC2:TGID_X_EN: 1
; COMPUTE_PGM_RSRC2:TGID_Y_EN: 0
; COMPUTE_PGM_RSRC2:TGID_Z_EN: 0
; COMPUTE_PGM_RSRC2:TIDIG_COMP_CNT: 1
; COMPUTE_PGM_RSRC3_GFX90A:ACCUM_OFFSET: 17
; COMPUTE_PGM_RSRC3_GFX90A:TG_SPLIT: 0
	.section	.text._ZN9rocsparseL26bsric0_2_8_unrolled_kernelILi25ELi32ELi5E21rocsparse_complex_numIdEEEv20rocsparse_direction_iiPKiS5_PT2_S5_PiS5_S8_21rocsparse_index_base_,"axG",@progbits,_ZN9rocsparseL26bsric0_2_8_unrolled_kernelILi25ELi32ELi5E21rocsparse_complex_numIdEEEv20rocsparse_direction_iiPKiS5_PT2_S5_PiS5_S8_21rocsparse_index_base_,comdat
	.globl	_ZN9rocsparseL26bsric0_2_8_unrolled_kernelILi25ELi32ELi5E21rocsparse_complex_numIdEEEv20rocsparse_direction_iiPKiS5_PT2_S5_PiS5_S8_21rocsparse_index_base_ ; -- Begin function _ZN9rocsparseL26bsric0_2_8_unrolled_kernelILi25ELi32ELi5E21rocsparse_complex_numIdEEEv20rocsparse_direction_iiPKiS5_PT2_S5_PiS5_S8_21rocsparse_index_base_
	.p2align	8
	.type	_ZN9rocsparseL26bsric0_2_8_unrolled_kernelILi25ELi32ELi5E21rocsparse_complex_numIdEEEv20rocsparse_direction_iiPKiS5_PT2_S5_PiS5_S8_21rocsparse_index_base_,@function
_ZN9rocsparseL26bsric0_2_8_unrolled_kernelILi25ELi32ELi5E21rocsparse_complex_numIdEEEv20rocsparse_direction_iiPKiS5_PT2_S5_PiS5_S8_21rocsparse_index_base_: ; @_ZN9rocsparseL26bsric0_2_8_unrolled_kernelILi25ELi32ELi5E21rocsparse_complex_numIdEEEv20rocsparse_direction_iiPKiS5_PT2_S5_PiS5_S8_21rocsparse_index_base_
; %bb.0:
	s_load_dwordx8 s[8:15], s[4:5], 0x28
	s_mov_b32 s7, 0
	s_lshl_b64 s[0:1], s[6:7], 2
	v_and_b32_e32 v16, 0x3ff, v0
	v_bfe_u32 v17, v0, 10, 10
	s_waitcnt lgkmcnt(0)
	s_add_u32 s0, s12, s0
	s_addc_u32 s1, s13, s1
	s_load_dword s12, s[0:1], 0x0
	s_waitcnt lgkmcnt(0)
	s_ashr_i32 s13, s12, 31
	s_lshl_b64 s[6:7], s[12:13], 2
	s_add_u32 s0, s8, s6
	s_addc_u32 s1, s9, s7
	s_load_dword s30, s[0:1], 0x0
	s_load_dword s13, s[4:5], 0x48
	s_waitcnt lgkmcnt(0)
	s_cmp_lg_u32 s30, -1
	s_cbranch_scc0 .LBB63_66
; %bb.1:
	s_load_dwordx4 s[16:19], s[4:5], 0x10
	s_load_dwordx2 s[20:21], s[4:5], 0x20
	v_mad_u32_u24 v18, v17, 5, v16
	v_mul_u32_u24_e32 v20, 5, v17
	s_waitcnt lgkmcnt(0)
	s_add_u32 s0, s16, s6
	s_addc_u32 s1, s17, s7
	s_load_dword s26, s[0:1], 0x0
	s_waitcnt lgkmcnt(0)
	s_sub_i32 s31, s26, s13
	v_add_u32_e32 v0, s31, v18
	v_cmp_ge_i32_e32 vcc, s30, v0
	s_and_saveexec_b64 s[2:3], vcc
	s_cbranch_execz .LBB63_14
; %bb.2:
	v_add_u32_e32 v1, s26, v16
	v_add_u32_e32 v2, v1, v20
	v_subrev_u32_e32 v2, s13, v2
	v_add_u32_e32 v2, 25, v2
	s_add_i32 s0, s30, 1
	v_max_i32_e32 v2, s0, v2
	v_add_u32_e32 v2, s13, v2
	v_sub_u32_e32 v1, v2, v1
	v_subrev_u32_e32 v1, 25, v1
	v_cmp_ne_u32_e32 vcc, v1, v20
	v_addc_co_u32_e64 v2, s[0:1], 0, v20, vcc
	v_sub_u32_e32 v1, v1, v2
	s_mov_b32 s0, 0x51eb851f
	v_mul_hi_u32 v1, v1, s0
	v_lshrrev_b32_e32 v1, 3, v1
	v_addc_co_u32_e32 v12, vcc, 0, v1, vcc
	v_cmp_ne_u32_e32 vcc, 0, v12
	s_mov_b64 s[22:23], -1
	s_and_saveexec_b64 s[0:1], vcc
	s_cbranch_execz .LBB63_11
; %bb.3:
	v_add_u32_e32 v2, -1, v12
	v_add_u32_e32 v1, 25, v0
	v_lshrrev_b32_e32 v2, 1, v2
	v_add_u32_e32 v13, 1, v2
	v_cmp_lt_u32_e32 vcc, 14, v12
	v_pk_mov_b32 v[2:3], v[0:1], v[0:1] op_sel:[0,1]
	s_and_saveexec_b64 s[22:23], vcc
	s_cbranch_execz .LBB63_7
; %bb.4:
	v_and_b32_e32 v14, -8, v13
	s_mov_b64 s[24:25], 0
	v_mov_b32_e32 v15, s19
	v_pk_mov_b32 v[2:3], v[0:1], v[0:1] op_sel:[0,1]
.LBB63_5:                               ; =>This Inner Loop Header: Depth=1
	v_ashrrev_i32_e32 v25, 31, v2
	v_mov_b32_e32 v24, v2
	v_lshlrev_b64 v[24:25], 2, v[24:25]
	v_ashrrev_i32_e32 v23, 31, v3
	v_mov_b32_e32 v22, v3
	v_add_co_u32_e32 v24, vcc, s18, v24
	v_add_u32_e32 v4, 50, v2
	v_lshlrev_b64 v[22:23], 2, v[22:23]
	v_addc_co_u32_e32 v25, vcc, v15, v25, vcc
	v_ashrrev_i32_e32 v5, 31, v4
	v_add_co_u32_e32 v22, vcc, s18, v22
	v_add_u32_e32 v6, 50, v3
	v_addc_co_u32_e32 v23, vcc, v15, v23, vcc
	v_lshlrev_b64 v[46:47], 2, v[4:5]
	v_ashrrev_i32_e32 v7, 31, v6
	global_load_dword v1, v[24:25], off
	global_load_dword v5, v[22:23], off
	v_add_co_u32_e32 v22, vcc, s18, v46
	v_add_u32_e32 v8, 0x64, v2
	v_lshlrev_b64 v[48:49], 2, v[6:7]
	v_addc_co_u32_e32 v23, vcc, v15, v47, vcc
	v_ashrrev_i32_e32 v9, 31, v8
	v_add_co_u32_e32 v24, vcc, s18, v48
	v_add_u32_e32 v10, 0x64, v3
	v_lshlrev_b64 v[50:51], 2, v[8:9]
	v_addc_co_u32_e32 v25, vcc, v15, v49, vcc
	v_ashrrev_i32_e32 v11, 31, v10
	;; [unrolled: 5-line block ×12, first 2 shown]
	v_add_co_u32_e32 v66, vcc, s18, v70
	v_lshlrev_b64 v[72:73], 2, v[44:45]
	v_addc_co_u32_e32 v67, vcc, v15, v71, vcc
	v_add_co_u32_e32 v68, vcc, s18, v72
	v_addc_co_u32_e32 v69, vcc, v15, v73, vcc
	global_load_dword v7, v[24:25], off
	global_load_dword v9, v[22:23], off
	;; [unrolled: 1-line block ×14, first 2 shown]
	v_subrev_u32_e32 v23, s31, v2
	v_add_u32_e32 v14, -8, v14
	v_subrev_u32_e32 v22, s31, v3
	v_lshlrev_b32_e32 v23, 2, v23
	v_subrev_u32_e32 v4, s31, v4
	v_cmp_eq_u32_e32 vcc, 0, v14
	s_waitcnt vmcnt(14)
	v_subrev_u32_e32 v5, s13, v5
	v_subrev_u32_e32 v1, s13, v1
	v_add_u32_e32 v3, 0x190, v3
	v_add_u32_e32 v2, 0x190, v2
	v_lshlrev_b32_e32 v22, 2, v22
	v_subrev_u32_e32 v6, s31, v6
	v_subrev_u32_e32 v10, s31, v10
	;; [unrolled: 1-line block ×13, first 2 shown]
	v_lshlrev_b32_e32 v4, 2, v4
	s_or_b64 s[24:25], vcc, s[24:25]
	ds_write_b32 v23, v1 offset:2176
	ds_write_b32 v22, v5 offset:2176
	v_lshlrev_b32_e32 v6, 2, v6
	v_lshlrev_b32_e32 v8, 2, v8
	v_lshlrev_b32_e32 v10, 2, v10
	v_lshlrev_b32_e32 v25, 2, v25
	v_lshlrev_b32_e32 v24, 2, v24
	v_lshlrev_b32_e32 v28, 2, v28
	v_lshlrev_b32_e32 v26, 2, v26
	v_lshlrev_b32_e32 v32, 2, v32
	v_lshlrev_b32_e32 v30, 2, v30
	v_lshlrev_b32_e32 v36, 2, v36
	v_lshlrev_b32_e32 v34, 2, v34
	v_lshlrev_b32_e32 v40, 2, v40
	v_lshlrev_b32_e32 v38, 2, v38
	s_waitcnt vmcnt(13)
	v_subrev_u32_e32 v1, s13, v7
	s_waitcnt vmcnt(12)
	v_subrev_u32_e32 v5, s13, v9
	;; [unrolled: 2-line block ×14, first 2 shown]
	ds_write_b32 v4, v5 offset:2176
	ds_write_b32 v6, v1 offset:2176
	;; [unrolled: 1-line block ×14, first 2 shown]
	s_andn2_b64 exec, exec, s[24:25]
	s_cbranch_execnz .LBB63_5
; %bb.6:
	s_or_b64 exec, exec, s[24:25]
.LBB63_7:
	s_or_b64 exec, exec, s[22:23]
	v_and_b32_e32 v1, 7, v13
	v_cmp_ne_u32_e32 vcc, 0, v1
	s_and_saveexec_b64 s[22:23], vcc
	s_cbranch_execz .LBB63_10
; %bb.8:
	v_sub_u32_e32 v1, 0, v1
	s_mov_b64 s[24:25], 0
	v_mov_b32_e32 v4, s19
.LBB63_9:                               ; =>This Inner Loop Header: Depth=1
	v_ashrrev_i32_e32 v9, 31, v2
	v_mov_b32_e32 v8, v2
	v_lshlrev_b64 v[8:9], 2, v[8:9]
	v_ashrrev_i32_e32 v7, 31, v3
	v_mov_b32_e32 v6, v3
	v_add_co_u32_e32 v8, vcc, s18, v8
	v_lshlrev_b64 v[6:7], 2, v[6:7]
	v_addc_co_u32_e32 v9, vcc, v4, v9, vcc
	v_add_co_u32_e32 v6, vcc, s18, v6
	v_addc_co_u32_e32 v7, vcc, v4, v7, vcc
	global_load_dword v5, v[6:7], off
	global_load_dword v10, v[8:9], off
	v_subrev_u32_e32 v7, s31, v2
	v_add_co_u32_e32 v1, vcc, 1, v1
	v_subrev_u32_e32 v6, s31, v3
	v_add_u32_e32 v3, 50, v3
	v_add_u32_e32 v2, 50, v2
	v_lshlrev_b32_e32 v7, 2, v7
	s_or_b64 s[24:25], vcc, s[24:25]
	v_lshlrev_b32_e32 v6, 2, v6
	s_waitcnt vmcnt(1)
	v_subrev_u32_e32 v5, s13, v5
	s_waitcnt vmcnt(0)
	v_subrev_u32_e32 v8, s13, v10
	ds_write_b32 v7, v8 offset:2176
	ds_write_b32 v6, v5 offset:2176
	s_andn2_b64 exec, exec, s[24:25]
	s_cbranch_execnz .LBB63_9
.LBB63_10:
	s_or_b64 exec, exec, s[22:23]
	v_add_u32_e32 v2, 1, v12
	v_and_b32_e32 v3, 0x3ffffffe, v2
	v_mad_u64_u32 v[0:1], s[22:23], v3, 25, v[0:1]
	v_cmp_ne_u32_e32 vcc, v2, v3
	s_orn2_b64 s[22:23], vcc, exec
.LBB63_11:
	s_or_b64 exec, exec, s[0:1]
	s_and_b64 exec, exec, s[22:23]
	s_cbranch_execz .LBB63_14
; %bb.12:
	v_add_u32_e32 v1, s13, v0
	v_subrev_u32_e32 v1, s26, v1
	v_mov_b32_e32 v2, 0x880
	v_lshl_add_u32 v4, v1, 2, v2
	v_ashrrev_i32_e32 v1, 31, v0
	v_lshlrev_b64 v[2:3], 2, v[0:1]
	v_mov_b32_e32 v1, s19
	v_add_co_u32_e32 v2, vcc, s18, v2
	v_addc_co_u32_e32 v3, vcc, v1, v3, vcc
	s_mov_b64 s[0:1], 0
.LBB63_13:                              ; =>This Inner Loop Header: Depth=1
	global_load_dword v1, v[2:3], off
	v_add_co_u32_e32 v2, vcc, 0x64, v2
	v_add_u32_e32 v0, 25, v0
	v_addc_co_u32_e32 v3, vcc, 0, v3, vcc
	v_cmp_lt_i32_e32 vcc, s30, v0
	s_or_b64 s[0:1], vcc, s[0:1]
	s_waitcnt vmcnt(0)
	v_subrev_u32_e32 v1, s13, v1
	ds_write_b32 v4, v1
	v_add_u32_e32 v4, 0x64, v4
	s_andn2_b64 exec, exec, s[0:1]
	s_cbranch_execnz .LBB63_13
.LBB63_14:
	s_or_b64 exec, exec, s[2:3]
	s_load_dword s33, s[4:5], 0x0
	v_lshlrev_b32_e32 v21, 4, v16
	s_movk_i32 s2, 0x60
	v_mad_u32_u24 v22, v17, s2, v21
	v_mov_b32_e32 v0, 0
	v_add_u32_e32 v19, 0x5a0, v22
	v_mov_b32_e32 v1, v0
	v_mov_b32_e32 v2, v0
	;; [unrolled: 1-line block ×3, first 2 shown]
	s_cmp_ge_i32 s31, s30
	v_mad_u32_u24 v7, v16, 5, v17
	ds_write_b128 v22, v[0:3] offset:1440
	s_waitcnt lgkmcnt(0)
	s_cbranch_scc1 .LBB63_60
; %bb.15:
	s_cmp_eq_u32 s33, 0
	v_mov_b32_e32 v3, 0x3c0
	v_mov_b32_e32 v4, 0x1e0
	v_mad_u32_u24 v2, v16, 5, v17
	s_cselect_b64 vcc, -1, 0
	s_cmp_lg_u32 s33, 0
	v_mad_u32_u24 v23, v17, s2, v3
	v_mad_u32_u24 v25, v17, s2, v4
	v_or_b32_e32 v4, v16, v17
	s_cselect_b64 s[4:5], -1, 0
	v_mul_u32_u24_e32 v1, 5, v16
	v_add_u32_e32 v24, v23, v21
	v_add_u32_e32 v26, v25, v21
	v_cmp_ne_u32_e64 s[0:1], 0, v4
	v_mad_u32_u24 v27, v16, s2, v3
	v_cndmask_b32_e32 v6, v2, v18, vcc
	v_mov_b32_e32 v28, 0x3ff00000
	s_mov_b32 s22, s31
	s_branch .LBB63_19
.LBB63_16:                              ;   in Loop: Header=BB63_19 Depth=1
	s_or_b64 exec, exec, s[24:25]
	v_mov_b32_e32 v10, 0
	v_mov_b32_e32 v11, 0x3ff00000
	v_pk_mov_b32 v[12:13], 0, 0
.LBB63_17:                              ;   in Loop: Header=BB63_19 Depth=1
	s_or_b64 exec, exec, s[2:3]
	ds_read_b128 v[30:33], v0 offset:400
	ds_read_b128 v[34:37], v0 offset:416
	;; [unrolled: 1-line block ×4, first 2 shown]
	ds_read_b128 v[46:49], v23
	ds_read_b128 v[50:53], v0 offset:432
	ds_read_b128 v[54:57], v23 offset:16
	;; [unrolled: 1-line block ×4, first 2 shown]
	s_waitcnt lgkmcnt(4)
	v_fmac_f64_e32 v[44:45], v[40:41], v[46:47]
	v_fma_f64 v[14:15], v[38:39], -v[48:49], v[44:45]
	v_fmac_f64_e32 v[42:43], v[38:39], v[46:47]
	s_waitcnt lgkmcnt(2)
	v_fmac_f64_e32 v[14:15], v[32:33], v[54:55]
	v_fmac_f64_e32 v[42:43], v[40:41], v[48:49]
	v_fma_f64 v[14:15], v[30:31], -v[56:57], v[14:15]
	v_fmac_f64_e32 v[42:43], v[30:31], v[54:55]
	v_mul_f64 v[30:31], v[12:13], v[12:13]
	v_fmac_f64_e32 v[30:31], v[10:11], v[10:11]
	s_waitcnt lgkmcnt(1)
	v_fmac_f64_e32 v[14:15], v[36:37], v[58:59]
	v_fmac_f64_e32 v[42:43], v[32:33], v[56:57]
	v_div_scale_f64 v[32:33], s[2:3], v[30:31], v[30:31], 1.0
	v_fma_f64 v[14:15], v[34:35], -v[60:61], v[14:15]
	v_fmac_f64_e32 v[42:43], v[34:35], v[58:59]
	v_rcp_f64_e32 v[34:35], v[32:33]
	v_fmac_f64_e32 v[42:43], v[36:37], v[60:61]
	s_waitcnt lgkmcnt(0)
	v_fmac_f64_e32 v[42:43], v[50:51], v[62:63]
	v_fmac_f64_e32 v[42:43], v[52:53], v[64:65]
	v_add_f64 v[36:37], v[2:3], -v[42:43]
	v_fma_f64 v[2:3], -v[32:33], v[34:35], 1.0
	v_fmac_f64_e32 v[34:35], v[34:35], v[2:3]
	v_fmac_f64_e32 v[14:15], v[52:53], v[62:63]
	v_fma_f64 v[2:3], -v[32:33], v[34:35], 1.0
	v_fma_f64 v[14:15], v[50:51], -v[64:65], v[14:15]
	v_fmac_f64_e32 v[34:35], v[34:35], v[2:3]
	v_div_scale_f64 v[2:3], vcc, 1.0, v[30:31], 1.0
	v_add_f64 v[4:5], v[4:5], -v[14:15]
	v_mul_f64 v[14:15], v[2:3], v[34:35]
	v_fma_f64 v[2:3], -v[32:33], v[14:15], v[2:3]
	s_nop 0
	v_div_fmas_f64 v[2:3], v[2:3], v[34:35], v[14:15]
	v_div_fixup_f64 v[14:15], v[2:3], v[30:31], 1.0
	v_mul_f64 v[2:3], v[12:13], v[4:5]
	v_mul_f64 v[12:13], v[12:13], -v[36:37]
	v_fmac_f64_e32 v[2:3], v[36:37], v[10:11]
	v_fmac_f64_e32 v[12:13], v[4:5], v[10:11]
	v_mul_f64 v[2:3], v[14:15], v[2:3]
	v_mul_f64 v[4:5], v[14:15], v[12:13]
	ds_write_b128 v23, v[2:5] offset:64
	s_waitcnt lgkmcnt(0)
	ds_read_b128 v[10:13], v27 offset:64
	ds_read_b128 v[30:33], v19
	s_add_i32 s22, s22, 1
	s_cmp_ge_i32 s22, s30
	s_cselect_b64 s[26:27], -1, 0
	s_waitcnt lgkmcnt(0)
	v_fmac_f64_e32 v[30:31], v[2:3], v[10:11]
	v_fmac_f64_e32 v[32:33], v[4:5], v[10:11]
	;; [unrolled: 1-line block ×3, first 2 shown]
	v_fma_f64 v[32:33], v[2:3], -v[12:13], v[32:33]
	ds_write_b128 v19, v[30:33]
	s_waitcnt lgkmcnt(0)
	ds_read2_b64 v[2:5], v24 offset1:1
	s_waitcnt lgkmcnt(0)
	global_store_dwordx4 v[8:9], v[2:5], off
	s_waitcnt vmcnt(0)
	buffer_wbinvl1_vol
.LBB63_18:                              ;   in Loop: Header=BB63_19 Depth=1
	s_and_b64 vcc, exec, s[26:27]
	s_cbranch_vccnz .LBB63_60
.LBB63_19:                              ; =>This Loop Header: Depth=1
                                        ;     Child Loop BB63_22 Depth 2
                                        ;     Child Loop BB63_33 Depth 2
	s_ashr_i32 s23, s22, 31
	s_lshl_b64 s[2:3], s[22:23], 2
	s_add_u32 s2, s18, s2
	s_addc_u32 s3, s19, s3
	s_load_dword s23, s[2:3], 0x0
	s_waitcnt lgkmcnt(0)
	s_sub_i32 s24, s23, s13
	s_ashr_i32 s25, s24, 31
	s_lshl_b64 s[2:3], s[24:25], 2
	s_add_u32 s26, s8, s2
	s_addc_u32 s27, s9, s3
	s_load_dword s25, s[26:27], 0x0
	s_mov_b64 s[26:27], -1
	s_waitcnt lgkmcnt(0)
	s_cmp_eq_u32 s25, -1
	s_cbranch_scc1 .LBB63_18
; %bb.20:                               ;   in Loop: Header=BB63_19 Depth=1
	v_mad_u64_u32 v[2:3], s[26:27], s22, 25, v[6:7]
	v_ashrrev_i32_e32 v3, 31, v2
	v_lshlrev_b64 v[2:3], 4, v[2:3]
	v_mov_b32_e32 v4, s21
	v_add_co_u32_e32 v8, vcc, s20, v2
	v_addc_co_u32_e32 v9, vcc, v4, v3, vcc
	global_load_dwordx4 v[2:5], v[8:9], off
	s_add_u32 s26, s16, s2
	s_addc_u32 s27, s17, s3
	s_load_dword s26, s[26:27], 0x0
	ds_read_b32 v10, v0 offset:2176
	s_mov_b32 s27, 0
	s_waitcnt lgkmcnt(0)
	s_sub_i32 s26, s26, s13
	s_cmp_le_i32 s26, s25
	v_cmp_ge_i32_e32 vcc, s24, v10
	s_cselect_b64 s[28:29], -1, 0
	s_and_b64 s[28:29], s[28:29], vcc
	s_andn2_b64 vcc, exec, s[28:29]
	s_waitcnt vmcnt(0)
	ds_write2_b64 v24, v[2:3], v[4:5] offset1:1
	s_cbranch_vccnz .LBB63_32
; %bb.21:                               ;   in Loop: Header=BB63_19 Depth=1
	s_mov_b32 s34, 0
	s_mov_b32 s35, 0
.LBB63_22:                              ;   Parent Loop BB63_19 Depth=1
                                        ; =>  This Inner Loop Header: Depth=2
	s_ashr_i32 s27, s26, 31
	s_lshl_b64 s[28:29], s[26:27], 2
	s_add_u32 s28, s18, s28
	s_addc_u32 s29, s19, s29
	s_load_dword s27, s[28:29], 0x0
	s_lshl_b32 s28, s35, 2
	v_mov_b32_e32 v2, s28
	ds_read_b32 v2, v2 offset:2176
	s_mov_b64 s[28:29], -1
	s_waitcnt lgkmcnt(0)
	s_sub_i32 s39, s27, s13
                                        ; implicit-def: $sgpr27
                                        ; implicit-def: $sgpr38
                                        ; implicit-def: $sgpr37
	v_cmp_ge_i32_e32 vcc, s39, v2
	v_readfirstlane_b32 s36, v2
	s_cbranch_vccz .LBB63_28
; %bb.23:                               ;   in Loop: Header=BB63_22 Depth=2
	s_cmp_le_i32 s39, s36
                                        ; implicit-def: $sgpr27
                                        ; implicit-def: $sgpr38
                                        ; implicit-def: $sgpr37
	s_cbranch_scc0 .LBB63_25
; %bb.24:                               ;   in Loop: Header=BB63_22 Depth=2
	s_add_i32 s27, s35, s31
	s_mul_i32 s27, s27, 25
	s_lshl_b32 s28, s34, 2
	v_mov_b32_e32 v2, s28
	v_mov_b32_e32 v3, s27
	s_mul_i32 s27, s26, 25
	v_mov_b32_e32 v4, s27
	v_add_u32_e32 v2, 0x600, v2
	ds_write2_b32 v2, v4, v3 offset0:96 offset1:128
	s_add_i32 s37, s35, 1
	s_add_i32 s38, s26, 1
	;; [unrolled: 1-line block ×3, first 2 shown]
	s_mov_b64 s[28:29], 0
.LBB63_25:                              ;   in Loop: Header=BB63_22 Depth=2
	s_andn2_b64 vcc, exec, s[28:29]
	s_cbranch_vccnz .LBB63_27
; %bb.26:                               ;   in Loop: Header=BB63_22 Depth=2
	s_add_i32 s37, s35, 1
	s_mov_b32 s27, s34
	s_mov_b32 s38, s26
.LBB63_27:                              ;   in Loop: Header=BB63_22 Depth=2
	s_mov_b64 s[28:29], 0
.LBB63_28:                              ;   in Loop: Header=BB63_22 Depth=2
	s_andn2_b64 vcc, exec, s[28:29]
	s_cbranch_vccnz .LBB63_30
; %bb.29:                               ;   in Loop: Header=BB63_22 Depth=2
	s_add_i32 s38, s26, 1
	s_mov_b32 s37, s35
	s_mov_b32 s27, s34
.LBB63_30:                              ;   in Loop: Header=BB63_22 Depth=2
	s_cmp_le_i32 s38, s25
	s_cselect_b64 s[28:29], -1, 0
	s_cmp_le_i32 s36, s24
	s_cselect_b64 s[34:35], -1, 0
	s_and_b64 s[28:29], s[28:29], s[34:35]
	s_and_b64 vcc, exec, s[28:29]
	s_cbranch_vccz .LBB63_32
; %bb.31:                               ;   in Loop: Header=BB63_22 Depth=2
	s_mov_b32 s34, s27
	s_mov_b32 s26, s38
	;; [unrolled: 1-line block ×3, first 2 shown]
	s_branch .LBB63_22
.LBB63_32:                              ;   in Loop: Header=BB63_19 Depth=1
	s_add_u32 s2, s10, s2
	s_addc_u32 s3, s11, s3
	s_waitcnt lgkmcnt(0)
.LBB63_33:                              ;   Parent Loop BB63_19 Depth=1
                                        ; =>  This Inner Loop Header: Depth=2
	global_load_dword v2, v0, s[2:3] glc
	s_waitcnt vmcnt(0)
	v_cmp_eq_u32_e32 vcc, 0, v2
	s_cbranch_vccnz .LBB63_33
; %bb.34:                               ;   in Loop: Header=BB63_19 Depth=1
	v_mad_u64_u32 v[2:3], s[2:3], s25, 25, v[6:7]
	v_ashrrev_i32_e32 v3, 31, v2
	v_lshlrev_b64 v[2:3], 4, v[2:3]
	v_mov_b32_e32 v4, s21
	v_add_co_u32_e32 v2, vcc, s20, v2
	v_addc_co_u32_e32 v3, vcc, v4, v3, vcc
	buffer_wbinvl1_vol
	global_load_dwordx4 v[10:13], v[2:3], off
	v_pk_mov_b32 v[4:5], 0, 0
	s_cmp_lt_i32 s27, 2
	v_pk_mov_b32 v[2:3], v[4:5], v[4:5] op_sel:[0,1]
	s_waitcnt vmcnt(0)
	ds_write2_b64 v22, v[10:11], v[12:13] offset1:1
	s_waitcnt lgkmcnt(0)
	s_cbranch_scc1 .LBB63_41
; %bb.35:                               ;   in Loop: Header=BB63_19 Depth=1
	v_pk_mov_b32 v[12:13], 0, 0
	s_add_i32 s24, s27, -1
	s_movk_i32 s25, 0x780
	v_pk_mov_b32 v[10:11], v[12:13], v[12:13] op_sel:[0,1]
	v_mov_b32_e32 v2, s25
	ds_read2_b32 v[14:15], v2 offset1:32
	s_and_b64 vcc, exec, s[4:5]
	s_cbranch_vccz .LBB63_37
.LBB63_36:                              ;   in Loop: Header=BB63_19 Depth=1
	s_waitcnt lgkmcnt(0)
	v_add_u32_e32 v2, v14, v16
	v_ashrrev_i32_e32 v3, 31, v2
	v_lshlrev_b64 v[4:5], 4, v[2:3]
	v_add_u32_e32 v62, v15, v17
	v_mov_b32_e32 v29, s21
	v_add_co_u32_e32 v4, vcc, s20, v4
	v_ashrrev_i32_e32 v63, 31, v62
	v_addc_co_u32_e32 v5, vcc, v29, v5, vcc
	v_lshlrev_b64 v[30:31], 4, v[62:63]
	v_add_co_u32_e32 v38, vcc, s20, v30
	v_addc_co_u32_e32 v39, vcc, v29, v31, vcc
	global_load_dwordx4 v[30:33], v[4:5], off
	global_load_dwordx4 v[34:37], v[38:39], off
	v_add_u32_e32 v4, 5, v2
	v_ashrrev_i32_e32 v5, 31, v4
	v_lshlrev_b64 v[4:5], 4, v[4:5]
	v_add_u32_e32 v38, 5, v62
	v_add_co_u32_e32 v4, vcc, s20, v4
	v_ashrrev_i32_e32 v39, 31, v38
	v_addc_co_u32_e32 v5, vcc, v29, v5, vcc
	v_lshlrev_b64 v[38:39], 4, v[38:39]
	v_add_co_u32_e32 v46, vcc, s20, v38
	v_addc_co_u32_e32 v47, vcc, v29, v39, vcc
	global_load_dwordx4 v[38:41], v[4:5], off
	global_load_dwordx4 v[42:45], v[46:47], off
	v_add_u32_e32 v4, 10, v2
	v_ashrrev_i32_e32 v5, 31, v4
	v_lshlrev_b64 v[4:5], 4, v[4:5]
	v_add_u32_e32 v46, 10, v62
	;; [unrolled: 12-line block ×3, first 2 shown]
	v_add_co_u32_e32 v4, vcc, s20, v4
	v_ashrrev_i32_e32 v55, 31, v54
	v_addc_co_u32_e32 v5, vcc, v29, v5, vcc
	v_lshlrev_b64 v[54:55], 4, v[54:55]
	v_add_u32_e32 v2, 20, v2
	v_add_co_u32_e32 v64, vcc, s20, v54
	v_ashrrev_i32_e32 v3, 31, v2
	v_addc_co_u32_e32 v65, vcc, v29, v55, vcc
	global_load_dwordx4 v[54:57], v[4:5], off
	global_load_dwordx4 v[58:61], v[64:65], off
	v_lshlrev_b64 v[2:3], 4, v[2:3]
	v_add_u32_e32 v4, 20, v62
	v_add_co_u32_e32 v2, vcc, s20, v2
	v_ashrrev_i32_e32 v5, 31, v4
	v_addc_co_u32_e32 v3, vcc, v29, v3, vcc
	v_lshlrev_b64 v[4:5], 4, v[4:5]
	v_add_co_u32_e32 v4, vcc, s20, v4
	v_addc_co_u32_e32 v5, vcc, v29, v5, vcc
	global_load_dwordx4 v[62:65], v[2:3], off
	global_load_dwordx4 v[66:69], v[4:5], off
	s_waitcnt vmcnt(8)
	v_fma_f64 v[2:3], v[30:31], v[34:35], v[10:11]
	v_fma_f64 v[4:5], v[32:33], v[34:35], v[12:13]
	v_fmac_f64_e32 v[2:3], v[32:33], v[36:37]
	v_fma_f64 v[4:5], v[30:31], -v[36:37], v[4:5]
	s_waitcnt vmcnt(6)
	v_fmac_f64_e32 v[2:3], v[38:39], v[42:43]
	v_fmac_f64_e32 v[4:5], v[40:41], v[42:43]
	v_fmac_f64_e32 v[2:3], v[40:41], v[44:45]
	v_fma_f64 v[4:5], v[38:39], -v[44:45], v[4:5]
	s_waitcnt vmcnt(4)
	v_fmac_f64_e32 v[2:3], v[46:47], v[50:51]
	v_fmac_f64_e32 v[4:5], v[48:49], v[50:51]
	;; [unrolled: 5-line block ×4, first 2 shown]
	v_fmac_f64_e32 v[2:3], v[64:65], v[68:69]
	v_fma_f64 v[4:5], v[62:63], -v[68:69], v[4:5]
	s_cbranch_execz .LBB63_38
	s_branch .LBB63_39
.LBB63_37:                              ;   in Loop: Header=BB63_19 Depth=1
                                        ; implicit-def: $vgpr4_vgpr5
.LBB63_38:                              ;   in Loop: Header=BB63_19 Depth=1
	s_waitcnt lgkmcnt(0)
	v_add_u32_e32 v2, v14, v1
	v_ashrrev_i32_e32 v3, 31, v2
	v_lshlrev_b64 v[2:3], 4, v[2:3]
	v_mov_b32_e32 v29, s21
	v_add_co_u32_e32 v66, vcc, s20, v2
	v_addc_co_u32_e32 v67, vcc, v29, v3, vcc
	global_load_dwordx4 v[2:5], v[66:67], off
	v_add_u32_e32 v14, v15, v20
	v_ashrrev_i32_e32 v15, 31, v14
	v_lshlrev_b64 v[14:15], 4, v[14:15]
	v_add_co_u32_e32 v14, vcc, s20, v14
	v_addc_co_u32_e32 v15, vcc, v29, v15, vcc
	global_load_dwordx4 v[30:33], v[14:15], off
	global_load_dwordx4 v[34:37], v[66:67], off offset:16
	global_load_dwordx4 v[38:41], v[14:15], off offset:16
	;; [unrolled: 1-line block ×8, first 2 shown]
	s_waitcnt vmcnt(8)
	v_fmac_f64_e32 v[10:11], v[2:3], v[30:31]
	v_fmac_f64_e32 v[12:13], v[4:5], v[30:31]
	v_fmac_f64_e32 v[10:11], v[4:5], v[32:33]
	v_fma_f64 v[2:3], v[2:3], -v[32:33], v[12:13]
	s_waitcnt vmcnt(6)
	v_fmac_f64_e32 v[10:11], v[34:35], v[38:39]
	v_fmac_f64_e32 v[2:3], v[36:37], v[38:39]
	v_fmac_f64_e32 v[10:11], v[36:37], v[40:41]
	v_fma_f64 v[2:3], v[34:35], -v[40:41], v[2:3]
	;; [unrolled: 5-line block ×5, first 2 shown]
	v_pk_mov_b32 v[2:3], v[10:11], v[10:11] op_sel:[0,1]
.LBB63_39:                              ;   in Loop: Header=BB63_19 Depth=1
	s_add_i32 s24, s24, -1
	s_add_i32 s25, s25, 4
	s_cmp_eq_u32 s24, 0
	s_cbranch_scc1 .LBB63_41
; %bb.40:                               ;   in Loop: Header=BB63_19 Depth=1
	v_pk_mov_b32 v[12:13], v[4:5], v[4:5] op_sel:[0,1]
	v_pk_mov_b32 v[10:11], v[2:3], v[2:3] op_sel:[0,1]
	v_mov_b32_e32 v2, s25
	s_waitcnt lgkmcnt(0)
	ds_read2_b32 v[14:15], v2 offset1:32
	s_and_b64 vcc, exec, s[4:5]
	s_cbranch_vccz .LBB63_37
	s_branch .LBB63_36
.LBB63_41:                              ;   in Loop: Header=BB63_19 Depth=1
	ds_write_b128 v26, v[2:5]
	s_waitcnt lgkmcnt(0)
	ds_read_b128 v[10:13], v0
	ds_read_b128 v[2:5], v23
	s_waitcnt lgkmcnt(1)
	v_cmp_neq_f64_e32 vcc, 0, v[10:11]
	v_cmp_neq_f64_e64 s[2:3], 0, v[12:13]
	s_or_b64 vcc, vcc, s[2:3]
	s_or_b64 s[2:3], vcc, s[0:1]
	v_cndmask_b32_e32 v11, v28, v11, vcc
	s_xor_b64 s[24:25], s[2:3], -1
	v_cndmask_b32_e32 v10, 0, v10, vcc
	v_cndmask_b32_e32 v13, 0, v13, vcc
	;; [unrolled: 1-line block ×3, first 2 shown]
	s_and_saveexec_b64 s[2:3], s[24:25]
	s_cbranch_execz .LBB63_45
; %bb.42:                               ;   in Loop: Header=BB63_19 Depth=1
	v_mbcnt_lo_u32_b32 v10, exec_lo, 0
	v_mbcnt_hi_u32_b32 v10, exec_hi, v10
	v_cmp_eq_u32_e32 vcc, 0, v10
	s_and_saveexec_b64 s[24:25], vcc
	s_cbranch_execz .LBB63_44
; %bb.43:                               ;   in Loop: Header=BB63_19 Depth=1
	v_mov_b32_e32 v10, s23
	global_atomic_smin v0, v10, s[14:15]
.LBB63_44:                              ;   in Loop: Header=BB63_19 Depth=1
	s_or_b64 exec, exec, s[24:25]
	v_mov_b32_e32 v10, 0
	v_mov_b32_e32 v11, 0x3ff00000
	v_pk_mov_b32 v[12:13], 0, 0
.LBB63_45:                              ;   in Loop: Header=BB63_19 Depth=1
	s_or_b64 exec, exec, s[2:3]
	v_mul_f64 v[14:15], v[12:13], v[12:13]
	v_fmac_f64_e32 v[14:15], v[10:11], v[10:11]
	ds_read_b128 v[30:33], v25
	v_div_scale_f64 v[34:35], s[2:3], v[14:15], v[14:15], 1.0
	v_rcp_f64_e32 v[36:37], v[34:35]
	s_waitcnt lgkmcnt(0)
	v_add_f64 v[30:31], v[2:3], -v[30:31]
	v_add_f64 v[4:5], v[4:5], -v[32:33]
	v_fma_f64 v[2:3], -v[34:35], v[36:37], 1.0
	v_fmac_f64_e32 v[36:37], v[36:37], v[2:3]
	v_fma_f64 v[2:3], -v[34:35], v[36:37], 1.0
	v_fmac_f64_e32 v[36:37], v[36:37], v[2:3]
	v_div_scale_f64 v[2:3], vcc, 1.0, v[14:15], 1.0
	v_mul_f64 v[32:33], v[2:3], v[36:37]
	v_fma_f64 v[2:3], -v[34:35], v[32:33], v[2:3]
	s_nop 1
	v_div_fmas_f64 v[2:3], v[2:3], v[36:37], v[32:33]
	v_div_fixup_f64 v[14:15], v[2:3], v[14:15], 1.0
	v_mul_f64 v[2:3], v[12:13], v[4:5]
	v_mul_f64 v[12:13], v[12:13], -v[30:31]
	v_fmac_f64_e32 v[2:3], v[30:31], v[10:11]
	v_fmac_f64_e32 v[12:13], v[4:5], v[10:11]
	v_mul_f64 v[2:3], v[14:15], v[2:3]
	v_mul_f64 v[4:5], v[14:15], v[12:13]
	ds_write_b128 v23, v[2:5]
	s_waitcnt lgkmcnt(0)
	ds_read_b128 v[10:13], v27
	ds_read_b128 v[30:33], v19
	s_waitcnt lgkmcnt(0)
	v_fmac_f64_e32 v[30:31], v[2:3], v[10:11]
	v_fmac_f64_e32 v[32:33], v[4:5], v[10:11]
	;; [unrolled: 1-line block ×3, first 2 shown]
	v_fma_f64 v[32:33], v[2:3], -v[12:13], v[32:33]
	ds_write_b128 v19, v[30:33]
	s_waitcnt lgkmcnt(0)
	ds_read_b128 v[10:13], v0 offset:112
	ds_read_b128 v[2:5], v23 offset:16
	s_waitcnt lgkmcnt(1)
	v_cmp_neq_f64_e32 vcc, 0, v[10:11]
	v_cmp_neq_f64_e64 s[2:3], 0, v[12:13]
	s_or_b64 vcc, vcc, s[2:3]
	s_or_b64 s[2:3], vcc, s[0:1]
	v_cndmask_b32_e32 v11, v28, v11, vcc
	s_xor_b64 s[24:25], s[2:3], -1
	v_cndmask_b32_e32 v10, 0, v10, vcc
	v_cndmask_b32_e32 v13, 0, v13, vcc
	;; [unrolled: 1-line block ×3, first 2 shown]
	s_and_saveexec_b64 s[2:3], s[24:25]
	s_cbranch_execz .LBB63_49
; %bb.46:                               ;   in Loop: Header=BB63_19 Depth=1
	v_mbcnt_lo_u32_b32 v10, exec_lo, 0
	v_mbcnt_hi_u32_b32 v10, exec_hi, v10
	v_cmp_eq_u32_e32 vcc, 0, v10
	s_and_saveexec_b64 s[24:25], vcc
	s_cbranch_execz .LBB63_48
; %bb.47:                               ;   in Loop: Header=BB63_19 Depth=1
	v_mov_b32_e32 v10, s23
	global_atomic_smin v0, v10, s[14:15]
.LBB63_48:                              ;   in Loop: Header=BB63_19 Depth=1
	s_or_b64 exec, exec, s[24:25]
	v_mov_b32_e32 v10, 0
	v_mov_b32_e32 v11, 0x3ff00000
	v_pk_mov_b32 v[12:13], 0, 0
.LBB63_49:                              ;   in Loop: Header=BB63_19 Depth=1
	s_or_b64 exec, exec, s[2:3]
	ds_read_b128 v[30:33], v0 offset:96
	ds_read_b128 v[34:37], v23
	ds_read_b128 v[38:41], v25 offset:16
	v_mul_f64 v[14:15], v[12:13], v[12:13]
	v_fmac_f64_e32 v[14:15], v[10:11], v[10:11]
	s_waitcnt lgkmcnt(0)
	v_fmac_f64_e32 v[40:41], v[32:33], v[34:35]
	v_fmac_f64_e32 v[38:39], v[30:31], v[34:35]
	v_div_scale_f64 v[34:35], s[2:3], v[14:15], v[14:15], 1.0
	v_fma_f64 v[30:31], v[30:31], -v[36:37], v[40:41]
	v_rcp_f64_e32 v[40:41], v[34:35]
	v_fmac_f64_e32 v[38:39], v[32:33], v[36:37]
	v_add_f64 v[32:33], v[2:3], -v[38:39]
	v_add_f64 v[4:5], v[4:5], -v[30:31]
	v_fma_f64 v[2:3], -v[34:35], v[40:41], 1.0
	v_fmac_f64_e32 v[40:41], v[40:41], v[2:3]
	v_fma_f64 v[2:3], -v[34:35], v[40:41], 1.0
	v_fmac_f64_e32 v[40:41], v[40:41], v[2:3]
	v_div_scale_f64 v[2:3], vcc, 1.0, v[14:15], 1.0
	v_mul_f64 v[30:31], v[2:3], v[40:41]
	v_fma_f64 v[2:3], -v[34:35], v[30:31], v[2:3]
	s_nop 1
	v_div_fmas_f64 v[2:3], v[2:3], v[40:41], v[30:31]
	v_div_fixup_f64 v[14:15], v[2:3], v[14:15], 1.0
	v_mul_f64 v[2:3], v[12:13], v[4:5]
	v_mul_f64 v[12:13], v[12:13], -v[32:33]
	v_fmac_f64_e32 v[2:3], v[32:33], v[10:11]
	v_fmac_f64_e32 v[12:13], v[4:5], v[10:11]
	v_mul_f64 v[2:3], v[14:15], v[2:3]
	v_mul_f64 v[4:5], v[14:15], v[12:13]
	ds_write_b128 v23, v[2:5] offset:16
	s_waitcnt lgkmcnt(0)
	ds_read_b128 v[10:13], v27 offset:16
	ds_read_b128 v[30:33], v19
	s_waitcnt lgkmcnt(0)
	v_fmac_f64_e32 v[30:31], v[2:3], v[10:11]
	v_fmac_f64_e32 v[32:33], v[4:5], v[10:11]
	;; [unrolled: 1-line block ×3, first 2 shown]
	v_fma_f64 v[32:33], v[2:3], -v[12:13], v[32:33]
	ds_write_b128 v19, v[30:33]
	s_waitcnt lgkmcnt(0)
	ds_read_b128 v[10:13], v0 offset:224
	ds_read_b128 v[2:5], v23 offset:32
	s_waitcnt lgkmcnt(1)
	v_cmp_neq_f64_e32 vcc, 0, v[10:11]
	v_cmp_neq_f64_e64 s[2:3], 0, v[12:13]
	s_or_b64 vcc, vcc, s[2:3]
	s_or_b64 s[2:3], vcc, s[0:1]
	v_cndmask_b32_e32 v11, v28, v11, vcc
	s_xor_b64 s[24:25], s[2:3], -1
	v_cndmask_b32_e32 v10, 0, v10, vcc
	v_cndmask_b32_e32 v13, 0, v13, vcc
	;; [unrolled: 1-line block ×3, first 2 shown]
	s_and_saveexec_b64 s[2:3], s[24:25]
	s_cbranch_execz .LBB63_53
; %bb.50:                               ;   in Loop: Header=BB63_19 Depth=1
	v_mbcnt_lo_u32_b32 v10, exec_lo, 0
	v_mbcnt_hi_u32_b32 v10, exec_hi, v10
	v_cmp_eq_u32_e32 vcc, 0, v10
	s_and_saveexec_b64 s[24:25], vcc
	s_cbranch_execz .LBB63_52
; %bb.51:                               ;   in Loop: Header=BB63_19 Depth=1
	v_mov_b32_e32 v10, s23
	global_atomic_smin v0, v10, s[14:15]
.LBB63_52:                              ;   in Loop: Header=BB63_19 Depth=1
	s_or_b64 exec, exec, s[24:25]
	v_mov_b32_e32 v10, 0
	v_mov_b32_e32 v11, 0x3ff00000
	v_pk_mov_b32 v[12:13], 0, 0
.LBB63_53:                              ;   in Loop: Header=BB63_19 Depth=1
	s_or_b64 exec, exec, s[2:3]
	ds_read_b128 v[30:33], v0 offset:192
	ds_read_b128 v[34:37], v25 offset:32
	ds_read_b128 v[38:41], v23
	ds_read_b128 v[42:45], v0 offset:208
	ds_read_b128 v[46:49], v23 offset:16
	s_waitcnt lgkmcnt(2)
	v_fmac_f64_e32 v[36:37], v[32:33], v[38:39]
	v_fma_f64 v[14:15], v[30:31], -v[40:41], v[36:37]
	v_fmac_f64_e32 v[34:35], v[30:31], v[38:39]
	v_mul_f64 v[30:31], v[12:13], v[12:13]
	v_fmac_f64_e32 v[30:31], v[10:11], v[10:11]
	v_fmac_f64_e32 v[34:35], v[32:33], v[40:41]
	v_div_scale_f64 v[32:33], s[2:3], v[30:31], v[30:31], 1.0
	v_rcp_f64_e32 v[36:37], v[32:33]
	s_waitcnt lgkmcnt(0)
	v_fmac_f64_e32 v[34:35], v[42:43], v[46:47]
	v_fmac_f64_e32 v[34:35], v[44:45], v[48:49]
	v_add_f64 v[34:35], v[2:3], -v[34:35]
	v_fma_f64 v[2:3], -v[32:33], v[36:37], 1.0
	v_fmac_f64_e32 v[36:37], v[36:37], v[2:3]
	v_fmac_f64_e32 v[14:15], v[44:45], v[46:47]
	v_fma_f64 v[2:3], -v[32:33], v[36:37], 1.0
	v_fma_f64 v[14:15], v[42:43], -v[48:49], v[14:15]
	v_fmac_f64_e32 v[36:37], v[36:37], v[2:3]
	v_div_scale_f64 v[2:3], vcc, 1.0, v[30:31], 1.0
	v_add_f64 v[4:5], v[4:5], -v[14:15]
	v_mul_f64 v[14:15], v[2:3], v[36:37]
	v_fma_f64 v[2:3], -v[32:33], v[14:15], v[2:3]
	s_nop 0
	v_div_fmas_f64 v[2:3], v[2:3], v[36:37], v[14:15]
	v_div_fixup_f64 v[14:15], v[2:3], v[30:31], 1.0
	v_mul_f64 v[2:3], v[12:13], v[4:5]
	v_mul_f64 v[12:13], v[12:13], -v[34:35]
	v_fmac_f64_e32 v[2:3], v[34:35], v[10:11]
	v_fmac_f64_e32 v[12:13], v[4:5], v[10:11]
	v_mul_f64 v[2:3], v[14:15], v[2:3]
	v_mul_f64 v[4:5], v[14:15], v[12:13]
	ds_write_b128 v23, v[2:5] offset:32
	s_waitcnt lgkmcnt(0)
	ds_read_b128 v[10:13], v27 offset:32
	ds_read_b128 v[30:33], v19
	s_waitcnt lgkmcnt(0)
	v_fmac_f64_e32 v[30:31], v[2:3], v[10:11]
	v_fmac_f64_e32 v[32:33], v[4:5], v[10:11]
	;; [unrolled: 1-line block ×3, first 2 shown]
	v_fma_f64 v[32:33], v[2:3], -v[12:13], v[32:33]
	ds_write_b128 v19, v[30:33]
	s_waitcnt lgkmcnt(0)
	ds_read_b128 v[10:13], v0 offset:336
	ds_read_b128 v[2:5], v23 offset:48
	s_waitcnt lgkmcnt(1)
	v_cmp_neq_f64_e32 vcc, 0, v[10:11]
	v_cmp_neq_f64_e64 s[2:3], 0, v[12:13]
	s_or_b64 vcc, vcc, s[2:3]
	s_or_b64 s[2:3], vcc, s[0:1]
	v_cndmask_b32_e32 v11, v28, v11, vcc
	s_xor_b64 s[24:25], s[2:3], -1
	v_cndmask_b32_e32 v10, 0, v10, vcc
	v_cndmask_b32_e32 v13, 0, v13, vcc
	;; [unrolled: 1-line block ×3, first 2 shown]
	s_and_saveexec_b64 s[2:3], s[24:25]
	s_cbranch_execz .LBB63_57
; %bb.54:                               ;   in Loop: Header=BB63_19 Depth=1
	v_mbcnt_lo_u32_b32 v10, exec_lo, 0
	v_mbcnt_hi_u32_b32 v10, exec_hi, v10
	v_cmp_eq_u32_e32 vcc, 0, v10
	s_and_saveexec_b64 s[24:25], vcc
	s_cbranch_execz .LBB63_56
; %bb.55:                               ;   in Loop: Header=BB63_19 Depth=1
	v_mov_b32_e32 v10, s23
	global_atomic_smin v0, v10, s[14:15]
.LBB63_56:                              ;   in Loop: Header=BB63_19 Depth=1
	s_or_b64 exec, exec, s[24:25]
	v_mov_b32_e32 v10, 0
	v_mov_b32_e32 v11, 0x3ff00000
	v_pk_mov_b32 v[12:13], 0, 0
.LBB63_57:                              ;   in Loop: Header=BB63_19 Depth=1
	s_or_b64 exec, exec, s[2:3]
	ds_read_b128 v[30:33], v23
	ds_read_b128 v[34:37], v25 offset:48
	ds_read_b128 v[38:41], v0 offset:288
	;; [unrolled: 1-line block ×6, first 2 shown]
	s_waitcnt lgkmcnt(4)
	v_fmac_f64_e32 v[36:37], v[40:41], v[30:31]
	v_fmac_f64_e32 v[34:35], v[38:39], v[30:31]
	v_mul_f64 v[30:31], v[12:13], v[12:13]
	v_fmac_f64_e32 v[30:31], v[10:11], v[10:11]
	v_fma_f64 v[14:15], v[38:39], -v[32:33], v[36:37]
	v_fmac_f64_e32 v[34:35], v[40:41], v[32:33]
	v_div_scale_f64 v[32:33], s[2:3], v[30:31], v[30:31], 1.0
	s_waitcnt lgkmcnt(2)
	v_fmac_f64_e32 v[34:35], v[42:43], v[46:47]
	v_rcp_f64_e32 v[36:37], v[32:33]
	v_fmac_f64_e32 v[34:35], v[44:45], v[48:49]
	s_waitcnt lgkmcnt(0)
	v_fmac_f64_e32 v[34:35], v[54:55], v[50:51]
	v_fmac_f64_e32 v[34:35], v[56:57], v[52:53]
	;; [unrolled: 1-line block ×3, first 2 shown]
	v_add_f64 v[34:35], v[2:3], -v[34:35]
	v_fma_f64 v[2:3], -v[32:33], v[36:37], 1.0
	v_fma_f64 v[14:15], v[42:43], -v[48:49], v[14:15]
	v_fmac_f64_e32 v[36:37], v[36:37], v[2:3]
	v_fmac_f64_e32 v[14:15], v[56:57], v[50:51]
	v_fma_f64 v[2:3], -v[32:33], v[36:37], 1.0
	v_fma_f64 v[14:15], v[54:55], -v[52:53], v[14:15]
	v_fmac_f64_e32 v[36:37], v[36:37], v[2:3]
	v_div_scale_f64 v[2:3], vcc, 1.0, v[30:31], 1.0
	v_add_f64 v[4:5], v[4:5], -v[14:15]
	v_mul_f64 v[14:15], v[2:3], v[36:37]
	v_fma_f64 v[2:3], -v[32:33], v[14:15], v[2:3]
	s_nop 0
	v_div_fmas_f64 v[2:3], v[2:3], v[36:37], v[14:15]
	v_div_fixup_f64 v[14:15], v[2:3], v[30:31], 1.0
	v_mul_f64 v[2:3], v[12:13], v[4:5]
	v_mul_f64 v[12:13], v[12:13], -v[34:35]
	v_fmac_f64_e32 v[2:3], v[34:35], v[10:11]
	v_fmac_f64_e32 v[12:13], v[4:5], v[10:11]
	v_mul_f64 v[2:3], v[14:15], v[2:3]
	v_mul_f64 v[4:5], v[14:15], v[12:13]
	ds_write_b128 v23, v[2:5] offset:48
	s_waitcnt lgkmcnt(0)
	ds_read_b128 v[10:13], v27 offset:48
	ds_read_b128 v[30:33], v19
	s_waitcnt lgkmcnt(0)
	v_fmac_f64_e32 v[30:31], v[2:3], v[10:11]
	v_fmac_f64_e32 v[32:33], v[4:5], v[10:11]
	;; [unrolled: 1-line block ×3, first 2 shown]
	v_fma_f64 v[32:33], v[2:3], -v[12:13], v[32:33]
	ds_write_b128 v19, v[30:33]
	s_waitcnt lgkmcnt(0)
	ds_read_b128 v[10:13], v0 offset:448
	ds_read_b128 v[2:5], v23 offset:64
	s_waitcnt lgkmcnt(1)
	v_cmp_neq_f64_e32 vcc, 0, v[10:11]
	v_cmp_neq_f64_e64 s[2:3], 0, v[12:13]
	s_or_b64 vcc, vcc, s[2:3]
	s_or_b64 s[2:3], vcc, s[0:1]
	v_cndmask_b32_e32 v11, v28, v11, vcc
	s_xor_b64 s[24:25], s[2:3], -1
	v_cndmask_b32_e32 v10, 0, v10, vcc
	v_cndmask_b32_e32 v13, 0, v13, vcc
	v_cndmask_b32_e32 v12, 0, v12, vcc
	s_and_saveexec_b64 s[2:3], s[24:25]
	s_cbranch_execz .LBB63_17
; %bb.58:                               ;   in Loop: Header=BB63_19 Depth=1
	v_mbcnt_lo_u32_b32 v10, exec_lo, 0
	v_mbcnt_hi_u32_b32 v10, exec_hi, v10
	v_cmp_eq_u32_e32 vcc, 0, v10
	s_and_saveexec_b64 s[24:25], vcc
	s_cbranch_execz .LBB63_16
; %bb.59:                               ;   in Loop: Header=BB63_19 Depth=1
	v_mov_b32_e32 v10, s23
	global_atomic_smin v0, v10, s[14:15]
	s_branch .LBB63_16
.LBB63_60:
	s_cmp_lg_u32 s33, 0
	s_cselect_b64 s[8:9], -1, 0
	s_cmp_eq_u32 s33, 0
	v_mov_b32_e32 v0, v18
	s_cbranch_scc1 .LBB63_62
; %bb.61:
	v_mad_u32_u24 v0, v16, 5, v17
.LBB63_62:
	s_mul_i32 s30, s30, 25
	v_add_u32_e32 v0, s30, v0
	v_ashrrev_i32_e32 v1, 31, v0
	v_lshlrev_b64 v[0:1], 4, v[0:1]
	v_mov_b32_e32 v2, s21
	v_add_co_u32_e32 v0, vcc, s20, v0
	v_addc_co_u32_e32 v1, vcc, v2, v1, vcc
	global_load_dwordx4 v[0:3], v[0:1], off
	s_movk_i32 s0, 0x60
	v_cmp_ne_u32_e64 s[2:3], 0, v17
	v_mad_u32_u24 v6, v17, s0, v21
	v_cmp_eq_u32_e32 vcc, 0, v17
	s_waitcnt vmcnt(0)
	ds_write2_b64 v6, v[0:1], v[2:3] offset0:120 offset1:121
	s_waitcnt lgkmcnt(0)
	s_and_saveexec_b64 s[0:1], vcc
	s_cbranch_execz .LBB63_71
; %bb.63:
	v_mov_b32_e32 v4, 0
	ds_read_b128 v[0:3], v4 offset:1440
	ds_read_b128 v[8:11], v4 offset:960
	s_waitcnt lgkmcnt(0)
	v_add_f64 v[0:1], v[8:9], -v[0:1]
	v_add_f64 v[4:5], v[10:11], -v[2:3]
	v_xor_b32_e32 v2, 0x80000000, v1
	v_cmp_gt_f64_e32 vcc, 0, v[0:1]
	v_cndmask_b32_e32 v1, v1, v2, vcc
	v_cndmask_b32_e32 v0, v0, v0, vcc
	v_xor_b32_e32 v2, 0x80000000, v5
	v_cmp_gt_f64_e32 vcc, 0, v[4:5]
	v_cndmask_b32_e32 v3, v5, v2, vcc
	v_cndmask_b32_e32 v2, v4, v4, vcc
	v_cmp_ngt_f64_e32 vcc, v[0:1], v[2:3]
	s_cbranch_vccz .LBB63_67
; %bb.64:
	v_cmp_eq_f64_e32 vcc, 0, v[4:5]
	s_mov_b64 s[4:5], 0
	v_pk_mov_b32 v[4:5], 0, 0
	s_cbranch_vccnz .LBB63_68
; %bb.65:
	v_div_scale_f64 v[4:5], s[16:17], v[2:3], v[2:3], v[0:1]
	v_rcp_f64_e32 v[8:9], v[4:5]
	v_div_scale_f64 v[10:11], vcc, v[0:1], v[2:3], v[0:1]
	s_mov_b32 s16, 0
	v_fma_f64 v[12:13], -v[4:5], v[8:9], 1.0
	v_fmac_f64_e32 v[8:9], v[8:9], v[12:13]
	v_fma_f64 v[12:13], -v[4:5], v[8:9], 1.0
	v_fmac_f64_e32 v[8:9], v[8:9], v[12:13]
	v_mul_f64 v[12:13], v[10:11], v[8:9]
	v_fma_f64 v[4:5], -v[4:5], v[12:13], v[10:11]
	v_div_fmas_f64 v[4:5], v[4:5], v[8:9], v[12:13]
	v_div_fixup_f64 v[4:5], v[4:5], v[2:3], v[0:1]
	v_fma_f64 v[4:5], v[4:5], v[4:5], 1.0
	s_brev_b32 s17, 8
	v_cmp_gt_f64_e32 vcc, s[16:17], v[4:5]
	v_cndmask_b32_e64 v8, 0, 1, vcc
	v_lshlrev_b32_e32 v8, 8, v8
	v_ldexp_f64 v[4:5], v[4:5], v8
	v_rsq_f64_e32 v[8:9], v[4:5]
	s_and_b64 s[16:17], vcc, exec
	s_cselect_b32 s16, 0xffffff80, 0
	v_mul_f64 v[10:11], v[4:5], v[8:9]
	v_mul_f64 v[8:9], v[8:9], 0.5
	v_fma_f64 v[12:13], -v[8:9], v[10:11], 0.5
	v_fmac_f64_e32 v[10:11], v[10:11], v[12:13]
	v_fma_f64 v[14:15], -v[10:11], v[10:11], v[4:5]
	v_fmac_f64_e32 v[8:9], v[8:9], v[12:13]
	v_fmac_f64_e32 v[10:11], v[14:15], v[8:9]
	v_fma_f64 v[12:13], -v[10:11], v[10:11], v[4:5]
	v_fmac_f64_e32 v[10:11], v[12:13], v[8:9]
	v_ldexp_f64 v[8:9], v[10:11], s16
	v_mov_b32_e32 v10, 0x260
	v_cmp_class_f64_e32 vcc, v[4:5], v10
	v_cndmask_b32_e32 v5, v9, v5, vcc
	v_cndmask_b32_e32 v4, v8, v4, vcc
	v_mul_f64 v[4:5], v[2:3], v[4:5]
	s_branch .LBB63_68
.LBB63_66:
	s_mov_b64 s[0:1], 0
	s_cbranch_execnz .LBB63_132
	s_branch .LBB63_137
.LBB63_67:
	s_mov_b64 s[4:5], -1
                                        ; implicit-def: $vgpr4_vgpr5
.LBB63_68:
	s_andn2_b64 vcc, exec, s[4:5]
	s_cbranch_vccnz .LBB63_70
; %bb.69:
	v_div_scale_f64 v[4:5], s[4:5], v[0:1], v[0:1], v[2:3]
	v_rcp_f64_e32 v[8:9], v[4:5]
	v_div_scale_f64 v[10:11], vcc, v[2:3], v[0:1], v[2:3]
	s_mov_b32 s4, 0
	v_fma_f64 v[12:13], -v[4:5], v[8:9], 1.0
	v_fmac_f64_e32 v[8:9], v[8:9], v[12:13]
	v_fma_f64 v[12:13], -v[4:5], v[8:9], 1.0
	v_fmac_f64_e32 v[8:9], v[8:9], v[12:13]
	v_mul_f64 v[12:13], v[10:11], v[8:9]
	v_fma_f64 v[4:5], -v[4:5], v[12:13], v[10:11]
	v_div_fmas_f64 v[4:5], v[4:5], v[8:9], v[12:13]
	v_div_fixup_f64 v[2:3], v[4:5], v[0:1], v[2:3]
	v_fma_f64 v[2:3], v[2:3], v[2:3], 1.0
	s_brev_b32 s5, 8
	v_cmp_gt_f64_e32 vcc, s[4:5], v[2:3]
	v_cndmask_b32_e64 v4, 0, 1, vcc
	v_lshlrev_b32_e32 v4, 8, v4
	v_ldexp_f64 v[2:3], v[2:3], v4
	v_rsq_f64_e32 v[4:5], v[2:3]
	s_and_b64 s[4:5], vcc, exec
	s_cselect_b32 s4, 0xffffff80, 0
	v_mul_f64 v[8:9], v[2:3], v[4:5]
	v_mul_f64 v[4:5], v[4:5], 0.5
	v_fma_f64 v[10:11], -v[4:5], v[8:9], 0.5
	v_fmac_f64_e32 v[8:9], v[8:9], v[10:11]
	v_fma_f64 v[12:13], -v[8:9], v[8:9], v[2:3]
	v_fmac_f64_e32 v[4:5], v[4:5], v[10:11]
	v_fmac_f64_e32 v[8:9], v[12:13], v[4:5]
	v_fma_f64 v[10:11], -v[8:9], v[8:9], v[2:3]
	v_fmac_f64_e32 v[8:9], v[10:11], v[4:5]
	v_ldexp_f64 v[4:5], v[8:9], s4
	v_mov_b32_e32 v8, 0x260
	v_cmp_class_f64_e32 vcc, v[2:3], v8
	v_cndmask_b32_e32 v3, v5, v3, vcc
	v_cndmask_b32_e32 v2, v4, v2, vcc
	v_mul_f64 v[4:5], v[0:1], v[2:3]
.LBB63_70:
	s_mov_b32 s4, 0
	s_brev_b32 s5, 8
	v_cmp_gt_f64_e32 vcc, s[4:5], v[4:5]
	v_cndmask_b32_e64 v0, 0, 1, vcc
	v_lshlrev_b32_e32 v0, 8, v0
	v_ldexp_f64 v[0:1], v[4:5], v0
	v_rsq_f64_e32 v[2:3], v[0:1]
	s_and_b64 s[4:5], vcc, exec
	s_cselect_b32 s4, 0xffffff80, 0
	v_mul_f64 v[4:5], v[0:1], v[2:3]
	v_mul_f64 v[2:3], v[2:3], 0.5
	v_fma_f64 v[8:9], -v[2:3], v[4:5], 0.5
	v_fmac_f64_e32 v[4:5], v[4:5], v[8:9]
	v_fma_f64 v[10:11], -v[4:5], v[4:5], v[0:1]
	v_fmac_f64_e32 v[2:3], v[2:3], v[8:9]
	v_fmac_f64_e32 v[4:5], v[10:11], v[2:3]
	v_fma_f64 v[8:9], -v[4:5], v[4:5], v[0:1]
	v_fmac_f64_e32 v[4:5], v[8:9], v[2:3]
	v_ldexp_f64 v[2:3], v[4:5], s4
	v_mov_b32_e32 v4, 0x260
	v_cmp_class_f64_e32 vcc, v[0:1], v4
	v_cndmask_b32_e32 v0, v2, v0, vcc
	v_mov_b32_e32 v2, 0
	v_cndmask_b32_e32 v1, v3, v1, vcc
	v_mov_b32_e32 v3, v2
	ds_write_b128 v2, v[0:3] offset:960
.LBB63_71:
	s_or_b64 exec, exec, s[0:1]
	v_mov_b32_e32 v0, 0
	s_waitcnt lgkmcnt(0)
	ds_read_b128 v[0:3], v0 offset:960
	v_or_b32_e32 v8, v16, v17
	v_cmp_ne_u32_e64 s[0:1], 0, v8
	v_mov_b32_e32 v4, 0x3ff00000
	v_add_u32_e32 v6, 0x3c0, v6
	s_waitcnt lgkmcnt(0)
	v_cmp_neq_f64_e32 vcc, 0, v[0:1]
	v_cmp_neq_f64_e64 s[4:5], 0, v[2:3]
	s_or_b64 vcc, vcc, s[4:5]
	s_or_b64 s[4:5], vcc, s[0:1]
	s_add_i32 s18, s12, s13
	v_cndmask_b32_e32 v1, v4, v1, vcc
	s_xor_b64 s[16:17], s[4:5], -1
	v_cndmask_b32_e32 v0, 0, v0, vcc
	v_cndmask_b32_e32 v3, 0, v3, vcc
	;; [unrolled: 1-line block ×3, first 2 shown]
	s_and_saveexec_b64 s[4:5], s[16:17]
	s_cbranch_execz .LBB63_75
; %bb.72:
	v_mbcnt_lo_u32_b32 v0, exec_lo, 0
	v_mbcnt_hi_u32_b32 v0, exec_hi, v0
	v_cmp_eq_u32_e32 vcc, 0, v0
	s_and_saveexec_b64 s[16:17], vcc
	s_cbranch_execz .LBB63_74
; %bb.73:
	v_mov_b32_e32 v0, 0
	v_mov_b32_e32 v1, s18
	global_atomic_smin v0, v1, s[14:15]
.LBB63_74:
	s_or_b64 exec, exec, s[16:17]
	v_mov_b32_e32 v0, 0
	v_mov_b32_e32 v1, 0x3ff00000
	v_pk_mov_b32 v[2:3], 0, 0
.LBB63_75:
	s_or_b64 exec, exec, s[4:5]
	s_and_saveexec_b64 s[4:5], s[2:3]
	s_cbranch_execz .LBB63_77
; %bb.76:
	v_mul_f64 v[4:5], v[2:3], v[2:3]
	v_mul_u32_u24_e32 v9, 0x60, v17
	v_fmac_f64_e32 v[4:5], v[0:1], v[0:1]
	ds_read_b128 v[10:13], v9 offset:960
	ds_read_b128 v[20:23], v9 offset:1440
	v_div_scale_f64 v[14:15], s[2:3], v[4:5], v[4:5], 1.0
	v_rcp_f64_e32 v[24:25], v[14:15]
	s_waitcnt lgkmcnt(0)
	v_add_f64 v[20:21], v[10:11], -v[20:21]
	v_add_f64 v[12:13], v[12:13], -v[22:23]
	v_fma_f64 v[10:11], -v[14:15], v[24:25], 1.0
	v_fmac_f64_e32 v[24:25], v[24:25], v[10:11]
	v_fma_f64 v[10:11], -v[14:15], v[24:25], 1.0
	v_fmac_f64_e32 v[24:25], v[24:25], v[10:11]
	v_div_scale_f64 v[10:11], vcc, 1.0, v[4:5], 1.0
	v_mul_f64 v[22:23], v[10:11], v[24:25]
	v_fma_f64 v[10:11], -v[14:15], v[22:23], v[10:11]
	s_nop 1
	v_div_fmas_f64 v[10:11], v[10:11], v[24:25], v[22:23]
	v_div_fixup_f64 v[4:5], v[10:11], v[4:5], 1.0
	v_mul_f64 v[10:11], v[2:3], v[12:13]
	v_mul_f64 v[2:3], v[2:3], -v[20:21]
	v_fmac_f64_e32 v[10:11], v[20:21], v[0:1]
	v_fmac_f64_e32 v[2:3], v[12:13], v[0:1]
	v_mul_f64 v[10:11], v[4:5], v[10:11]
	v_mul_f64 v[12:13], v[4:5], v[2:3]
	v_mul_u32_u24_e32 v0, 0x60, v16
	ds_write_b128 v9, v[10:13] offset:960
	s_waitcnt lgkmcnt(0)
	ds_read_b128 v[0:3], v0 offset:960
	ds_read_b128 v[20:23], v19
	s_waitcnt lgkmcnt(0)
	v_fmac_f64_e32 v[20:21], v[10:11], v[0:1]
	v_fmac_f64_e32 v[22:23], v[12:13], v[0:1]
	;; [unrolled: 1-line block ×3, first 2 shown]
	v_fma_f64 v[22:23], v[10:11], -v[2:3], v[22:23]
	ds_write_b128 v19, v[20:23]
.LBB63_77:
	s_or_b64 exec, exec, s[4:5]
	v_cmp_eq_u32_e32 vcc, 1, v17
	s_waitcnt lgkmcnt(0)
	s_and_saveexec_b64 s[2:3], vcc
	s_cbranch_execz .LBB63_85
; %bb.78:
	v_mov_b32_e32 v4, 0
	ds_read_b128 v[0:3], v4 offset:1552
	ds_read_b128 v[10:13], v4 offset:1072
	s_waitcnt lgkmcnt(0)
	v_add_f64 v[0:1], v[10:11], -v[0:1]
	v_add_f64 v[4:5], v[12:13], -v[2:3]
	v_xor_b32_e32 v2, 0x80000000, v1
	v_cmp_gt_f64_e32 vcc, 0, v[0:1]
	v_cndmask_b32_e32 v1, v1, v2, vcc
	v_cndmask_b32_e32 v0, v0, v0, vcc
	v_xor_b32_e32 v2, 0x80000000, v5
	v_cmp_gt_f64_e32 vcc, 0, v[4:5]
	v_cndmask_b32_e32 v3, v5, v2, vcc
	v_cndmask_b32_e32 v2, v4, v4, vcc
	v_cmp_gt_f64_e32 vcc, v[0:1], v[2:3]
	s_cbranch_vccnz .LBB63_81
; %bb.79:
	v_cmp_eq_f64_e32 vcc, 0, v[4:5]
	s_mov_b64 s[4:5], 0
	v_pk_mov_b32 v[4:5], 0, 0
	s_cbranch_vccnz .LBB63_82
; %bb.80:
	v_div_scale_f64 v[4:5], s[16:17], v[2:3], v[2:3], v[0:1]
	v_rcp_f64_e32 v[10:11], v[4:5]
	v_div_scale_f64 v[12:13], vcc, v[0:1], v[2:3], v[0:1]
	s_mov_b32 s16, 0
	v_fma_f64 v[14:15], -v[4:5], v[10:11], 1.0
	v_fmac_f64_e32 v[10:11], v[10:11], v[14:15]
	v_fma_f64 v[14:15], -v[4:5], v[10:11], 1.0
	v_fmac_f64_e32 v[10:11], v[10:11], v[14:15]
	v_mul_f64 v[14:15], v[12:13], v[10:11]
	v_fma_f64 v[4:5], -v[4:5], v[14:15], v[12:13]
	v_div_fmas_f64 v[4:5], v[4:5], v[10:11], v[14:15]
	v_div_fixup_f64 v[4:5], v[4:5], v[2:3], v[0:1]
	v_fma_f64 v[4:5], v[4:5], v[4:5], 1.0
	s_brev_b32 s17, 8
	v_cmp_gt_f64_e32 vcc, s[16:17], v[4:5]
	v_cndmask_b32_e64 v9, 0, 1, vcc
	v_lshlrev_b32_e32 v9, 8, v9
	v_ldexp_f64 v[4:5], v[4:5], v9
	v_rsq_f64_e32 v[10:11], v[4:5]
	s_and_b64 s[16:17], vcc, exec
	s_cselect_b32 s16, 0xffffff80, 0
	v_mov_b32_e32 v9, 0x260
	v_mul_f64 v[12:13], v[4:5], v[10:11]
	v_mul_f64 v[10:11], v[10:11], 0.5
	v_fma_f64 v[14:15], -v[10:11], v[12:13], 0.5
	v_fmac_f64_e32 v[12:13], v[12:13], v[14:15]
	v_fma_f64 v[20:21], -v[12:13], v[12:13], v[4:5]
	v_fmac_f64_e32 v[10:11], v[10:11], v[14:15]
	v_fmac_f64_e32 v[12:13], v[20:21], v[10:11]
	v_fma_f64 v[14:15], -v[12:13], v[12:13], v[4:5]
	v_fmac_f64_e32 v[12:13], v[14:15], v[10:11]
	v_ldexp_f64 v[10:11], v[12:13], s16
	v_cmp_class_f64_e32 vcc, v[4:5], v9
	v_cndmask_b32_e32 v5, v11, v5, vcc
	v_cndmask_b32_e32 v4, v10, v4, vcc
	v_mul_f64 v[4:5], v[2:3], v[4:5]
	s_branch .LBB63_82
.LBB63_81:
	s_mov_b64 s[4:5], -1
                                        ; implicit-def: $vgpr4_vgpr5
.LBB63_82:
	s_andn2_b64 vcc, exec, s[4:5]
	s_cbranch_vccnz .LBB63_84
; %bb.83:
	v_div_scale_f64 v[4:5], s[4:5], v[0:1], v[0:1], v[2:3]
	v_rcp_f64_e32 v[10:11], v[4:5]
	v_div_scale_f64 v[12:13], vcc, v[2:3], v[0:1], v[2:3]
	s_mov_b32 s4, 0
	v_fma_f64 v[14:15], -v[4:5], v[10:11], 1.0
	v_fmac_f64_e32 v[10:11], v[10:11], v[14:15]
	v_fma_f64 v[14:15], -v[4:5], v[10:11], 1.0
	v_fmac_f64_e32 v[10:11], v[10:11], v[14:15]
	v_mul_f64 v[14:15], v[12:13], v[10:11]
	v_fma_f64 v[4:5], -v[4:5], v[14:15], v[12:13]
	v_div_fmas_f64 v[4:5], v[4:5], v[10:11], v[14:15]
	v_div_fixup_f64 v[2:3], v[4:5], v[0:1], v[2:3]
	v_fma_f64 v[2:3], v[2:3], v[2:3], 1.0
	s_brev_b32 s5, 8
	v_cmp_gt_f64_e32 vcc, s[4:5], v[2:3]
	v_cndmask_b32_e64 v4, 0, 1, vcc
	v_lshlrev_b32_e32 v4, 8, v4
	v_ldexp_f64 v[2:3], v[2:3], v4
	v_rsq_f64_e32 v[4:5], v[2:3]
	s_and_b64 s[4:5], vcc, exec
	s_cselect_b32 s4, 0xffffff80, 0
	v_mov_b32_e32 v9, 0x260
	v_mul_f64 v[10:11], v[2:3], v[4:5]
	v_mul_f64 v[4:5], v[4:5], 0.5
	v_fma_f64 v[12:13], -v[4:5], v[10:11], 0.5
	v_fmac_f64_e32 v[10:11], v[10:11], v[12:13]
	v_fma_f64 v[14:15], -v[10:11], v[10:11], v[2:3]
	v_fmac_f64_e32 v[4:5], v[4:5], v[12:13]
	v_fmac_f64_e32 v[10:11], v[14:15], v[4:5]
	v_fma_f64 v[12:13], -v[10:11], v[10:11], v[2:3]
	v_fmac_f64_e32 v[10:11], v[12:13], v[4:5]
	v_ldexp_f64 v[4:5], v[10:11], s4
	v_cmp_class_f64_e32 vcc, v[2:3], v9
	v_cndmask_b32_e32 v3, v5, v3, vcc
	v_cndmask_b32_e32 v2, v4, v2, vcc
	v_mul_f64 v[4:5], v[0:1], v[2:3]
.LBB63_84:
	s_mov_b32 s4, 0
	s_brev_b32 s5, 8
	v_cmp_gt_f64_e32 vcc, s[4:5], v[4:5]
	v_cndmask_b32_e64 v0, 0, 1, vcc
	v_lshlrev_b32_e32 v0, 8, v0
	v_ldexp_f64 v[0:1], v[4:5], v0
	v_rsq_f64_e32 v[2:3], v[0:1]
	s_and_b64 s[4:5], vcc, exec
	s_cselect_b32 s4, 0xffffff80, 0
	v_mul_f64 v[4:5], v[0:1], v[2:3]
	v_mul_f64 v[2:3], v[2:3], 0.5
	v_fma_f64 v[10:11], -v[2:3], v[4:5], 0.5
	v_fmac_f64_e32 v[4:5], v[4:5], v[10:11]
	v_fma_f64 v[12:13], -v[4:5], v[4:5], v[0:1]
	v_fmac_f64_e32 v[2:3], v[2:3], v[10:11]
	v_fmac_f64_e32 v[4:5], v[12:13], v[2:3]
	v_fma_f64 v[10:11], -v[4:5], v[4:5], v[0:1]
	v_fmac_f64_e32 v[4:5], v[10:11], v[2:3]
	v_ldexp_f64 v[2:3], v[4:5], s4
	v_mov_b32_e32 v4, 0x260
	v_cmp_class_f64_e32 vcc, v[0:1], v4
	v_cndmask_b32_e32 v0, v2, v0, vcc
	v_mov_b32_e32 v2, 0
	v_cndmask_b32_e32 v1, v3, v1, vcc
	v_mov_b32_e32 v3, v2
	ds_write_b128 v2, v[0:3] offset:1072
.LBB63_85:
	s_or_b64 exec, exec, s[2:3]
	v_mov_b32_e32 v0, 0
	s_waitcnt lgkmcnt(0)
	ds_read_b128 v[0:3], v0 offset:1072
	v_mov_b32_e32 v4, 0x3ff00000
	s_waitcnt lgkmcnt(0)
	v_cmp_neq_f64_e32 vcc, 0, v[0:1]
	v_cmp_neq_f64_e64 s[2:3], 0, v[2:3]
	s_or_b64 vcc, vcc, s[2:3]
	s_or_b64 s[2:3], vcc, s[0:1]
	v_cndmask_b32_e32 v1, v4, v1, vcc
	s_xor_b64 s[4:5], s[2:3], -1
	v_cndmask_b32_e32 v0, 0, v0, vcc
	v_cndmask_b32_e32 v3, 0, v3, vcc
	;; [unrolled: 1-line block ×3, first 2 shown]
	s_and_saveexec_b64 s[2:3], s[4:5]
	s_cbranch_execz .LBB63_89
; %bb.86:
	v_mbcnt_lo_u32_b32 v0, exec_lo, 0
	v_mbcnt_hi_u32_b32 v0, exec_hi, v0
	v_cmp_eq_u32_e32 vcc, 0, v0
	s_and_saveexec_b64 s[4:5], vcc
	s_cbranch_execz .LBB63_88
; %bb.87:
	v_mov_b32_e32 v0, 0
	v_mov_b32_e32 v1, s18
	global_atomic_smin v0, v1, s[14:15]
.LBB63_88:
	s_or_b64 exec, exec, s[4:5]
	v_mov_b32_e32 v0, 0
	v_mov_b32_e32 v1, 0x3ff00000
	v_pk_mov_b32 v[2:3], 0, 0
.LBB63_89:
	s_or_b64 exec, exec, s[2:3]
	v_cmp_lt_u32_e32 vcc, 1, v17
	s_and_saveexec_b64 s[2:3], vcc
	s_cbranch_execz .LBB63_91
; %bb.90:
	v_mul_f64 v[4:5], v[2:3], v[2:3]
	v_mul_u32_u24_e32 v9, 0x60, v17
	v_fmac_f64_e32 v[4:5], v[0:1], v[0:1]
	ds_read_b128 v[10:13], v9 offset:976
	ds_read_b128 v[20:23], v9 offset:1456
	v_div_scale_f64 v[14:15], s[4:5], v[4:5], v[4:5], 1.0
	v_rcp_f64_e32 v[24:25], v[14:15]
	s_waitcnt lgkmcnt(0)
	v_add_f64 v[20:21], v[10:11], -v[20:21]
	v_add_f64 v[12:13], v[12:13], -v[22:23]
	v_fma_f64 v[10:11], -v[14:15], v[24:25], 1.0
	v_fmac_f64_e32 v[24:25], v[24:25], v[10:11]
	v_fma_f64 v[10:11], -v[14:15], v[24:25], 1.0
	v_fmac_f64_e32 v[24:25], v[24:25], v[10:11]
	v_div_scale_f64 v[10:11], vcc, 1.0, v[4:5], 1.0
	v_mul_f64 v[22:23], v[10:11], v[24:25]
	v_fma_f64 v[10:11], -v[14:15], v[22:23], v[10:11]
	s_nop 1
	v_div_fmas_f64 v[10:11], v[10:11], v[24:25], v[22:23]
	v_div_fixup_f64 v[4:5], v[10:11], v[4:5], 1.0
	v_mul_f64 v[10:11], v[2:3], v[12:13]
	v_mul_f64 v[2:3], v[2:3], -v[20:21]
	v_fmac_f64_e32 v[10:11], v[20:21], v[0:1]
	v_fmac_f64_e32 v[2:3], v[12:13], v[0:1]
	v_mul_f64 v[10:11], v[4:5], v[10:11]
	v_mul_f64 v[12:13], v[4:5], v[2:3]
	v_mul_u32_u24_e32 v0, 0x60, v16
	ds_write_b128 v9, v[10:13] offset:976
	s_waitcnt lgkmcnt(0)
	ds_read_b128 v[0:3], v0 offset:976
	ds_read_b128 v[20:23], v19
	s_waitcnt lgkmcnt(0)
	v_fmac_f64_e32 v[20:21], v[10:11], v[0:1]
	v_fmac_f64_e32 v[22:23], v[12:13], v[0:1]
	;; [unrolled: 1-line block ×3, first 2 shown]
	v_fma_f64 v[22:23], v[10:11], -v[2:3], v[22:23]
	ds_write_b128 v19, v[20:23]
.LBB63_91:
	s_or_b64 exec, exec, s[2:3]
	v_cmp_eq_u32_e32 vcc, 2, v17
	s_waitcnt lgkmcnt(0)
	s_and_saveexec_b64 s[2:3], vcc
	s_cbranch_execz .LBB63_99
; %bb.92:
	v_mov_b32_e32 v4, 0
	ds_read_b128 v[0:3], v4 offset:1664
	ds_read_b128 v[10:13], v4 offset:1184
	s_waitcnt lgkmcnt(0)
	v_add_f64 v[0:1], v[10:11], -v[0:1]
	v_add_f64 v[4:5], v[12:13], -v[2:3]
	v_xor_b32_e32 v2, 0x80000000, v1
	v_cmp_gt_f64_e32 vcc, 0, v[0:1]
	v_cndmask_b32_e32 v1, v1, v2, vcc
	v_cndmask_b32_e32 v0, v0, v0, vcc
	v_xor_b32_e32 v2, 0x80000000, v5
	v_cmp_gt_f64_e32 vcc, 0, v[4:5]
	v_cndmask_b32_e32 v3, v5, v2, vcc
	v_cndmask_b32_e32 v2, v4, v4, vcc
	v_cmp_gt_f64_e32 vcc, v[0:1], v[2:3]
	s_cbranch_vccnz .LBB63_95
; %bb.93:
	v_cmp_eq_f64_e32 vcc, 0, v[4:5]
	s_mov_b64 s[4:5], 0
	v_pk_mov_b32 v[4:5], 0, 0
	s_cbranch_vccnz .LBB63_96
; %bb.94:
	v_div_scale_f64 v[4:5], s[16:17], v[2:3], v[2:3], v[0:1]
	v_rcp_f64_e32 v[10:11], v[4:5]
	v_div_scale_f64 v[12:13], vcc, v[0:1], v[2:3], v[0:1]
	s_mov_b32 s16, 0
	v_fma_f64 v[14:15], -v[4:5], v[10:11], 1.0
	v_fmac_f64_e32 v[10:11], v[10:11], v[14:15]
	v_fma_f64 v[14:15], -v[4:5], v[10:11], 1.0
	v_fmac_f64_e32 v[10:11], v[10:11], v[14:15]
	v_mul_f64 v[14:15], v[12:13], v[10:11]
	v_fma_f64 v[4:5], -v[4:5], v[14:15], v[12:13]
	v_div_fmas_f64 v[4:5], v[4:5], v[10:11], v[14:15]
	v_div_fixup_f64 v[4:5], v[4:5], v[2:3], v[0:1]
	v_fma_f64 v[4:5], v[4:5], v[4:5], 1.0
	s_brev_b32 s17, 8
	v_cmp_gt_f64_e32 vcc, s[16:17], v[4:5]
	v_cndmask_b32_e64 v9, 0, 1, vcc
	v_lshlrev_b32_e32 v9, 8, v9
	v_ldexp_f64 v[4:5], v[4:5], v9
	v_rsq_f64_e32 v[10:11], v[4:5]
	s_and_b64 s[16:17], vcc, exec
	s_cselect_b32 s16, 0xffffff80, 0
	v_mov_b32_e32 v9, 0x260
	v_mul_f64 v[12:13], v[4:5], v[10:11]
	v_mul_f64 v[10:11], v[10:11], 0.5
	v_fma_f64 v[14:15], -v[10:11], v[12:13], 0.5
	v_fmac_f64_e32 v[12:13], v[12:13], v[14:15]
	v_fma_f64 v[20:21], -v[12:13], v[12:13], v[4:5]
	v_fmac_f64_e32 v[10:11], v[10:11], v[14:15]
	v_fmac_f64_e32 v[12:13], v[20:21], v[10:11]
	v_fma_f64 v[14:15], -v[12:13], v[12:13], v[4:5]
	v_fmac_f64_e32 v[12:13], v[14:15], v[10:11]
	v_ldexp_f64 v[10:11], v[12:13], s16
	v_cmp_class_f64_e32 vcc, v[4:5], v9
	v_cndmask_b32_e32 v5, v11, v5, vcc
	v_cndmask_b32_e32 v4, v10, v4, vcc
	v_mul_f64 v[4:5], v[2:3], v[4:5]
	s_branch .LBB63_96
.LBB63_95:
	s_mov_b64 s[4:5], -1
                                        ; implicit-def: $vgpr4_vgpr5
.LBB63_96:
	s_andn2_b64 vcc, exec, s[4:5]
	s_cbranch_vccnz .LBB63_98
; %bb.97:
	v_div_scale_f64 v[4:5], s[4:5], v[0:1], v[0:1], v[2:3]
	v_rcp_f64_e32 v[10:11], v[4:5]
	v_div_scale_f64 v[12:13], vcc, v[2:3], v[0:1], v[2:3]
	s_mov_b32 s4, 0
	v_fma_f64 v[14:15], -v[4:5], v[10:11], 1.0
	v_fmac_f64_e32 v[10:11], v[10:11], v[14:15]
	v_fma_f64 v[14:15], -v[4:5], v[10:11], 1.0
	v_fmac_f64_e32 v[10:11], v[10:11], v[14:15]
	v_mul_f64 v[14:15], v[12:13], v[10:11]
	v_fma_f64 v[4:5], -v[4:5], v[14:15], v[12:13]
	v_div_fmas_f64 v[4:5], v[4:5], v[10:11], v[14:15]
	v_div_fixup_f64 v[2:3], v[4:5], v[0:1], v[2:3]
	v_fma_f64 v[2:3], v[2:3], v[2:3], 1.0
	s_brev_b32 s5, 8
	v_cmp_gt_f64_e32 vcc, s[4:5], v[2:3]
	v_cndmask_b32_e64 v4, 0, 1, vcc
	v_lshlrev_b32_e32 v4, 8, v4
	v_ldexp_f64 v[2:3], v[2:3], v4
	v_rsq_f64_e32 v[4:5], v[2:3]
	s_and_b64 s[4:5], vcc, exec
	s_cselect_b32 s4, 0xffffff80, 0
	v_mov_b32_e32 v9, 0x260
	v_mul_f64 v[10:11], v[2:3], v[4:5]
	v_mul_f64 v[4:5], v[4:5], 0.5
	v_fma_f64 v[12:13], -v[4:5], v[10:11], 0.5
	v_fmac_f64_e32 v[10:11], v[10:11], v[12:13]
	v_fma_f64 v[14:15], -v[10:11], v[10:11], v[2:3]
	v_fmac_f64_e32 v[4:5], v[4:5], v[12:13]
	v_fmac_f64_e32 v[10:11], v[14:15], v[4:5]
	v_fma_f64 v[12:13], -v[10:11], v[10:11], v[2:3]
	v_fmac_f64_e32 v[10:11], v[12:13], v[4:5]
	v_ldexp_f64 v[4:5], v[10:11], s4
	v_cmp_class_f64_e32 vcc, v[2:3], v9
	v_cndmask_b32_e32 v3, v5, v3, vcc
	v_cndmask_b32_e32 v2, v4, v2, vcc
	v_mul_f64 v[4:5], v[0:1], v[2:3]
.LBB63_98:
	s_mov_b32 s4, 0
	s_brev_b32 s5, 8
	v_cmp_gt_f64_e32 vcc, s[4:5], v[4:5]
	v_cndmask_b32_e64 v0, 0, 1, vcc
	v_lshlrev_b32_e32 v0, 8, v0
	v_ldexp_f64 v[0:1], v[4:5], v0
	v_rsq_f64_e32 v[2:3], v[0:1]
	s_and_b64 s[4:5], vcc, exec
	s_cselect_b32 s4, 0xffffff80, 0
	v_mul_f64 v[4:5], v[0:1], v[2:3]
	v_mul_f64 v[2:3], v[2:3], 0.5
	v_fma_f64 v[10:11], -v[2:3], v[4:5], 0.5
	v_fmac_f64_e32 v[4:5], v[4:5], v[10:11]
	v_fma_f64 v[12:13], -v[4:5], v[4:5], v[0:1]
	v_fmac_f64_e32 v[2:3], v[2:3], v[10:11]
	v_fmac_f64_e32 v[4:5], v[12:13], v[2:3]
	v_fma_f64 v[10:11], -v[4:5], v[4:5], v[0:1]
	v_fmac_f64_e32 v[4:5], v[10:11], v[2:3]
	v_ldexp_f64 v[2:3], v[4:5], s4
	v_mov_b32_e32 v4, 0x260
	v_cmp_class_f64_e32 vcc, v[0:1], v4
	v_cndmask_b32_e32 v0, v2, v0, vcc
	v_mov_b32_e32 v2, 0
	v_cndmask_b32_e32 v1, v3, v1, vcc
	v_mov_b32_e32 v3, v2
	ds_write_b128 v2, v[0:3] offset:1184
.LBB63_99:
	s_or_b64 exec, exec, s[2:3]
	v_mov_b32_e32 v0, 0
	s_waitcnt lgkmcnt(0)
	ds_read_b128 v[0:3], v0 offset:1184
	v_mov_b32_e32 v4, 0x3ff00000
	s_waitcnt lgkmcnt(0)
	v_cmp_neq_f64_e32 vcc, 0, v[0:1]
	v_cmp_neq_f64_e64 s[2:3], 0, v[2:3]
	s_or_b64 vcc, vcc, s[2:3]
	s_or_b64 s[2:3], vcc, s[0:1]
	v_cndmask_b32_e32 v1, v4, v1, vcc
	s_xor_b64 s[4:5], s[2:3], -1
	v_cndmask_b32_e32 v0, 0, v0, vcc
	v_cndmask_b32_e32 v3, 0, v3, vcc
	;; [unrolled: 1-line block ×3, first 2 shown]
	s_and_saveexec_b64 s[2:3], s[4:5]
	s_cbranch_execz .LBB63_103
; %bb.100:
	v_mbcnt_lo_u32_b32 v0, exec_lo, 0
	v_mbcnt_hi_u32_b32 v0, exec_hi, v0
	v_cmp_eq_u32_e32 vcc, 0, v0
	s_and_saveexec_b64 s[4:5], vcc
	s_cbranch_execz .LBB63_102
; %bb.101:
	v_mov_b32_e32 v0, 0
	v_mov_b32_e32 v1, s18
	global_atomic_smin v0, v1, s[14:15]
.LBB63_102:
	s_or_b64 exec, exec, s[4:5]
	v_mov_b32_e32 v0, 0
	v_mov_b32_e32 v1, 0x3ff00000
	v_pk_mov_b32 v[2:3], 0, 0
.LBB63_103:
	s_or_b64 exec, exec, s[2:3]
	v_cmp_lt_u32_e32 vcc, 2, v17
	s_and_saveexec_b64 s[2:3], vcc
	s_cbranch_execz .LBB63_105
; %bb.104:
	v_mul_f64 v[4:5], v[2:3], v[2:3]
	v_mul_u32_u24_e32 v9, 0x60, v17
	v_fmac_f64_e32 v[4:5], v[0:1], v[0:1]
	ds_read_b128 v[10:13], v9 offset:992
	ds_read_b128 v[20:23], v9 offset:1472
	v_div_scale_f64 v[14:15], s[4:5], v[4:5], v[4:5], 1.0
	v_rcp_f64_e32 v[24:25], v[14:15]
	s_waitcnt lgkmcnt(0)
	v_add_f64 v[20:21], v[10:11], -v[20:21]
	v_add_f64 v[12:13], v[12:13], -v[22:23]
	v_fma_f64 v[10:11], -v[14:15], v[24:25], 1.0
	v_fmac_f64_e32 v[24:25], v[24:25], v[10:11]
	v_fma_f64 v[10:11], -v[14:15], v[24:25], 1.0
	v_fmac_f64_e32 v[24:25], v[24:25], v[10:11]
	v_div_scale_f64 v[10:11], vcc, 1.0, v[4:5], 1.0
	v_mul_f64 v[22:23], v[10:11], v[24:25]
	v_fma_f64 v[10:11], -v[14:15], v[22:23], v[10:11]
	s_nop 1
	v_div_fmas_f64 v[10:11], v[10:11], v[24:25], v[22:23]
	v_div_fixup_f64 v[4:5], v[10:11], v[4:5], 1.0
	v_mul_f64 v[10:11], v[2:3], v[12:13]
	v_mul_f64 v[2:3], v[2:3], -v[20:21]
	v_fmac_f64_e32 v[10:11], v[20:21], v[0:1]
	v_fmac_f64_e32 v[2:3], v[12:13], v[0:1]
	v_mul_f64 v[10:11], v[4:5], v[10:11]
	v_mul_f64 v[12:13], v[4:5], v[2:3]
	v_mul_u32_u24_e32 v0, 0x60, v16
	ds_write_b128 v9, v[10:13] offset:992
	s_waitcnt lgkmcnt(0)
	ds_read_b128 v[0:3], v0 offset:992
	ds_read_b128 v[20:23], v19
	s_waitcnt lgkmcnt(0)
	v_fmac_f64_e32 v[20:21], v[10:11], v[0:1]
	v_fmac_f64_e32 v[22:23], v[12:13], v[0:1]
	;; [unrolled: 1-line block ×3, first 2 shown]
	v_fma_f64 v[22:23], v[10:11], -v[2:3], v[22:23]
	ds_write_b128 v19, v[20:23]
.LBB63_105:
	s_or_b64 exec, exec, s[2:3]
	v_cmp_eq_u32_e32 vcc, 3, v17
	s_waitcnt lgkmcnt(0)
	s_and_saveexec_b64 s[2:3], vcc
	s_cbranch_execz .LBB63_113
; %bb.106:
	v_mov_b32_e32 v4, 0
	ds_read_b128 v[0:3], v4 offset:1776
	ds_read_b128 v[10:13], v4 offset:1296
	s_waitcnt lgkmcnt(0)
	v_add_f64 v[0:1], v[10:11], -v[0:1]
	v_add_f64 v[4:5], v[12:13], -v[2:3]
	v_xor_b32_e32 v2, 0x80000000, v1
	v_cmp_gt_f64_e32 vcc, 0, v[0:1]
	v_cndmask_b32_e32 v1, v1, v2, vcc
	v_cndmask_b32_e32 v0, v0, v0, vcc
	v_xor_b32_e32 v2, 0x80000000, v5
	v_cmp_gt_f64_e32 vcc, 0, v[4:5]
	v_cndmask_b32_e32 v3, v5, v2, vcc
	v_cndmask_b32_e32 v2, v4, v4, vcc
	v_cmp_gt_f64_e32 vcc, v[0:1], v[2:3]
	s_cbranch_vccnz .LBB63_109
; %bb.107:
	v_cmp_eq_f64_e32 vcc, 0, v[4:5]
	s_mov_b64 s[4:5], 0
	v_pk_mov_b32 v[4:5], 0, 0
	s_cbranch_vccnz .LBB63_110
; %bb.108:
	v_div_scale_f64 v[4:5], s[16:17], v[2:3], v[2:3], v[0:1]
	v_rcp_f64_e32 v[10:11], v[4:5]
	v_div_scale_f64 v[12:13], vcc, v[0:1], v[2:3], v[0:1]
	s_mov_b32 s16, 0
	v_fma_f64 v[14:15], -v[4:5], v[10:11], 1.0
	v_fmac_f64_e32 v[10:11], v[10:11], v[14:15]
	v_fma_f64 v[14:15], -v[4:5], v[10:11], 1.0
	v_fmac_f64_e32 v[10:11], v[10:11], v[14:15]
	v_mul_f64 v[14:15], v[12:13], v[10:11]
	v_fma_f64 v[4:5], -v[4:5], v[14:15], v[12:13]
	v_div_fmas_f64 v[4:5], v[4:5], v[10:11], v[14:15]
	v_div_fixup_f64 v[4:5], v[4:5], v[2:3], v[0:1]
	v_fma_f64 v[4:5], v[4:5], v[4:5], 1.0
	s_brev_b32 s17, 8
	v_cmp_gt_f64_e32 vcc, s[16:17], v[4:5]
	v_cndmask_b32_e64 v9, 0, 1, vcc
	v_lshlrev_b32_e32 v9, 8, v9
	v_ldexp_f64 v[4:5], v[4:5], v9
	v_rsq_f64_e32 v[10:11], v[4:5]
	s_and_b64 s[16:17], vcc, exec
	s_cselect_b32 s16, 0xffffff80, 0
	v_mov_b32_e32 v9, 0x260
	v_mul_f64 v[12:13], v[4:5], v[10:11]
	v_mul_f64 v[10:11], v[10:11], 0.5
	v_fma_f64 v[14:15], -v[10:11], v[12:13], 0.5
	v_fmac_f64_e32 v[12:13], v[12:13], v[14:15]
	v_fma_f64 v[20:21], -v[12:13], v[12:13], v[4:5]
	v_fmac_f64_e32 v[10:11], v[10:11], v[14:15]
	v_fmac_f64_e32 v[12:13], v[20:21], v[10:11]
	v_fma_f64 v[14:15], -v[12:13], v[12:13], v[4:5]
	v_fmac_f64_e32 v[12:13], v[14:15], v[10:11]
	v_ldexp_f64 v[10:11], v[12:13], s16
	v_cmp_class_f64_e32 vcc, v[4:5], v9
	v_cndmask_b32_e32 v5, v11, v5, vcc
	v_cndmask_b32_e32 v4, v10, v4, vcc
	v_mul_f64 v[4:5], v[2:3], v[4:5]
	s_branch .LBB63_110
.LBB63_109:
	s_mov_b64 s[4:5], -1
                                        ; implicit-def: $vgpr4_vgpr5
.LBB63_110:
	s_andn2_b64 vcc, exec, s[4:5]
	s_cbranch_vccnz .LBB63_112
; %bb.111:
	v_div_scale_f64 v[4:5], s[4:5], v[0:1], v[0:1], v[2:3]
	v_rcp_f64_e32 v[10:11], v[4:5]
	v_div_scale_f64 v[12:13], vcc, v[2:3], v[0:1], v[2:3]
	s_mov_b32 s4, 0
	v_fma_f64 v[14:15], -v[4:5], v[10:11], 1.0
	v_fmac_f64_e32 v[10:11], v[10:11], v[14:15]
	v_fma_f64 v[14:15], -v[4:5], v[10:11], 1.0
	v_fmac_f64_e32 v[10:11], v[10:11], v[14:15]
	v_mul_f64 v[14:15], v[12:13], v[10:11]
	v_fma_f64 v[4:5], -v[4:5], v[14:15], v[12:13]
	v_div_fmas_f64 v[4:5], v[4:5], v[10:11], v[14:15]
	v_div_fixup_f64 v[2:3], v[4:5], v[0:1], v[2:3]
	v_fma_f64 v[2:3], v[2:3], v[2:3], 1.0
	s_brev_b32 s5, 8
	v_cmp_gt_f64_e32 vcc, s[4:5], v[2:3]
	v_cndmask_b32_e64 v4, 0, 1, vcc
	v_lshlrev_b32_e32 v4, 8, v4
	v_ldexp_f64 v[2:3], v[2:3], v4
	v_rsq_f64_e32 v[4:5], v[2:3]
	s_and_b64 s[4:5], vcc, exec
	s_cselect_b32 s4, 0xffffff80, 0
	v_mov_b32_e32 v9, 0x260
	v_mul_f64 v[10:11], v[2:3], v[4:5]
	v_mul_f64 v[4:5], v[4:5], 0.5
	v_fma_f64 v[12:13], -v[4:5], v[10:11], 0.5
	v_fmac_f64_e32 v[10:11], v[10:11], v[12:13]
	v_fma_f64 v[14:15], -v[10:11], v[10:11], v[2:3]
	v_fmac_f64_e32 v[4:5], v[4:5], v[12:13]
	v_fmac_f64_e32 v[10:11], v[14:15], v[4:5]
	v_fma_f64 v[12:13], -v[10:11], v[10:11], v[2:3]
	v_fmac_f64_e32 v[10:11], v[12:13], v[4:5]
	v_ldexp_f64 v[4:5], v[10:11], s4
	v_cmp_class_f64_e32 vcc, v[2:3], v9
	v_cndmask_b32_e32 v3, v5, v3, vcc
	v_cndmask_b32_e32 v2, v4, v2, vcc
	v_mul_f64 v[4:5], v[0:1], v[2:3]
.LBB63_112:
	s_mov_b32 s4, 0
	s_brev_b32 s5, 8
	v_cmp_gt_f64_e32 vcc, s[4:5], v[4:5]
	v_cndmask_b32_e64 v0, 0, 1, vcc
	v_lshlrev_b32_e32 v0, 8, v0
	v_ldexp_f64 v[0:1], v[4:5], v0
	v_rsq_f64_e32 v[2:3], v[0:1]
	s_and_b64 s[4:5], vcc, exec
	s_cselect_b32 s4, 0xffffff80, 0
	v_mul_f64 v[4:5], v[0:1], v[2:3]
	v_mul_f64 v[2:3], v[2:3], 0.5
	v_fma_f64 v[10:11], -v[2:3], v[4:5], 0.5
	v_fmac_f64_e32 v[4:5], v[4:5], v[10:11]
	v_fma_f64 v[12:13], -v[4:5], v[4:5], v[0:1]
	v_fmac_f64_e32 v[2:3], v[2:3], v[10:11]
	v_fmac_f64_e32 v[4:5], v[12:13], v[2:3]
	v_fma_f64 v[10:11], -v[4:5], v[4:5], v[0:1]
	v_fmac_f64_e32 v[4:5], v[10:11], v[2:3]
	v_ldexp_f64 v[2:3], v[4:5], s4
	v_mov_b32_e32 v4, 0x260
	v_cmp_class_f64_e32 vcc, v[0:1], v4
	v_cndmask_b32_e32 v0, v2, v0, vcc
	v_mov_b32_e32 v2, 0
	v_cndmask_b32_e32 v1, v3, v1, vcc
	v_mov_b32_e32 v3, v2
	ds_write_b128 v2, v[0:3] offset:1296
.LBB63_113:
	s_or_b64 exec, exec, s[2:3]
	v_mov_b32_e32 v0, 0
	s_waitcnt lgkmcnt(0)
	ds_read_b128 v[0:3], v0 offset:1296
	v_mov_b32_e32 v4, 0x3ff00000
	s_waitcnt lgkmcnt(0)
	v_cmp_neq_f64_e32 vcc, 0, v[0:1]
	v_cmp_neq_f64_e64 s[2:3], 0, v[2:3]
	s_or_b64 vcc, vcc, s[2:3]
	s_or_b64 s[2:3], vcc, s[0:1]
	v_cndmask_b32_e32 v1, v4, v1, vcc
	s_xor_b64 s[4:5], s[2:3], -1
	v_cndmask_b32_e32 v0, 0, v0, vcc
	v_cndmask_b32_e32 v3, 0, v3, vcc
	;; [unrolled: 1-line block ×3, first 2 shown]
	s_and_saveexec_b64 s[2:3], s[4:5]
	s_cbranch_execz .LBB63_117
; %bb.114:
	v_mbcnt_lo_u32_b32 v0, exec_lo, 0
	v_mbcnt_hi_u32_b32 v0, exec_hi, v0
	v_cmp_eq_u32_e32 vcc, 0, v0
	s_and_saveexec_b64 s[4:5], vcc
	s_cbranch_execz .LBB63_116
; %bb.115:
	v_mov_b32_e32 v0, 0
	v_mov_b32_e32 v1, s18
	global_atomic_smin v0, v1, s[14:15]
.LBB63_116:
	s_or_b64 exec, exec, s[4:5]
	v_mov_b32_e32 v0, 0
	v_mov_b32_e32 v1, 0x3ff00000
	v_pk_mov_b32 v[2:3], 0, 0
.LBB63_117:
	s_or_b64 exec, exec, s[2:3]
	v_cmp_lt_u32_e32 vcc, 3, v17
	s_and_saveexec_b64 s[2:3], vcc
	s_cbranch_execz .LBB63_119
; %bb.118:
	v_mul_f64 v[4:5], v[2:3], v[2:3]
	v_mul_u32_u24_e32 v9, 0x60, v17
	v_fmac_f64_e32 v[4:5], v[0:1], v[0:1]
	ds_read_b128 v[10:13], v9 offset:1008
	ds_read_b128 v[20:23], v9 offset:1488
	v_div_scale_f64 v[14:15], s[4:5], v[4:5], v[4:5], 1.0
	v_rcp_f64_e32 v[24:25], v[14:15]
	s_waitcnt lgkmcnt(0)
	v_add_f64 v[20:21], v[10:11], -v[20:21]
	v_add_f64 v[12:13], v[12:13], -v[22:23]
	v_fma_f64 v[10:11], -v[14:15], v[24:25], 1.0
	v_fmac_f64_e32 v[24:25], v[24:25], v[10:11]
	v_fma_f64 v[10:11], -v[14:15], v[24:25], 1.0
	v_fmac_f64_e32 v[24:25], v[24:25], v[10:11]
	v_div_scale_f64 v[10:11], vcc, 1.0, v[4:5], 1.0
	v_mul_f64 v[22:23], v[10:11], v[24:25]
	v_fma_f64 v[10:11], -v[14:15], v[22:23], v[10:11]
	s_nop 1
	v_div_fmas_f64 v[10:11], v[10:11], v[24:25], v[22:23]
	v_div_fixup_f64 v[4:5], v[10:11], v[4:5], 1.0
	v_mul_f64 v[10:11], v[2:3], v[12:13]
	v_mul_f64 v[2:3], v[2:3], -v[20:21]
	v_fmac_f64_e32 v[10:11], v[20:21], v[0:1]
	v_fmac_f64_e32 v[2:3], v[12:13], v[0:1]
	v_mul_f64 v[10:11], v[4:5], v[10:11]
	v_mul_f64 v[12:13], v[4:5], v[2:3]
	v_mul_u32_u24_e32 v0, 0x60, v16
	ds_write_b128 v9, v[10:13] offset:1008
	s_waitcnt lgkmcnt(0)
	ds_read_b128 v[0:3], v0 offset:1008
	ds_read_b128 v[20:23], v19
	s_waitcnt lgkmcnt(0)
	v_fmac_f64_e32 v[20:21], v[10:11], v[0:1]
	v_fmac_f64_e32 v[22:23], v[12:13], v[0:1]
	;; [unrolled: 1-line block ×3, first 2 shown]
	v_fma_f64 v[22:23], v[10:11], -v[2:3], v[22:23]
	ds_write_b128 v19, v[20:23]
.LBB63_119:
	s_or_b64 exec, exec, s[2:3]
	v_cmp_eq_u32_e32 vcc, 4, v17
	s_waitcnt lgkmcnt(0)
	s_and_saveexec_b64 s[2:3], vcc
	s_cbranch_execz .LBB63_127
; %bb.120:
	v_mov_b32_e32 v4, 0
	ds_read_b128 v[0:3], v4 offset:1888
	ds_read_b128 v[10:13], v4 offset:1408
	s_waitcnt lgkmcnt(0)
	v_add_f64 v[0:1], v[10:11], -v[0:1]
	v_add_f64 v[4:5], v[12:13], -v[2:3]
	v_xor_b32_e32 v2, 0x80000000, v1
	v_cmp_gt_f64_e32 vcc, 0, v[0:1]
	v_cndmask_b32_e32 v1, v1, v2, vcc
	v_cndmask_b32_e32 v0, v0, v0, vcc
	v_xor_b32_e32 v2, 0x80000000, v5
	v_cmp_gt_f64_e32 vcc, 0, v[4:5]
	v_cndmask_b32_e32 v3, v5, v2, vcc
	v_cndmask_b32_e32 v2, v4, v4, vcc
	v_cmp_gt_f64_e32 vcc, v[0:1], v[2:3]
	s_cbranch_vccnz .LBB63_123
; %bb.121:
	v_cmp_eq_f64_e32 vcc, 0, v[4:5]
	s_mov_b64 s[4:5], 0
	v_pk_mov_b32 v[4:5], 0, 0
	s_cbranch_vccnz .LBB63_124
; %bb.122:
	v_div_scale_f64 v[4:5], s[16:17], v[2:3], v[2:3], v[0:1]
	v_rcp_f64_e32 v[10:11], v[4:5]
	v_div_scale_f64 v[12:13], vcc, v[0:1], v[2:3], v[0:1]
	s_mov_b32 s16, 0
	v_fma_f64 v[14:15], -v[4:5], v[10:11], 1.0
	v_fmac_f64_e32 v[10:11], v[10:11], v[14:15]
	v_fma_f64 v[14:15], -v[4:5], v[10:11], 1.0
	v_fmac_f64_e32 v[10:11], v[10:11], v[14:15]
	v_mul_f64 v[14:15], v[12:13], v[10:11]
	v_fma_f64 v[4:5], -v[4:5], v[14:15], v[12:13]
	v_div_fmas_f64 v[4:5], v[4:5], v[10:11], v[14:15]
	v_div_fixup_f64 v[4:5], v[4:5], v[2:3], v[0:1]
	v_fma_f64 v[4:5], v[4:5], v[4:5], 1.0
	s_brev_b32 s17, 8
	v_cmp_gt_f64_e32 vcc, s[16:17], v[4:5]
	v_cndmask_b32_e64 v9, 0, 1, vcc
	v_lshlrev_b32_e32 v9, 8, v9
	v_ldexp_f64 v[4:5], v[4:5], v9
	v_rsq_f64_e32 v[10:11], v[4:5]
	s_and_b64 s[16:17], vcc, exec
	s_cselect_b32 s16, 0xffffff80, 0
	v_mov_b32_e32 v9, 0x260
	v_mul_f64 v[12:13], v[4:5], v[10:11]
	v_mul_f64 v[10:11], v[10:11], 0.5
	v_fma_f64 v[14:15], -v[10:11], v[12:13], 0.5
	v_fmac_f64_e32 v[12:13], v[12:13], v[14:15]
	v_fma_f64 v[20:21], -v[12:13], v[12:13], v[4:5]
	v_fmac_f64_e32 v[10:11], v[10:11], v[14:15]
	v_fmac_f64_e32 v[12:13], v[20:21], v[10:11]
	v_fma_f64 v[14:15], -v[12:13], v[12:13], v[4:5]
	v_fmac_f64_e32 v[12:13], v[14:15], v[10:11]
	v_ldexp_f64 v[10:11], v[12:13], s16
	v_cmp_class_f64_e32 vcc, v[4:5], v9
	v_cndmask_b32_e32 v5, v11, v5, vcc
	v_cndmask_b32_e32 v4, v10, v4, vcc
	v_mul_f64 v[4:5], v[2:3], v[4:5]
	s_branch .LBB63_124
.LBB63_123:
	s_mov_b64 s[4:5], -1
                                        ; implicit-def: $vgpr4_vgpr5
.LBB63_124:
	s_andn2_b64 vcc, exec, s[4:5]
	s_cbranch_vccnz .LBB63_126
; %bb.125:
	v_div_scale_f64 v[4:5], s[4:5], v[0:1], v[0:1], v[2:3]
	v_rcp_f64_e32 v[10:11], v[4:5]
	v_div_scale_f64 v[12:13], vcc, v[2:3], v[0:1], v[2:3]
	s_mov_b32 s4, 0
	v_fma_f64 v[14:15], -v[4:5], v[10:11], 1.0
	v_fmac_f64_e32 v[10:11], v[10:11], v[14:15]
	v_fma_f64 v[14:15], -v[4:5], v[10:11], 1.0
	v_fmac_f64_e32 v[10:11], v[10:11], v[14:15]
	v_mul_f64 v[14:15], v[12:13], v[10:11]
	v_fma_f64 v[4:5], -v[4:5], v[14:15], v[12:13]
	v_div_fmas_f64 v[4:5], v[4:5], v[10:11], v[14:15]
	v_div_fixup_f64 v[2:3], v[4:5], v[0:1], v[2:3]
	v_fma_f64 v[2:3], v[2:3], v[2:3], 1.0
	s_brev_b32 s5, 8
	v_cmp_gt_f64_e32 vcc, s[4:5], v[2:3]
	v_cndmask_b32_e64 v4, 0, 1, vcc
	v_lshlrev_b32_e32 v4, 8, v4
	v_ldexp_f64 v[2:3], v[2:3], v4
	v_rsq_f64_e32 v[4:5], v[2:3]
	s_and_b64 s[4:5], vcc, exec
	s_cselect_b32 s4, 0xffffff80, 0
	v_mov_b32_e32 v9, 0x260
	v_mul_f64 v[10:11], v[2:3], v[4:5]
	v_mul_f64 v[4:5], v[4:5], 0.5
	v_fma_f64 v[12:13], -v[4:5], v[10:11], 0.5
	v_fmac_f64_e32 v[10:11], v[10:11], v[12:13]
	v_fma_f64 v[14:15], -v[10:11], v[10:11], v[2:3]
	v_fmac_f64_e32 v[4:5], v[4:5], v[12:13]
	v_fmac_f64_e32 v[10:11], v[14:15], v[4:5]
	v_fma_f64 v[12:13], -v[10:11], v[10:11], v[2:3]
	v_fmac_f64_e32 v[10:11], v[12:13], v[4:5]
	v_ldexp_f64 v[4:5], v[10:11], s4
	v_cmp_class_f64_e32 vcc, v[2:3], v9
	v_cndmask_b32_e32 v3, v5, v3, vcc
	v_cndmask_b32_e32 v2, v4, v2, vcc
	v_mul_f64 v[4:5], v[0:1], v[2:3]
.LBB63_126:
	s_mov_b32 s4, 0
	s_brev_b32 s5, 8
	v_cmp_gt_f64_e32 vcc, s[4:5], v[4:5]
	v_cndmask_b32_e64 v0, 0, 1, vcc
	v_lshlrev_b32_e32 v0, 8, v0
	v_ldexp_f64 v[0:1], v[4:5], v0
	v_rsq_f64_e32 v[2:3], v[0:1]
	s_and_b64 s[4:5], vcc, exec
	s_cselect_b32 s4, 0xffffff80, 0
	v_mul_f64 v[4:5], v[0:1], v[2:3]
	v_mul_f64 v[2:3], v[2:3], 0.5
	v_fma_f64 v[10:11], -v[2:3], v[4:5], 0.5
	v_fmac_f64_e32 v[4:5], v[4:5], v[10:11]
	v_fma_f64 v[12:13], -v[4:5], v[4:5], v[0:1]
	v_fmac_f64_e32 v[2:3], v[2:3], v[10:11]
	v_fmac_f64_e32 v[4:5], v[12:13], v[2:3]
	v_fma_f64 v[10:11], -v[4:5], v[4:5], v[0:1]
	v_fmac_f64_e32 v[4:5], v[10:11], v[2:3]
	v_ldexp_f64 v[2:3], v[4:5], s4
	v_mov_b32_e32 v4, 0x260
	v_cmp_class_f64_e32 vcc, v[0:1], v4
	v_cndmask_b32_e32 v0, v2, v0, vcc
	v_mov_b32_e32 v2, 0
	v_cndmask_b32_e32 v1, v3, v1, vcc
	v_mov_b32_e32 v3, v2
	ds_write_b128 v2, v[0:3] offset:1408
.LBB63_127:
	s_or_b64 exec, exec, s[2:3]
	v_mov_b32_e32 v0, 0
	s_waitcnt lgkmcnt(0)
	ds_read_b128 v[0:3], v0 offset:1408
	v_mov_b32_e32 v4, 0x3ff00000
	s_waitcnt lgkmcnt(0)
	v_cmp_neq_f64_e32 vcc, 0, v[0:1]
	v_cmp_neq_f64_e64 s[2:3], 0, v[2:3]
	s_or_b64 vcc, vcc, s[2:3]
	s_or_b64 s[0:1], vcc, s[0:1]
	v_cndmask_b32_e32 v1, v4, v1, vcc
	s_xor_b64 s[2:3], s[0:1], -1
	v_cndmask_b32_e32 v0, 0, v0, vcc
	v_cndmask_b32_e32 v3, 0, v3, vcc
	;; [unrolled: 1-line block ×3, first 2 shown]
	s_and_saveexec_b64 s[0:1], s[2:3]
	s_cbranch_execnz .LBB63_140
; %bb.128:
	s_or_b64 exec, exec, s[0:1]
	v_cmp_lt_u32_e32 vcc, 4, v17
	s_and_saveexec_b64 s[0:1], vcc
	s_cbranch_execnz .LBB63_143
.LBB63_129:
	s_or_b64 exec, exec, s[0:1]
	s_andn2_b64 vcc, exec, s[8:9]
	s_cbranch_vccnz .LBB63_131
.LBB63_130:
	v_mov_b32_e32 v18, v7
.LBB63_131:
	v_add_u32_e32 v0, s30, v18
	v_ashrrev_i32_e32 v1, 31, v0
	v_lshlrev_b64 v[4:5], 4, v[0:1]
	ds_read2_b64 v[0:3], v6 offset1:1
	v_mov_b32_e32 v7, s21
	v_add_co_u32_e32 v4, vcc, s20, v4
	v_addc_co_u32_e32 v5, vcc, v7, v5, vcc
	s_waitcnt lgkmcnt(0)
	global_store_dwordx4 v[4:5], v[0:3], off
	v_cmp_eq_u32_e64 s[0:1], 0, v8
	s_branch .LBB63_137
.LBB63_132:
	v_or_b32_e32 v0, v16, v17
	v_cmp_eq_u32_e32 vcc, 0, v0
	s_and_saveexec_b64 s[2:3], vcc
	s_cbranch_execz .LBB63_136
; %bb.133:
	v_mbcnt_lo_u32_b32 v0, exec_lo, 0
	v_mbcnt_hi_u32_b32 v0, exec_hi, v0
	v_cmp_eq_u32_e32 vcc, 0, v0
	s_and_saveexec_b64 s[4:5], vcc
	s_cbranch_execz .LBB63_135
; %bb.134:
	s_add_i32 s8, s12, s13
	v_mov_b32_e32 v0, 0
	v_mov_b32_e32 v1, s8
	global_atomic_smin v0, v1, s[14:15]
.LBB63_135:
	s_or_b64 exec, exec, s[4:5]
	s_or_b64 s[0:1], s[0:1], exec
.LBB63_136:
	s_or_b64 exec, exec, s[2:3]
.LBB63_137:
	s_and_saveexec_b64 s[2:3], s[0:1]
	s_cbranch_execnz .LBB63_139
; %bb.138:
	s_endpgm
.LBB63_139:
	s_add_u32 s0, s10, s6
	s_addc_u32 s1, s11, s7
	v_mov_b32_e32 v0, 0
	v_mov_b32_e32 v1, 1
	s_waitcnt vmcnt(0)
	global_store_dword v0, v1, s[0:1]
	s_endpgm
.LBB63_140:
	v_mbcnt_lo_u32_b32 v0, exec_lo, 0
	v_mbcnt_hi_u32_b32 v0, exec_hi, v0
	v_cmp_eq_u32_e32 vcc, 0, v0
	s_and_saveexec_b64 s[2:3], vcc
	s_cbranch_execz .LBB63_142
; %bb.141:
	v_mov_b32_e32 v0, 0
	v_mov_b32_e32 v1, s18
	global_atomic_smin v0, v1, s[14:15]
.LBB63_142:
	s_or_b64 exec, exec, s[2:3]
	v_mov_b32_e32 v0, 0
	v_mov_b32_e32 v1, 0x3ff00000
	v_pk_mov_b32 v[2:3], 0, 0
	s_or_b64 exec, exec, s[0:1]
	v_cmp_lt_u32_e32 vcc, 4, v17
	s_and_saveexec_b64 s[0:1], vcc
	s_cbranch_execz .LBB63_129
.LBB63_143:
	v_mul_f64 v[4:5], v[2:3], v[2:3]
	v_mul_u32_u24_e32 v9, 0x60, v17
	v_fmac_f64_e32 v[4:5], v[0:1], v[0:1]
	ds_read_b128 v[10:13], v9 offset:1024
	ds_read_b128 v[20:23], v9 offset:1504
	v_div_scale_f64 v[14:15], s[2:3], v[4:5], v[4:5], 1.0
	v_rcp_f64_e32 v[24:25], v[14:15]
	s_waitcnt lgkmcnt(0)
	v_add_f64 v[20:21], v[10:11], -v[20:21]
	v_add_f64 v[12:13], v[12:13], -v[22:23]
	v_fma_f64 v[10:11], -v[14:15], v[24:25], 1.0
	v_fmac_f64_e32 v[24:25], v[24:25], v[10:11]
	v_fma_f64 v[10:11], -v[14:15], v[24:25], 1.0
	v_fmac_f64_e32 v[24:25], v[24:25], v[10:11]
	v_div_scale_f64 v[10:11], vcc, 1.0, v[4:5], 1.0
	v_mul_f64 v[22:23], v[10:11], v[24:25]
	v_fma_f64 v[10:11], -v[14:15], v[22:23], v[10:11]
	s_nop 1
	v_div_fmas_f64 v[10:11], v[10:11], v[24:25], v[22:23]
	v_div_fixup_f64 v[4:5], v[10:11], v[4:5], 1.0
	v_mul_f64 v[10:11], v[2:3], v[12:13]
	v_mul_f64 v[2:3], v[2:3], -v[20:21]
	v_fmac_f64_e32 v[10:11], v[20:21], v[0:1]
	v_fmac_f64_e32 v[2:3], v[12:13], v[0:1]
	v_mul_f64 v[10:11], v[4:5], v[10:11]
	v_mul_f64 v[12:13], v[4:5], v[2:3]
	v_mul_u32_u24_e32 v0, 0x60, v16
	ds_write_b128 v9, v[10:13] offset:1024
	s_waitcnt lgkmcnt(0)
	ds_read_b128 v[0:3], v0 offset:1024
	ds_read_b128 v[20:23], v19
	s_waitcnt lgkmcnt(0)
	v_fmac_f64_e32 v[20:21], v[10:11], v[0:1]
	v_fmac_f64_e32 v[22:23], v[12:13], v[0:1]
	;; [unrolled: 1-line block ×3, first 2 shown]
	v_fma_f64 v[22:23], v[10:11], -v[2:3], v[22:23]
	ds_write_b128 v19, v[20:23]
	s_or_b64 exec, exec, s[0:1]
	s_andn2_b64 vcc, exec, s[8:9]
	s_waitcnt lgkmcnt(0)
	s_cbranch_vccz .LBB63_130
	s_branch .LBB63_131
	.section	.rodata,"a",@progbits
	.p2align	6, 0x0
	.amdhsa_kernel _ZN9rocsparseL26bsric0_2_8_unrolled_kernelILi25ELi32ELi5E21rocsparse_complex_numIdEEEv20rocsparse_direction_iiPKiS5_PT2_S5_PiS5_S8_21rocsparse_index_base_
		.amdhsa_group_segment_fixed_size 2304
		.amdhsa_private_segment_fixed_size 0
		.amdhsa_kernarg_size 76
		.amdhsa_user_sgpr_count 6
		.amdhsa_user_sgpr_private_segment_buffer 1
		.amdhsa_user_sgpr_dispatch_ptr 0
		.amdhsa_user_sgpr_queue_ptr 0
		.amdhsa_user_sgpr_kernarg_segment_ptr 1
		.amdhsa_user_sgpr_dispatch_id 0
		.amdhsa_user_sgpr_flat_scratch_init 0
		.amdhsa_user_sgpr_kernarg_preload_length 0
		.amdhsa_user_sgpr_kernarg_preload_offset 0
		.amdhsa_user_sgpr_private_segment_size 0
		.amdhsa_uses_dynamic_stack 0
		.amdhsa_system_sgpr_private_segment_wavefront_offset 0
		.amdhsa_system_sgpr_workgroup_id_x 1
		.amdhsa_system_sgpr_workgroup_id_y 0
		.amdhsa_system_sgpr_workgroup_id_z 0
		.amdhsa_system_sgpr_workgroup_info 0
		.amdhsa_system_vgpr_workitem_id 1
		.amdhsa_next_free_vgpr 74
		.amdhsa_next_free_sgpr 40
		.amdhsa_accum_offset 76
		.amdhsa_reserve_vcc 1
		.amdhsa_reserve_flat_scratch 0
		.amdhsa_float_round_mode_32 0
		.amdhsa_float_round_mode_16_64 0
		.amdhsa_float_denorm_mode_32 3
		.amdhsa_float_denorm_mode_16_64 3
		.amdhsa_dx10_clamp 1
		.amdhsa_ieee_mode 1
		.amdhsa_fp16_overflow 0
		.amdhsa_tg_split 0
		.amdhsa_exception_fp_ieee_invalid_op 0
		.amdhsa_exception_fp_denorm_src 0
		.amdhsa_exception_fp_ieee_div_zero 0
		.amdhsa_exception_fp_ieee_overflow 0
		.amdhsa_exception_fp_ieee_underflow 0
		.amdhsa_exception_fp_ieee_inexact 0
		.amdhsa_exception_int_div_zero 0
	.end_amdhsa_kernel
	.section	.text._ZN9rocsparseL26bsric0_2_8_unrolled_kernelILi25ELi32ELi5E21rocsparse_complex_numIdEEEv20rocsparse_direction_iiPKiS5_PT2_S5_PiS5_S8_21rocsparse_index_base_,"axG",@progbits,_ZN9rocsparseL26bsric0_2_8_unrolled_kernelILi25ELi32ELi5E21rocsparse_complex_numIdEEEv20rocsparse_direction_iiPKiS5_PT2_S5_PiS5_S8_21rocsparse_index_base_,comdat
.Lfunc_end63:
	.size	_ZN9rocsparseL26bsric0_2_8_unrolled_kernelILi25ELi32ELi5E21rocsparse_complex_numIdEEEv20rocsparse_direction_iiPKiS5_PT2_S5_PiS5_S8_21rocsparse_index_base_, .Lfunc_end63-_ZN9rocsparseL26bsric0_2_8_unrolled_kernelILi25ELi32ELi5E21rocsparse_complex_numIdEEEv20rocsparse_direction_iiPKiS5_PT2_S5_PiS5_S8_21rocsparse_index_base_
                                        ; -- End function
	.section	.AMDGPU.csdata,"",@progbits
; Kernel info:
; codeLenInByte = 11532
; NumSgprs: 44
; NumVgprs: 74
; NumAgprs: 0
; TotalNumVgprs: 74
; ScratchSize: 0
; MemoryBound: 1
; FloatMode: 240
; IeeeMode: 1
; LDSByteSize: 2304 bytes/workgroup (compile time only)
; SGPRBlocks: 5
; VGPRBlocks: 9
; NumSGPRsForWavesPerEU: 44
; NumVGPRsForWavesPerEU: 74
; AccumOffset: 76
; Occupancy: 6
; WaveLimiterHint : 1
; COMPUTE_PGM_RSRC2:SCRATCH_EN: 0
; COMPUTE_PGM_RSRC2:USER_SGPR: 6
; COMPUTE_PGM_RSRC2:TRAP_HANDLER: 0
; COMPUTE_PGM_RSRC2:TGID_X_EN: 1
; COMPUTE_PGM_RSRC2:TGID_Y_EN: 0
; COMPUTE_PGM_RSRC2:TGID_Z_EN: 0
; COMPUTE_PGM_RSRC2:TIDIG_COMP_CNT: 1
; COMPUTE_PGM_RSRC3_GFX90A:ACCUM_OFFSET: 18
; COMPUTE_PGM_RSRC3_GFX90A:TG_SPLIT: 0
	.section	.text._ZN9rocsparseL26bsric0_2_8_unrolled_kernelILi36ELi32ELi6E21rocsparse_complex_numIdEEEv20rocsparse_direction_iiPKiS5_PT2_S5_PiS5_S8_21rocsparse_index_base_,"axG",@progbits,_ZN9rocsparseL26bsric0_2_8_unrolled_kernelILi36ELi32ELi6E21rocsparse_complex_numIdEEEv20rocsparse_direction_iiPKiS5_PT2_S5_PiS5_S8_21rocsparse_index_base_,comdat
	.globl	_ZN9rocsparseL26bsric0_2_8_unrolled_kernelILi36ELi32ELi6E21rocsparse_complex_numIdEEEv20rocsparse_direction_iiPKiS5_PT2_S5_PiS5_S8_21rocsparse_index_base_ ; -- Begin function _ZN9rocsparseL26bsric0_2_8_unrolled_kernelILi36ELi32ELi6E21rocsparse_complex_numIdEEEv20rocsparse_direction_iiPKiS5_PT2_S5_PiS5_S8_21rocsparse_index_base_
	.p2align	8
	.type	_ZN9rocsparseL26bsric0_2_8_unrolled_kernelILi36ELi32ELi6E21rocsparse_complex_numIdEEEv20rocsparse_direction_iiPKiS5_PT2_S5_PiS5_S8_21rocsparse_index_base_,@function
_ZN9rocsparseL26bsric0_2_8_unrolled_kernelILi36ELi32ELi6E21rocsparse_complex_numIdEEEv20rocsparse_direction_iiPKiS5_PT2_S5_PiS5_S8_21rocsparse_index_base_: ; @_ZN9rocsparseL26bsric0_2_8_unrolled_kernelILi36ELi32ELi6E21rocsparse_complex_numIdEEEv20rocsparse_direction_iiPKiS5_PT2_S5_PiS5_S8_21rocsparse_index_base_
; %bb.0:
	s_load_dwordx8 s[8:15], s[4:5], 0x28
	s_mov_b32 s7, 0
	s_lshl_b64 s[0:1], s[6:7], 2
	v_and_b32_e32 v16, 0x3ff, v0
	v_bfe_u32 v17, v0, 10, 10
	s_waitcnt lgkmcnt(0)
	s_add_u32 s0, s12, s0
	s_addc_u32 s1, s13, s1
	s_load_dword s12, s[0:1], 0x0
	s_waitcnt lgkmcnt(0)
	s_ashr_i32 s13, s12, 31
	s_lshl_b64 s[6:7], s[12:13], 2
	s_add_u32 s0, s8, s6
	s_addc_u32 s1, s9, s7
	s_load_dword s30, s[0:1], 0x0
	s_load_dword s13, s[4:5], 0x48
	s_waitcnt lgkmcnt(0)
	s_cmp_lg_u32 s30, -1
	s_cbranch_scc0 .LBB64_70
; %bb.1:
	s_load_dwordx4 s[16:19], s[4:5], 0x10
	s_load_dwordx2 s[20:21], s[4:5], 0x20
	v_mad_u32_u24 v18, v17, 6, v16
	v_mul_u32_u24_e32 v20, 6, v17
	s_waitcnt lgkmcnt(0)
	s_add_u32 s0, s16, s6
	s_addc_u32 s1, s17, s7
	s_load_dword s26, s[0:1], 0x0
	s_waitcnt lgkmcnt(0)
	s_sub_i32 s31, s26, s13
	v_add_u32_e32 v0, s31, v18
	v_cmp_ge_i32_e32 vcc, s30, v0
	s_and_saveexec_b64 s[0:1], vcc
	s_cbranch_execz .LBB64_14
; %bb.2:
	v_add_u32_e32 v1, s26, v16
	v_add_u32_e32 v2, v1, v20
	v_subrev_u32_e32 v2, s13, v2
	v_add_u32_e32 v2, 36, v2
	s_add_i32 s2, s30, 1
	v_max_i32_e32 v2, s2, v2
	v_add_u32_e32 v2, s13, v2
	v_sub_u32_e32 v1, v2, v1
	v_subrev_u32_e32 v1, 36, v1
	v_cmp_ne_u32_e32 vcc, v1, v20
	v_cndmask_b32_e64 v2, 0, 1, vcc
	v_or_b32_e32 v2, v20, v2
	v_sub_u32_e32 v1, v1, v2
	s_mov_b32 s2, 0x38e38e39
	v_mul_hi_u32 v1, v1, s2
	v_lshrrev_b32_e32 v1, 3, v1
	v_addc_co_u32_e32 v12, vcc, 0, v1, vcc
	v_cmp_ne_u32_e32 vcc, 0, v12
	s_mov_b64 s[22:23], -1
	s_and_saveexec_b64 s[2:3], vcc
	s_cbranch_execz .LBB64_11
; %bb.3:
	v_add_u32_e32 v2, -1, v12
	v_add_u32_e32 v1, 36, v0
	v_lshrrev_b32_e32 v2, 1, v2
	v_add_u32_e32 v13, 1, v2
	v_cmp_lt_u32_e32 vcc, 14, v12
	v_pk_mov_b32 v[2:3], v[0:1], v[0:1] op_sel:[0,1]
	s_and_saveexec_b64 s[22:23], vcc
	s_cbranch_execz .LBB64_7
; %bb.4:
	v_and_b32_e32 v14, -8, v13
	s_mov_b64 s[24:25], 0
	v_mov_b32_e32 v15, s19
	v_pk_mov_b32 v[2:3], v[0:1], v[0:1] op_sel:[0,1]
.LBB64_5:                               ; =>This Inner Loop Header: Depth=1
	v_ashrrev_i32_e32 v25, 31, v2
	v_mov_b32_e32 v24, v2
	v_lshlrev_b64 v[24:25], 2, v[24:25]
	v_ashrrev_i32_e32 v23, 31, v3
	v_mov_b32_e32 v22, v3
	v_add_co_u32_e32 v24, vcc, s18, v24
	v_add_u32_e32 v4, 0x48, v2
	v_lshlrev_b64 v[22:23], 2, v[22:23]
	v_addc_co_u32_e32 v25, vcc, v15, v25, vcc
	v_ashrrev_i32_e32 v5, 31, v4
	v_add_co_u32_e32 v22, vcc, s18, v22
	v_add_u32_e32 v6, 0x48, v3
	v_addc_co_u32_e32 v23, vcc, v15, v23, vcc
	v_lshlrev_b64 v[46:47], 2, v[4:5]
	v_ashrrev_i32_e32 v7, 31, v6
	global_load_dword v1, v[24:25], off
	global_load_dword v5, v[22:23], off
	v_add_co_u32_e32 v22, vcc, s18, v46
	v_add_u32_e32 v8, 0x90, v2
	v_lshlrev_b64 v[48:49], 2, v[6:7]
	v_addc_co_u32_e32 v23, vcc, v15, v47, vcc
	v_ashrrev_i32_e32 v9, 31, v8
	v_add_co_u32_e32 v24, vcc, s18, v48
	v_add_u32_e32 v10, 0x90, v3
	v_lshlrev_b64 v[50:51], 2, v[8:9]
	v_addc_co_u32_e32 v25, vcc, v15, v49, vcc
	v_ashrrev_i32_e32 v11, 31, v10
	;; [unrolled: 5-line block ×12, first 2 shown]
	v_add_co_u32_e32 v66, vcc, s18, v70
	v_lshlrev_b64 v[72:73], 2, v[44:45]
	v_addc_co_u32_e32 v67, vcc, v15, v71, vcc
	v_add_co_u32_e32 v68, vcc, s18, v72
	v_addc_co_u32_e32 v69, vcc, v15, v73, vcc
	global_load_dword v7, v[24:25], off
	global_load_dword v9, v[22:23], off
	;; [unrolled: 1-line block ×14, first 2 shown]
	v_subrev_u32_e32 v23, s31, v2
	v_add_u32_e32 v14, -8, v14
	v_subrev_u32_e32 v22, s31, v3
	v_lshlrev_b32_e32 v23, 2, v23
	v_subrev_u32_e32 v4, s31, v4
	v_cmp_eq_u32_e32 vcc, 0, v14
	s_waitcnt vmcnt(14)
	v_subrev_u32_e32 v5, s13, v5
	v_subrev_u32_e32 v1, s13, v1
	v_add_u32_e32 v3, 0x240, v3
	v_add_u32_e32 v2, 0x240, v2
	v_lshlrev_b32_e32 v22, 2, v22
	v_subrev_u32_e32 v6, s31, v6
	v_subrev_u32_e32 v10, s31, v10
	;; [unrolled: 1-line block ×13, first 2 shown]
	v_lshlrev_b32_e32 v4, 2, v4
	s_or_b64 s[24:25], vcc, s[24:25]
	ds_write_b32 v23, v1 offset:2944
	ds_write_b32 v22, v5 offset:2944
	v_lshlrev_b32_e32 v6, 2, v6
	v_lshlrev_b32_e32 v8, 2, v8
	;; [unrolled: 1-line block ×13, first 2 shown]
	s_waitcnt vmcnt(13)
	v_subrev_u32_e32 v1, s13, v7
	s_waitcnt vmcnt(12)
	v_subrev_u32_e32 v5, s13, v9
	;; [unrolled: 2-line block ×14, first 2 shown]
	ds_write_b32 v4, v5 offset:2944
	ds_write_b32 v6, v1 offset:2944
	;; [unrolled: 1-line block ×14, first 2 shown]
	s_andn2_b64 exec, exec, s[24:25]
	s_cbranch_execnz .LBB64_5
; %bb.6:
	s_or_b64 exec, exec, s[24:25]
.LBB64_7:
	s_or_b64 exec, exec, s[22:23]
	v_and_b32_e32 v1, 7, v13
	v_cmp_ne_u32_e32 vcc, 0, v1
	s_and_saveexec_b64 s[22:23], vcc
	s_cbranch_execz .LBB64_10
; %bb.8:
	v_sub_u32_e32 v1, 0, v1
	s_mov_b64 s[24:25], 0
	v_mov_b32_e32 v4, s19
.LBB64_9:                               ; =>This Inner Loop Header: Depth=1
	v_ashrrev_i32_e32 v9, 31, v2
	v_mov_b32_e32 v8, v2
	v_lshlrev_b64 v[8:9], 2, v[8:9]
	v_ashrrev_i32_e32 v7, 31, v3
	v_mov_b32_e32 v6, v3
	v_add_co_u32_e32 v8, vcc, s18, v8
	v_lshlrev_b64 v[6:7], 2, v[6:7]
	v_addc_co_u32_e32 v9, vcc, v4, v9, vcc
	v_add_co_u32_e32 v6, vcc, s18, v6
	v_addc_co_u32_e32 v7, vcc, v4, v7, vcc
	global_load_dword v5, v[6:7], off
	global_load_dword v10, v[8:9], off
	v_subrev_u32_e32 v7, s31, v2
	v_add_co_u32_e32 v1, vcc, 1, v1
	v_subrev_u32_e32 v6, s31, v3
	v_add_u32_e32 v3, 0x48, v3
	v_add_u32_e32 v2, 0x48, v2
	v_lshlrev_b32_e32 v7, 2, v7
	s_or_b64 s[24:25], vcc, s[24:25]
	v_lshlrev_b32_e32 v6, 2, v6
	s_waitcnt vmcnt(1)
	v_subrev_u32_e32 v5, s13, v5
	s_waitcnt vmcnt(0)
	v_subrev_u32_e32 v8, s13, v10
	ds_write_b32 v7, v8 offset:2944
	ds_write_b32 v6, v5 offset:2944
	s_andn2_b64 exec, exec, s[24:25]
	s_cbranch_execnz .LBB64_9
.LBB64_10:
	s_or_b64 exec, exec, s[22:23]
	v_add_u32_e32 v2, 1, v12
	v_and_b32_e32 v3, 0x1ffffffe, v2
	v_mad_u64_u32 v[0:1], s[22:23], v3, 36, v[0:1]
	v_cmp_ne_u32_e32 vcc, v2, v3
	s_orn2_b64 s[22:23], vcc, exec
.LBB64_11:
	s_or_b64 exec, exec, s[2:3]
	s_and_b64 exec, exec, s[22:23]
	s_cbranch_execz .LBB64_14
; %bb.12:
	v_add_u32_e32 v1, s13, v0
	v_subrev_u32_e32 v1, s26, v1
	v_mov_b32_e32 v2, 0xb80
	v_lshl_add_u32 v4, v1, 2, v2
	v_ashrrev_i32_e32 v1, 31, v0
	v_lshlrev_b64 v[2:3], 2, v[0:1]
	v_mov_b32_e32 v1, s19
	v_add_co_u32_e32 v2, vcc, s18, v2
	v_addc_co_u32_e32 v3, vcc, v1, v3, vcc
	s_mov_b64 s[2:3], 0
.LBB64_13:                              ; =>This Inner Loop Header: Depth=1
	global_load_dword v1, v[2:3], off
	v_add_co_u32_e32 v2, vcc, 0x90, v2
	v_add_u32_e32 v0, 36, v0
	v_addc_co_u32_e32 v3, vcc, 0, v3, vcc
	v_cmp_lt_i32_e32 vcc, s30, v0
	s_or_b64 s[2:3], vcc, s[2:3]
	s_waitcnt vmcnt(0)
	v_subrev_u32_e32 v1, s13, v1
	ds_write_b32 v4, v1
	v_add_u32_e32 v4, 0x90, v4
	s_andn2_b64 exec, exec, s[2:3]
	s_cbranch_execnz .LBB64_13
.LBB64_14:
	s_or_b64 exec, exec, s[0:1]
	s_load_dword s33, s[4:5], 0x0
	v_lshlrev_b32_e32 v21, 4, v16
	s_movk_i32 s2, 0x70
	v_mad_u32_u24 v22, v17, s2, v21
	v_mov_b32_e32 v0, 0
	v_add_u32_e32 v19, 0x7e0, v22
	v_mov_b32_e32 v1, v0
	v_mov_b32_e32 v2, v0
	;; [unrolled: 1-line block ×3, first 2 shown]
	s_cmp_ge_i32 s31, s30
	v_mad_u32_u24 v7, v16, 6, v17
	ds_write_b128 v22, v[0:3] offset:2016
	s_waitcnt lgkmcnt(0)
	s_cbranch_scc1 .LBB64_64
; %bb.15:
	s_cmp_eq_u32 s33, 0
	v_mov_b32_e32 v3, 0x540
	v_mov_b32_e32 v4, 0x2a0
	v_mad_u32_u24 v2, v16, 6, v17
	s_cselect_b64 vcc, -1, 0
	s_cmp_lg_u32 s33, 0
	v_mad_u32_u24 v23, v17, s2, v3
	v_mad_u32_u24 v25, v17, s2, v4
	v_or_b32_e32 v4, v16, v17
	s_cselect_b64 s[4:5], -1, 0
	v_mul_u32_u24_e32 v1, 6, v16
	v_add_u32_e32 v24, v23, v21
	v_add_u32_e32 v26, v25, v21
	v_cmp_ne_u32_e64 s[0:1], 0, v4
	v_mad_u32_u24 v27, v16, s2, v3
	v_cndmask_b32_e32 v6, v2, v18, vcc
	v_mov_b32_e32 v28, 0x3ff00000
	s_mov_b32 s22, s31
	s_branch .LBB64_19
.LBB64_16:                              ;   in Loop: Header=BB64_19 Depth=1
	s_or_b64 exec, exec, s[24:25]
	v_mov_b32_e32 v10, 0
	v_mov_b32_e32 v11, 0x3ff00000
	v_pk_mov_b32 v[12:13], 0, 0
.LBB64_17:                              ;   in Loop: Header=BB64_19 Depth=1
	s_or_b64 exec, exec, s[2:3]
	ds_read_b128 v[30:33], v0 offset:624
	ds_read_b128 v[34:37], v0 offset:560
	ds_read_b128 v[38:41], v0 offset:576
	ds_read_b128 v[42:45], v23
	ds_read_b128 v[46:49], v23 offset:64
	ds_read_b128 v[50:53], v25 offset:80
	;; [unrolled: 1-line block ×7, first 2 shown]
	s_waitcnt lgkmcnt(5)
	v_fmac_f64_e32 v[52:53], v[36:37], v[42:43]
	v_fma_f64 v[14:15], v[34:35], -v[44:45], v[52:53]
	v_fmac_f64_e32 v[50:51], v[34:35], v[42:43]
	s_waitcnt lgkmcnt(2)
	v_fmac_f64_e32 v[14:15], v[40:41], v[62:63]
	v_fmac_f64_e32 v[50:51], v[36:37], v[44:45]
	v_fma_f64 v[14:15], v[38:39], -v[64:65], v[14:15]
	v_fmac_f64_e32 v[50:51], v[38:39], v[62:63]
	s_waitcnt lgkmcnt(1)
	v_fmac_f64_e32 v[14:15], v[56:57], v[66:67]
	v_fmac_f64_e32 v[50:51], v[40:41], v[64:65]
	v_fma_f64 v[14:15], v[54:55], -v[68:69], v[14:15]
	v_fmac_f64_e32 v[50:51], v[54:55], v[66:67]
	s_waitcnt lgkmcnt(0)
	v_fmac_f64_e32 v[14:15], v[60:61], v[70:71]
	v_fmac_f64_e32 v[50:51], v[56:57], v[68:69]
	v_fma_f64 v[14:15], v[58:59], -v[72:73], v[14:15]
	v_fmac_f64_e32 v[50:51], v[58:59], v[70:71]
	v_fmac_f64_e32 v[14:15], v[32:33], v[46:47]
	;; [unrolled: 1-line block ×3, first 2 shown]
	v_fma_f64 v[14:15], v[30:31], -v[48:49], v[14:15]
	v_fmac_f64_e32 v[50:51], v[30:31], v[46:47]
	v_mul_f64 v[30:31], v[12:13], v[12:13]
	v_fmac_f64_e32 v[30:31], v[10:11], v[10:11]
	v_div_scale_f64 v[34:35], s[2:3], v[30:31], v[30:31], 1.0
	v_rcp_f64_e32 v[36:37], v[34:35]
	v_fmac_f64_e32 v[50:51], v[32:33], v[48:49]
	v_add_f64 v[32:33], v[2:3], -v[50:51]
	v_add_f64 v[4:5], v[4:5], -v[14:15]
	v_fma_f64 v[2:3], -v[34:35], v[36:37], 1.0
	v_fmac_f64_e32 v[36:37], v[36:37], v[2:3]
	v_fma_f64 v[2:3], -v[34:35], v[36:37], 1.0
	v_fmac_f64_e32 v[36:37], v[36:37], v[2:3]
	v_div_scale_f64 v[2:3], vcc, 1.0, v[30:31], 1.0
	v_mul_f64 v[14:15], v[2:3], v[36:37]
	v_fma_f64 v[2:3], -v[34:35], v[14:15], v[2:3]
	s_add_i32 s22, s22, 1
	s_nop 0
	v_div_fmas_f64 v[2:3], v[2:3], v[36:37], v[14:15]
	v_div_fixup_f64 v[14:15], v[2:3], v[30:31], 1.0
	v_mul_f64 v[2:3], v[12:13], v[4:5]
	v_mul_f64 v[12:13], v[12:13], -v[32:33]
	v_fmac_f64_e32 v[2:3], v[32:33], v[10:11]
	v_fmac_f64_e32 v[12:13], v[4:5], v[10:11]
	v_mul_f64 v[2:3], v[14:15], v[2:3]
	v_mul_f64 v[4:5], v[14:15], v[12:13]
	ds_write_b128 v23, v[2:5] offset:80
	s_waitcnt lgkmcnt(0)
	ds_read_b128 v[10:13], v27 offset:80
	ds_read_b128 v[30:33], v19
	s_cmp_ge_i32 s22, s30
	s_cselect_b64 s[26:27], -1, 0
	s_waitcnt lgkmcnt(0)
	v_fmac_f64_e32 v[30:31], v[2:3], v[10:11]
	v_fmac_f64_e32 v[32:33], v[4:5], v[10:11]
	;; [unrolled: 1-line block ×3, first 2 shown]
	v_fma_f64 v[32:33], v[2:3], -v[12:13], v[32:33]
	ds_write_b128 v19, v[30:33]
	s_waitcnt lgkmcnt(0)
	ds_read2_b64 v[2:5], v24 offset1:1
	s_waitcnt lgkmcnt(0)
	global_store_dwordx4 v[8:9], v[2:5], off
	s_waitcnt vmcnt(0)
	buffer_wbinvl1_vol
.LBB64_18:                              ;   in Loop: Header=BB64_19 Depth=1
	s_and_b64 vcc, exec, s[26:27]
	s_cbranch_vccnz .LBB64_64
.LBB64_19:                              ; =>This Loop Header: Depth=1
                                        ;     Child Loop BB64_22 Depth 2
                                        ;     Child Loop BB64_33 Depth 2
	s_ashr_i32 s23, s22, 31
	s_lshl_b64 s[2:3], s[22:23], 2
	s_add_u32 s2, s18, s2
	s_addc_u32 s3, s19, s3
	s_load_dword s23, s[2:3], 0x0
	s_waitcnt lgkmcnt(0)
	s_sub_i32 s24, s23, s13
	s_ashr_i32 s25, s24, 31
	s_lshl_b64 s[2:3], s[24:25], 2
	s_add_u32 s26, s8, s2
	s_addc_u32 s27, s9, s3
	s_load_dword s25, s[26:27], 0x0
	s_mov_b64 s[26:27], -1
	s_waitcnt lgkmcnt(0)
	s_cmp_eq_u32 s25, -1
	s_cbranch_scc1 .LBB64_18
; %bb.20:                               ;   in Loop: Header=BB64_19 Depth=1
	v_mad_u64_u32 v[2:3], s[26:27], s22, 36, v[6:7]
	v_ashrrev_i32_e32 v3, 31, v2
	v_lshlrev_b64 v[2:3], 4, v[2:3]
	v_mov_b32_e32 v4, s21
	v_add_co_u32_e32 v8, vcc, s20, v2
	v_addc_co_u32_e32 v9, vcc, v4, v3, vcc
	global_load_dwordx4 v[2:5], v[8:9], off
	s_add_u32 s26, s16, s2
	s_addc_u32 s27, s17, s3
	s_load_dword s26, s[26:27], 0x0
	ds_read_b32 v10, v0 offset:2944
	s_mov_b32 s27, 0
	s_waitcnt lgkmcnt(0)
	s_sub_i32 s26, s26, s13
	s_cmp_le_i32 s26, s25
	v_cmp_ge_i32_e32 vcc, s24, v10
	s_cselect_b64 s[28:29], -1, 0
	s_and_b64 s[28:29], s[28:29], vcc
	s_andn2_b64 vcc, exec, s[28:29]
	s_waitcnt vmcnt(0)
	ds_write2_b64 v24, v[2:3], v[4:5] offset1:1
	s_cbranch_vccnz .LBB64_32
; %bb.21:                               ;   in Loop: Header=BB64_19 Depth=1
	s_mov_b32 s34, 0
	s_mov_b32 s35, 0
.LBB64_22:                              ;   Parent Loop BB64_19 Depth=1
                                        ; =>  This Inner Loop Header: Depth=2
	s_ashr_i32 s27, s26, 31
	s_lshl_b64 s[28:29], s[26:27], 2
	s_add_u32 s28, s18, s28
	s_addc_u32 s29, s19, s29
	s_load_dword s27, s[28:29], 0x0
	s_lshl_b32 s28, s35, 2
	v_mov_b32_e32 v2, s28
	ds_read_b32 v2, v2 offset:2944
	s_mov_b64 s[28:29], -1
	s_waitcnt lgkmcnt(0)
	s_sub_i32 s39, s27, s13
                                        ; implicit-def: $sgpr27
                                        ; implicit-def: $sgpr38
                                        ; implicit-def: $sgpr37
	v_cmp_ge_i32_e32 vcc, s39, v2
	v_readfirstlane_b32 s36, v2
	s_cbranch_vccz .LBB64_28
; %bb.23:                               ;   in Loop: Header=BB64_22 Depth=2
	s_cmp_le_i32 s39, s36
                                        ; implicit-def: $sgpr27
                                        ; implicit-def: $sgpr38
                                        ; implicit-def: $sgpr37
	s_cbranch_scc0 .LBB64_25
; %bb.24:                               ;   in Loop: Header=BB64_22 Depth=2
	s_add_i32 s27, s35, s31
	s_mul_i32 s27, s27, 36
	s_lshl_b32 s28, s34, 2
	v_mov_b32_e32 v2, s28
	v_mov_b32_e32 v3, s27
	s_mul_i32 s27, s26, 36
	v_mov_b32_e32 v4, s27
	v_add_u32_e32 v2, 0x800, v2
	ds_write2_b32 v2, v4, v3 offset0:160 offset1:192
	s_add_i32 s37, s35, 1
	s_add_i32 s38, s26, 1
	s_add_i32 s27, s34, 1
	s_mov_b64 s[28:29], 0
.LBB64_25:                              ;   in Loop: Header=BB64_22 Depth=2
	s_andn2_b64 vcc, exec, s[28:29]
	s_cbranch_vccnz .LBB64_27
; %bb.26:                               ;   in Loop: Header=BB64_22 Depth=2
	s_add_i32 s37, s35, 1
	s_mov_b32 s27, s34
	s_mov_b32 s38, s26
.LBB64_27:                              ;   in Loop: Header=BB64_22 Depth=2
	s_mov_b64 s[28:29], 0
.LBB64_28:                              ;   in Loop: Header=BB64_22 Depth=2
	s_andn2_b64 vcc, exec, s[28:29]
	s_cbranch_vccnz .LBB64_30
; %bb.29:                               ;   in Loop: Header=BB64_22 Depth=2
	s_add_i32 s38, s26, 1
	s_mov_b32 s37, s35
	s_mov_b32 s27, s34
.LBB64_30:                              ;   in Loop: Header=BB64_22 Depth=2
	s_cmp_le_i32 s38, s25
	s_cselect_b64 s[28:29], -1, 0
	s_cmp_le_i32 s36, s24
	s_cselect_b64 s[34:35], -1, 0
	s_and_b64 s[28:29], s[28:29], s[34:35]
	s_and_b64 vcc, exec, s[28:29]
	s_cbranch_vccz .LBB64_32
; %bb.31:                               ;   in Loop: Header=BB64_22 Depth=2
	s_mov_b32 s34, s27
	s_mov_b32 s26, s38
	;; [unrolled: 1-line block ×3, first 2 shown]
	s_branch .LBB64_22
.LBB64_32:                              ;   in Loop: Header=BB64_19 Depth=1
	s_add_u32 s2, s10, s2
	s_addc_u32 s3, s11, s3
	s_waitcnt lgkmcnt(0)
.LBB64_33:                              ;   Parent Loop BB64_19 Depth=1
                                        ; =>  This Inner Loop Header: Depth=2
	global_load_dword v2, v0, s[2:3] glc
	s_waitcnt vmcnt(0)
	v_cmp_eq_u32_e32 vcc, 0, v2
	s_cbranch_vccnz .LBB64_33
; %bb.34:                               ;   in Loop: Header=BB64_19 Depth=1
	v_mad_u64_u32 v[2:3], s[2:3], s25, 36, v[6:7]
	v_ashrrev_i32_e32 v3, 31, v2
	v_lshlrev_b64 v[2:3], 4, v[2:3]
	v_mov_b32_e32 v4, s21
	v_add_co_u32_e32 v2, vcc, s20, v2
	v_addc_co_u32_e32 v3, vcc, v4, v3, vcc
	buffer_wbinvl1_vol
	global_load_dwordx4 v[10:13], v[2:3], off
	v_pk_mov_b32 v[4:5], 0, 0
	s_cmp_lt_i32 s27, 2
	v_pk_mov_b32 v[2:3], v[4:5], v[4:5] op_sel:[0,1]
	s_waitcnt vmcnt(0)
	ds_write2_b64 v22, v[10:11], v[12:13] offset1:1
	s_waitcnt lgkmcnt(0)
	s_cbranch_scc1 .LBB64_41
; %bb.35:                               ;   in Loop: Header=BB64_19 Depth=1
	v_pk_mov_b32 v[12:13], 0, 0
	s_add_i32 s24, s27, -1
	s_movk_i32 s25, 0xa80
	v_pk_mov_b32 v[10:11], v[12:13], v[12:13] op_sel:[0,1]
	v_mov_b32_e32 v2, s25
	ds_read2_b32 v[14:15], v2 offset1:32
	s_and_b64 vcc, exec, s[4:5]
	s_cbranch_vccz .LBB64_37
.LBB64_36:                              ;   in Loop: Header=BB64_19 Depth=1
	s_waitcnt lgkmcnt(0)
	v_add_u32_e32 v2, v14, v16
	v_ashrrev_i32_e32 v3, 31, v2
	v_lshlrev_b64 v[4:5], 4, v[2:3]
	v_add_u32_e32 v70, v15, v17
	v_mov_b32_e32 v29, s21
	v_add_co_u32_e32 v4, vcc, s20, v4
	v_ashrrev_i32_e32 v71, 31, v70
	v_addc_co_u32_e32 v5, vcc, v29, v5, vcc
	v_lshlrev_b64 v[30:31], 4, v[70:71]
	v_add_co_u32_e32 v38, vcc, s20, v30
	v_addc_co_u32_e32 v39, vcc, v29, v31, vcc
	global_load_dwordx4 v[30:33], v[4:5], off
	global_load_dwordx4 v[34:37], v[38:39], off
	v_add_u32_e32 v4, 6, v2
	v_ashrrev_i32_e32 v5, 31, v4
	v_lshlrev_b64 v[4:5], 4, v[4:5]
	v_add_u32_e32 v38, 6, v70
	v_add_co_u32_e32 v4, vcc, s20, v4
	v_ashrrev_i32_e32 v39, 31, v38
	v_addc_co_u32_e32 v5, vcc, v29, v5, vcc
	v_lshlrev_b64 v[38:39], 4, v[38:39]
	v_add_co_u32_e32 v46, vcc, s20, v38
	v_addc_co_u32_e32 v47, vcc, v29, v39, vcc
	global_load_dwordx4 v[38:41], v[4:5], off
	global_load_dwordx4 v[42:45], v[46:47], off
	v_add_u32_e32 v4, 12, v2
	v_ashrrev_i32_e32 v5, 31, v4
	v_lshlrev_b64 v[4:5], 4, v[4:5]
	v_add_u32_e32 v46, 12, v70
	;; [unrolled: 12-line block ×4, first 2 shown]
	v_add_co_u32_e32 v4, vcc, s20, v4
	v_ashrrev_i32_e32 v63, 31, v62
	v_addc_co_u32_e32 v5, vcc, v29, v5, vcc
	v_lshlrev_b64 v[62:63], 4, v[62:63]
	v_add_u32_e32 v2, 30, v2
	v_add_co_u32_e32 v72, vcc, s20, v62
	v_ashrrev_i32_e32 v3, 31, v2
	v_addc_co_u32_e32 v73, vcc, v29, v63, vcc
	global_load_dwordx4 v[62:65], v[4:5], off
	global_load_dwordx4 v[66:69], v[72:73], off
	v_lshlrev_b64 v[2:3], 4, v[2:3]
	v_add_u32_e32 v4, 30, v70
	v_add_co_u32_e32 v2, vcc, s20, v2
	v_ashrrev_i32_e32 v5, 31, v4
	v_addc_co_u32_e32 v3, vcc, v29, v3, vcc
	v_lshlrev_b64 v[4:5], 4, v[4:5]
	v_add_co_u32_e32 v4, vcc, s20, v4
	v_addc_co_u32_e32 v5, vcc, v29, v5, vcc
	global_load_dwordx4 v[70:73], v[2:3], off
	global_load_dwordx4 v[74:77], v[4:5], off
	s_waitcnt vmcnt(10)
	v_fma_f64 v[2:3], v[30:31], v[34:35], v[10:11]
	v_fma_f64 v[4:5], v[32:33], v[34:35], v[12:13]
	v_fmac_f64_e32 v[2:3], v[32:33], v[36:37]
	v_fma_f64 v[4:5], v[30:31], -v[36:37], v[4:5]
	s_waitcnt vmcnt(8)
	v_fmac_f64_e32 v[2:3], v[38:39], v[42:43]
	v_fmac_f64_e32 v[4:5], v[40:41], v[42:43]
	v_fmac_f64_e32 v[2:3], v[40:41], v[44:45]
	v_fma_f64 v[4:5], v[38:39], -v[44:45], v[4:5]
	s_waitcnt vmcnt(6)
	v_fmac_f64_e32 v[2:3], v[46:47], v[50:51]
	v_fmac_f64_e32 v[4:5], v[48:49], v[50:51]
	;; [unrolled: 5-line block ×5, first 2 shown]
	v_fmac_f64_e32 v[2:3], v[72:73], v[76:77]
	v_fma_f64 v[4:5], v[70:71], -v[76:77], v[4:5]
	s_cbranch_execz .LBB64_38
	s_branch .LBB64_39
.LBB64_37:                              ;   in Loop: Header=BB64_19 Depth=1
                                        ; implicit-def: $vgpr4_vgpr5
.LBB64_38:                              ;   in Loop: Header=BB64_19 Depth=1
	s_waitcnt lgkmcnt(0)
	v_add_u32_e32 v2, v14, v1
	v_ashrrev_i32_e32 v3, 31, v2
	v_lshlrev_b64 v[2:3], 4, v[2:3]
	v_mov_b32_e32 v29, s21
	v_add_co_u32_e32 v74, vcc, s20, v2
	v_addc_co_u32_e32 v75, vcc, v29, v3, vcc
	global_load_dwordx4 v[2:5], v[74:75], off
	v_add_u32_e32 v14, v15, v20
	v_ashrrev_i32_e32 v15, 31, v14
	v_lshlrev_b64 v[14:15], 4, v[14:15]
	v_add_co_u32_e32 v14, vcc, s20, v14
	v_addc_co_u32_e32 v15, vcc, v29, v15, vcc
	global_load_dwordx4 v[30:33], v[14:15], off
	global_load_dwordx4 v[34:37], v[74:75], off offset:16
	global_load_dwordx4 v[38:41], v[14:15], off offset:16
	;; [unrolled: 1-line block ×10, first 2 shown]
	s_waitcnt vmcnt(10)
	v_fmac_f64_e32 v[10:11], v[2:3], v[30:31]
	v_fmac_f64_e32 v[12:13], v[4:5], v[30:31]
	v_fmac_f64_e32 v[10:11], v[4:5], v[32:33]
	v_fma_f64 v[2:3], v[2:3], -v[32:33], v[12:13]
	s_waitcnt vmcnt(8)
	v_fmac_f64_e32 v[10:11], v[34:35], v[38:39]
	v_fmac_f64_e32 v[2:3], v[36:37], v[38:39]
	v_fmac_f64_e32 v[10:11], v[36:37], v[40:41]
	v_fma_f64 v[2:3], v[34:35], -v[40:41], v[2:3]
	;; [unrolled: 5-line block ×6, first 2 shown]
	v_pk_mov_b32 v[2:3], v[10:11], v[10:11] op_sel:[0,1]
.LBB64_39:                              ;   in Loop: Header=BB64_19 Depth=1
	s_add_i32 s24, s24, -1
	s_add_i32 s25, s25, 4
	s_cmp_eq_u32 s24, 0
	s_cbranch_scc1 .LBB64_41
; %bb.40:                               ;   in Loop: Header=BB64_19 Depth=1
	v_pk_mov_b32 v[12:13], v[4:5], v[4:5] op_sel:[0,1]
	v_pk_mov_b32 v[10:11], v[2:3], v[2:3] op_sel:[0,1]
	v_mov_b32_e32 v2, s25
	s_waitcnt lgkmcnt(0)
	ds_read2_b32 v[14:15], v2 offset1:32
	s_and_b64 vcc, exec, s[4:5]
	s_cbranch_vccz .LBB64_37
	s_branch .LBB64_36
.LBB64_41:                              ;   in Loop: Header=BB64_19 Depth=1
	ds_write_b128 v26, v[2:5]
	s_waitcnt lgkmcnt(0)
	ds_read_b128 v[10:13], v0
	ds_read_b128 v[2:5], v23
	s_waitcnt lgkmcnt(1)
	v_cmp_neq_f64_e32 vcc, 0, v[10:11]
	v_cmp_neq_f64_e64 s[2:3], 0, v[12:13]
	s_or_b64 vcc, vcc, s[2:3]
	s_or_b64 s[2:3], vcc, s[0:1]
	v_cndmask_b32_e32 v11, v28, v11, vcc
	s_xor_b64 s[24:25], s[2:3], -1
	v_cndmask_b32_e32 v10, 0, v10, vcc
	v_cndmask_b32_e32 v13, 0, v13, vcc
	;; [unrolled: 1-line block ×3, first 2 shown]
	s_and_saveexec_b64 s[2:3], s[24:25]
	s_cbranch_execz .LBB64_45
; %bb.42:                               ;   in Loop: Header=BB64_19 Depth=1
	v_mbcnt_lo_u32_b32 v10, exec_lo, 0
	v_mbcnt_hi_u32_b32 v10, exec_hi, v10
	v_cmp_eq_u32_e32 vcc, 0, v10
	s_and_saveexec_b64 s[24:25], vcc
	s_cbranch_execz .LBB64_44
; %bb.43:                               ;   in Loop: Header=BB64_19 Depth=1
	v_mov_b32_e32 v10, s23
	global_atomic_smin v0, v10, s[14:15]
.LBB64_44:                              ;   in Loop: Header=BB64_19 Depth=1
	s_or_b64 exec, exec, s[24:25]
	v_mov_b32_e32 v10, 0
	v_mov_b32_e32 v11, 0x3ff00000
	v_pk_mov_b32 v[12:13], 0, 0
.LBB64_45:                              ;   in Loop: Header=BB64_19 Depth=1
	s_or_b64 exec, exec, s[2:3]
	v_mul_f64 v[14:15], v[12:13], v[12:13]
	v_fmac_f64_e32 v[14:15], v[10:11], v[10:11]
	ds_read_b128 v[30:33], v25
	v_div_scale_f64 v[34:35], s[2:3], v[14:15], v[14:15], 1.0
	v_rcp_f64_e32 v[36:37], v[34:35]
	s_waitcnt lgkmcnt(0)
	v_add_f64 v[30:31], v[2:3], -v[30:31]
	v_add_f64 v[4:5], v[4:5], -v[32:33]
	v_fma_f64 v[2:3], -v[34:35], v[36:37], 1.0
	v_fmac_f64_e32 v[36:37], v[36:37], v[2:3]
	v_fma_f64 v[2:3], -v[34:35], v[36:37], 1.0
	v_fmac_f64_e32 v[36:37], v[36:37], v[2:3]
	v_div_scale_f64 v[2:3], vcc, 1.0, v[14:15], 1.0
	v_mul_f64 v[32:33], v[2:3], v[36:37]
	v_fma_f64 v[2:3], -v[34:35], v[32:33], v[2:3]
	s_nop 1
	v_div_fmas_f64 v[2:3], v[2:3], v[36:37], v[32:33]
	v_div_fixup_f64 v[14:15], v[2:3], v[14:15], 1.0
	v_mul_f64 v[2:3], v[12:13], v[4:5]
	v_mul_f64 v[12:13], v[12:13], -v[30:31]
	v_fmac_f64_e32 v[2:3], v[30:31], v[10:11]
	v_fmac_f64_e32 v[12:13], v[4:5], v[10:11]
	v_mul_f64 v[2:3], v[14:15], v[2:3]
	v_mul_f64 v[4:5], v[14:15], v[12:13]
	ds_write_b128 v23, v[2:5]
	s_waitcnt lgkmcnt(0)
	ds_read_b128 v[10:13], v27
	ds_read_b128 v[30:33], v19
	s_waitcnt lgkmcnt(0)
	v_fmac_f64_e32 v[30:31], v[2:3], v[10:11]
	v_fmac_f64_e32 v[32:33], v[4:5], v[10:11]
	;; [unrolled: 1-line block ×3, first 2 shown]
	v_fma_f64 v[32:33], v[2:3], -v[12:13], v[32:33]
	ds_write_b128 v19, v[30:33]
	s_waitcnt lgkmcnt(0)
	ds_read_b128 v[10:13], v0 offset:128
	ds_read_b128 v[2:5], v23 offset:16
	s_waitcnt lgkmcnt(1)
	v_cmp_neq_f64_e32 vcc, 0, v[10:11]
	v_cmp_neq_f64_e64 s[2:3], 0, v[12:13]
	s_or_b64 vcc, vcc, s[2:3]
	s_or_b64 s[2:3], vcc, s[0:1]
	v_cndmask_b32_e32 v11, v28, v11, vcc
	s_xor_b64 s[24:25], s[2:3], -1
	v_cndmask_b32_e32 v10, 0, v10, vcc
	v_cndmask_b32_e32 v13, 0, v13, vcc
	;; [unrolled: 1-line block ×3, first 2 shown]
	s_and_saveexec_b64 s[2:3], s[24:25]
	s_cbranch_execz .LBB64_49
; %bb.46:                               ;   in Loop: Header=BB64_19 Depth=1
	v_mbcnt_lo_u32_b32 v10, exec_lo, 0
	v_mbcnt_hi_u32_b32 v10, exec_hi, v10
	v_cmp_eq_u32_e32 vcc, 0, v10
	s_and_saveexec_b64 s[24:25], vcc
	s_cbranch_execz .LBB64_48
; %bb.47:                               ;   in Loop: Header=BB64_19 Depth=1
	v_mov_b32_e32 v10, s23
	global_atomic_smin v0, v10, s[14:15]
.LBB64_48:                              ;   in Loop: Header=BB64_19 Depth=1
	s_or_b64 exec, exec, s[24:25]
	v_mov_b32_e32 v10, 0
	v_mov_b32_e32 v11, 0x3ff00000
	v_pk_mov_b32 v[12:13], 0, 0
.LBB64_49:                              ;   in Loop: Header=BB64_19 Depth=1
	s_or_b64 exec, exec, s[2:3]
	ds_read_b128 v[30:33], v0 offset:112
	ds_read_b128 v[34:37], v23
	ds_read_b128 v[38:41], v25 offset:16
	v_mul_f64 v[14:15], v[12:13], v[12:13]
	v_fmac_f64_e32 v[14:15], v[10:11], v[10:11]
	s_waitcnt lgkmcnt(0)
	v_fmac_f64_e32 v[40:41], v[32:33], v[34:35]
	v_fmac_f64_e32 v[38:39], v[30:31], v[34:35]
	v_div_scale_f64 v[34:35], s[2:3], v[14:15], v[14:15], 1.0
	v_fma_f64 v[30:31], v[30:31], -v[36:37], v[40:41]
	v_rcp_f64_e32 v[40:41], v[34:35]
	v_fmac_f64_e32 v[38:39], v[32:33], v[36:37]
	v_add_f64 v[32:33], v[2:3], -v[38:39]
	v_add_f64 v[4:5], v[4:5], -v[30:31]
	v_fma_f64 v[2:3], -v[34:35], v[40:41], 1.0
	v_fmac_f64_e32 v[40:41], v[40:41], v[2:3]
	v_fma_f64 v[2:3], -v[34:35], v[40:41], 1.0
	v_fmac_f64_e32 v[40:41], v[40:41], v[2:3]
	v_div_scale_f64 v[2:3], vcc, 1.0, v[14:15], 1.0
	v_mul_f64 v[30:31], v[2:3], v[40:41]
	v_fma_f64 v[2:3], -v[34:35], v[30:31], v[2:3]
	s_nop 1
	v_div_fmas_f64 v[2:3], v[2:3], v[40:41], v[30:31]
	v_div_fixup_f64 v[14:15], v[2:3], v[14:15], 1.0
	v_mul_f64 v[2:3], v[12:13], v[4:5]
	v_mul_f64 v[12:13], v[12:13], -v[32:33]
	v_fmac_f64_e32 v[2:3], v[32:33], v[10:11]
	v_fmac_f64_e32 v[12:13], v[4:5], v[10:11]
	v_mul_f64 v[2:3], v[14:15], v[2:3]
	v_mul_f64 v[4:5], v[14:15], v[12:13]
	ds_write_b128 v23, v[2:5] offset:16
	s_waitcnt lgkmcnt(0)
	ds_read_b128 v[10:13], v27 offset:16
	ds_read_b128 v[30:33], v19
	s_waitcnt lgkmcnt(0)
	v_fmac_f64_e32 v[30:31], v[2:3], v[10:11]
	v_fmac_f64_e32 v[32:33], v[4:5], v[10:11]
	;; [unrolled: 1-line block ×3, first 2 shown]
	v_fma_f64 v[32:33], v[2:3], -v[12:13], v[32:33]
	ds_write_b128 v19, v[30:33]
	s_waitcnt lgkmcnt(0)
	ds_read_b128 v[10:13], v0 offset:256
	ds_read_b128 v[2:5], v23 offset:32
	s_waitcnt lgkmcnt(1)
	v_cmp_neq_f64_e32 vcc, 0, v[10:11]
	v_cmp_neq_f64_e64 s[2:3], 0, v[12:13]
	s_or_b64 vcc, vcc, s[2:3]
	s_or_b64 s[2:3], vcc, s[0:1]
	v_cndmask_b32_e32 v11, v28, v11, vcc
	s_xor_b64 s[24:25], s[2:3], -1
	v_cndmask_b32_e32 v10, 0, v10, vcc
	v_cndmask_b32_e32 v13, 0, v13, vcc
	;; [unrolled: 1-line block ×3, first 2 shown]
	s_and_saveexec_b64 s[2:3], s[24:25]
	s_cbranch_execz .LBB64_53
; %bb.50:                               ;   in Loop: Header=BB64_19 Depth=1
	v_mbcnt_lo_u32_b32 v10, exec_lo, 0
	v_mbcnt_hi_u32_b32 v10, exec_hi, v10
	v_cmp_eq_u32_e32 vcc, 0, v10
	s_and_saveexec_b64 s[24:25], vcc
	s_cbranch_execz .LBB64_52
; %bb.51:                               ;   in Loop: Header=BB64_19 Depth=1
	v_mov_b32_e32 v10, s23
	global_atomic_smin v0, v10, s[14:15]
.LBB64_52:                              ;   in Loop: Header=BB64_19 Depth=1
	s_or_b64 exec, exec, s[24:25]
	v_mov_b32_e32 v10, 0
	v_mov_b32_e32 v11, 0x3ff00000
	v_pk_mov_b32 v[12:13], 0, 0
.LBB64_53:                              ;   in Loop: Header=BB64_19 Depth=1
	s_or_b64 exec, exec, s[2:3]
	ds_read_b128 v[30:33], v0 offset:224
	ds_read_b128 v[34:37], v25 offset:32
	ds_read_b128 v[38:41], v23
	ds_read_b128 v[42:45], v0 offset:240
	ds_read_b128 v[46:49], v23 offset:16
	s_waitcnt lgkmcnt(2)
	v_fmac_f64_e32 v[36:37], v[32:33], v[38:39]
	v_fma_f64 v[14:15], v[30:31], -v[40:41], v[36:37]
	v_fmac_f64_e32 v[34:35], v[30:31], v[38:39]
	v_mul_f64 v[30:31], v[12:13], v[12:13]
	v_fmac_f64_e32 v[30:31], v[10:11], v[10:11]
	v_fmac_f64_e32 v[34:35], v[32:33], v[40:41]
	v_div_scale_f64 v[32:33], s[2:3], v[30:31], v[30:31], 1.0
	v_rcp_f64_e32 v[36:37], v[32:33]
	s_waitcnt lgkmcnt(0)
	v_fmac_f64_e32 v[34:35], v[42:43], v[46:47]
	v_fmac_f64_e32 v[34:35], v[44:45], v[48:49]
	v_add_f64 v[34:35], v[2:3], -v[34:35]
	v_fma_f64 v[2:3], -v[32:33], v[36:37], 1.0
	v_fmac_f64_e32 v[36:37], v[36:37], v[2:3]
	v_fmac_f64_e32 v[14:15], v[44:45], v[46:47]
	v_fma_f64 v[2:3], -v[32:33], v[36:37], 1.0
	v_fma_f64 v[14:15], v[42:43], -v[48:49], v[14:15]
	v_fmac_f64_e32 v[36:37], v[36:37], v[2:3]
	v_div_scale_f64 v[2:3], vcc, 1.0, v[30:31], 1.0
	v_add_f64 v[4:5], v[4:5], -v[14:15]
	v_mul_f64 v[14:15], v[2:3], v[36:37]
	v_fma_f64 v[2:3], -v[32:33], v[14:15], v[2:3]
	s_nop 0
	v_div_fmas_f64 v[2:3], v[2:3], v[36:37], v[14:15]
	v_div_fixup_f64 v[14:15], v[2:3], v[30:31], 1.0
	v_mul_f64 v[2:3], v[12:13], v[4:5]
	v_mul_f64 v[12:13], v[12:13], -v[34:35]
	v_fmac_f64_e32 v[2:3], v[34:35], v[10:11]
	v_fmac_f64_e32 v[12:13], v[4:5], v[10:11]
	v_mul_f64 v[2:3], v[14:15], v[2:3]
	v_mul_f64 v[4:5], v[14:15], v[12:13]
	ds_write_b128 v23, v[2:5] offset:32
	s_waitcnt lgkmcnt(0)
	ds_read_b128 v[10:13], v27 offset:32
	ds_read_b128 v[30:33], v19
	s_waitcnt lgkmcnt(0)
	v_fmac_f64_e32 v[30:31], v[2:3], v[10:11]
	v_fmac_f64_e32 v[32:33], v[4:5], v[10:11]
	;; [unrolled: 1-line block ×3, first 2 shown]
	v_fma_f64 v[32:33], v[2:3], -v[12:13], v[32:33]
	ds_write_b128 v19, v[30:33]
	s_waitcnt lgkmcnt(0)
	ds_read_b128 v[10:13], v0 offset:384
	ds_read_b128 v[2:5], v23 offset:48
	s_waitcnt lgkmcnt(1)
	v_cmp_neq_f64_e32 vcc, 0, v[10:11]
	v_cmp_neq_f64_e64 s[2:3], 0, v[12:13]
	s_or_b64 vcc, vcc, s[2:3]
	s_or_b64 s[2:3], vcc, s[0:1]
	v_cndmask_b32_e32 v11, v28, v11, vcc
	s_xor_b64 s[24:25], s[2:3], -1
	v_cndmask_b32_e32 v10, 0, v10, vcc
	v_cndmask_b32_e32 v13, 0, v13, vcc
	;; [unrolled: 1-line block ×3, first 2 shown]
	s_and_saveexec_b64 s[2:3], s[24:25]
	s_cbranch_execz .LBB64_57
; %bb.54:                               ;   in Loop: Header=BB64_19 Depth=1
	v_mbcnt_lo_u32_b32 v10, exec_lo, 0
	v_mbcnt_hi_u32_b32 v10, exec_hi, v10
	v_cmp_eq_u32_e32 vcc, 0, v10
	s_and_saveexec_b64 s[24:25], vcc
	s_cbranch_execz .LBB64_56
; %bb.55:                               ;   in Loop: Header=BB64_19 Depth=1
	v_mov_b32_e32 v10, s23
	global_atomic_smin v0, v10, s[14:15]
.LBB64_56:                              ;   in Loop: Header=BB64_19 Depth=1
	s_or_b64 exec, exec, s[24:25]
	v_mov_b32_e32 v10, 0
	v_mov_b32_e32 v11, 0x3ff00000
	v_pk_mov_b32 v[12:13], 0, 0
.LBB64_57:                              ;   in Loop: Header=BB64_19 Depth=1
	s_or_b64 exec, exec, s[2:3]
	ds_read_b128 v[30:33], v23
	ds_read_b128 v[34:37], v25 offset:48
	ds_read_b128 v[38:41], v0 offset:336
	;; [unrolled: 1-line block ×6, first 2 shown]
	s_waitcnt lgkmcnt(4)
	v_fmac_f64_e32 v[36:37], v[40:41], v[30:31]
	v_fmac_f64_e32 v[34:35], v[38:39], v[30:31]
	v_mul_f64 v[30:31], v[12:13], v[12:13]
	v_fmac_f64_e32 v[30:31], v[10:11], v[10:11]
	v_fma_f64 v[14:15], v[38:39], -v[32:33], v[36:37]
	v_fmac_f64_e32 v[34:35], v[40:41], v[32:33]
	v_div_scale_f64 v[32:33], s[2:3], v[30:31], v[30:31], 1.0
	s_waitcnt lgkmcnt(2)
	v_fmac_f64_e32 v[34:35], v[42:43], v[46:47]
	v_rcp_f64_e32 v[36:37], v[32:33]
	v_fmac_f64_e32 v[34:35], v[44:45], v[48:49]
	s_waitcnt lgkmcnt(0)
	v_fmac_f64_e32 v[34:35], v[54:55], v[50:51]
	v_fmac_f64_e32 v[34:35], v[56:57], v[52:53]
	;; [unrolled: 1-line block ×3, first 2 shown]
	v_add_f64 v[34:35], v[2:3], -v[34:35]
	v_fma_f64 v[2:3], -v[32:33], v[36:37], 1.0
	v_fma_f64 v[14:15], v[42:43], -v[48:49], v[14:15]
	v_fmac_f64_e32 v[36:37], v[36:37], v[2:3]
	v_fmac_f64_e32 v[14:15], v[56:57], v[50:51]
	v_fma_f64 v[2:3], -v[32:33], v[36:37], 1.0
	v_fma_f64 v[14:15], v[54:55], -v[52:53], v[14:15]
	v_fmac_f64_e32 v[36:37], v[36:37], v[2:3]
	v_div_scale_f64 v[2:3], vcc, 1.0, v[30:31], 1.0
	v_add_f64 v[4:5], v[4:5], -v[14:15]
	v_mul_f64 v[14:15], v[2:3], v[36:37]
	v_fma_f64 v[2:3], -v[32:33], v[14:15], v[2:3]
	s_nop 0
	v_div_fmas_f64 v[2:3], v[2:3], v[36:37], v[14:15]
	v_div_fixup_f64 v[14:15], v[2:3], v[30:31], 1.0
	v_mul_f64 v[2:3], v[12:13], v[4:5]
	v_mul_f64 v[12:13], v[12:13], -v[34:35]
	v_fmac_f64_e32 v[2:3], v[34:35], v[10:11]
	v_fmac_f64_e32 v[12:13], v[4:5], v[10:11]
	v_mul_f64 v[2:3], v[14:15], v[2:3]
	v_mul_f64 v[4:5], v[14:15], v[12:13]
	ds_write_b128 v23, v[2:5] offset:48
	s_waitcnt lgkmcnt(0)
	ds_read_b128 v[10:13], v27 offset:48
	ds_read_b128 v[30:33], v19
	s_waitcnt lgkmcnt(0)
	v_fmac_f64_e32 v[30:31], v[2:3], v[10:11]
	v_fmac_f64_e32 v[32:33], v[4:5], v[10:11]
	;; [unrolled: 1-line block ×3, first 2 shown]
	v_fma_f64 v[32:33], v[2:3], -v[12:13], v[32:33]
	ds_write_b128 v19, v[30:33]
	s_waitcnt lgkmcnt(0)
	ds_read_b128 v[10:13], v0 offset:512
	ds_read_b128 v[2:5], v23 offset:64
	s_waitcnt lgkmcnt(1)
	v_cmp_neq_f64_e32 vcc, 0, v[10:11]
	v_cmp_neq_f64_e64 s[2:3], 0, v[12:13]
	s_or_b64 vcc, vcc, s[2:3]
	s_or_b64 s[2:3], vcc, s[0:1]
	v_cndmask_b32_e32 v11, v28, v11, vcc
	s_xor_b64 s[24:25], s[2:3], -1
	v_cndmask_b32_e32 v10, 0, v10, vcc
	v_cndmask_b32_e32 v13, 0, v13, vcc
	;; [unrolled: 1-line block ×3, first 2 shown]
	s_and_saveexec_b64 s[2:3], s[24:25]
	s_cbranch_execz .LBB64_61
; %bb.58:                               ;   in Loop: Header=BB64_19 Depth=1
	v_mbcnt_lo_u32_b32 v10, exec_lo, 0
	v_mbcnt_hi_u32_b32 v10, exec_hi, v10
	v_cmp_eq_u32_e32 vcc, 0, v10
	s_and_saveexec_b64 s[24:25], vcc
	s_cbranch_execz .LBB64_60
; %bb.59:                               ;   in Loop: Header=BB64_19 Depth=1
	v_mov_b32_e32 v10, s23
	global_atomic_smin v0, v10, s[14:15]
.LBB64_60:                              ;   in Loop: Header=BB64_19 Depth=1
	s_or_b64 exec, exec, s[24:25]
	v_mov_b32_e32 v10, 0
	v_mov_b32_e32 v11, 0x3ff00000
	v_pk_mov_b32 v[12:13], 0, 0
.LBB64_61:                              ;   in Loop: Header=BB64_19 Depth=1
	s_or_b64 exec, exec, s[2:3]
	ds_read_b128 v[30:33], v0 offset:464
	ds_read_b128 v[34:37], v0 offset:480
	;; [unrolled: 1-line block ×4, first 2 shown]
	ds_read_b128 v[46:49], v23
	ds_read_b128 v[50:53], v0 offset:496
	ds_read_b128 v[54:57], v23 offset:16
	;; [unrolled: 1-line block ×4, first 2 shown]
	s_waitcnt lgkmcnt(4)
	v_fmac_f64_e32 v[44:45], v[40:41], v[46:47]
	v_fma_f64 v[14:15], v[38:39], -v[48:49], v[44:45]
	v_fmac_f64_e32 v[42:43], v[38:39], v[46:47]
	s_waitcnt lgkmcnt(2)
	v_fmac_f64_e32 v[14:15], v[32:33], v[54:55]
	v_fmac_f64_e32 v[42:43], v[40:41], v[48:49]
	v_fma_f64 v[14:15], v[30:31], -v[56:57], v[14:15]
	v_fmac_f64_e32 v[42:43], v[30:31], v[54:55]
	v_mul_f64 v[30:31], v[12:13], v[12:13]
	v_fmac_f64_e32 v[30:31], v[10:11], v[10:11]
	s_waitcnt lgkmcnt(1)
	v_fmac_f64_e32 v[14:15], v[36:37], v[58:59]
	v_fmac_f64_e32 v[42:43], v[32:33], v[56:57]
	v_div_scale_f64 v[32:33], s[2:3], v[30:31], v[30:31], 1.0
	v_fma_f64 v[14:15], v[34:35], -v[60:61], v[14:15]
	v_fmac_f64_e32 v[42:43], v[34:35], v[58:59]
	v_rcp_f64_e32 v[34:35], v[32:33]
	v_fmac_f64_e32 v[42:43], v[36:37], v[60:61]
	s_waitcnt lgkmcnt(0)
	v_fmac_f64_e32 v[42:43], v[50:51], v[62:63]
	v_fmac_f64_e32 v[42:43], v[52:53], v[64:65]
	v_add_f64 v[36:37], v[2:3], -v[42:43]
	v_fma_f64 v[2:3], -v[32:33], v[34:35], 1.0
	v_fmac_f64_e32 v[34:35], v[34:35], v[2:3]
	v_fmac_f64_e32 v[14:15], v[52:53], v[62:63]
	v_fma_f64 v[2:3], -v[32:33], v[34:35], 1.0
	v_fma_f64 v[14:15], v[50:51], -v[64:65], v[14:15]
	v_fmac_f64_e32 v[34:35], v[34:35], v[2:3]
	v_div_scale_f64 v[2:3], vcc, 1.0, v[30:31], 1.0
	v_add_f64 v[4:5], v[4:5], -v[14:15]
	v_mul_f64 v[14:15], v[2:3], v[34:35]
	v_fma_f64 v[2:3], -v[32:33], v[14:15], v[2:3]
	s_nop 0
	v_div_fmas_f64 v[2:3], v[2:3], v[34:35], v[14:15]
	v_div_fixup_f64 v[14:15], v[2:3], v[30:31], 1.0
	v_mul_f64 v[2:3], v[12:13], v[4:5]
	v_mul_f64 v[12:13], v[12:13], -v[36:37]
	v_fmac_f64_e32 v[2:3], v[36:37], v[10:11]
	v_fmac_f64_e32 v[12:13], v[4:5], v[10:11]
	v_mul_f64 v[2:3], v[14:15], v[2:3]
	v_mul_f64 v[4:5], v[14:15], v[12:13]
	ds_write_b128 v23, v[2:5] offset:64
	s_waitcnt lgkmcnt(0)
	ds_read_b128 v[10:13], v27 offset:64
	ds_read_b128 v[30:33], v19
	s_waitcnt lgkmcnt(0)
	v_fmac_f64_e32 v[30:31], v[2:3], v[10:11]
	v_fmac_f64_e32 v[32:33], v[4:5], v[10:11]
	;; [unrolled: 1-line block ×3, first 2 shown]
	v_fma_f64 v[32:33], v[2:3], -v[12:13], v[32:33]
	ds_write_b128 v19, v[30:33]
	s_waitcnt lgkmcnt(0)
	ds_read_b128 v[10:13], v0 offset:640
	ds_read_b128 v[2:5], v23 offset:80
	s_waitcnt lgkmcnt(1)
	v_cmp_neq_f64_e32 vcc, 0, v[10:11]
	v_cmp_neq_f64_e64 s[2:3], 0, v[12:13]
	s_or_b64 vcc, vcc, s[2:3]
	s_or_b64 s[2:3], vcc, s[0:1]
	v_cndmask_b32_e32 v11, v28, v11, vcc
	s_xor_b64 s[24:25], s[2:3], -1
	v_cndmask_b32_e32 v10, 0, v10, vcc
	v_cndmask_b32_e32 v13, 0, v13, vcc
	;; [unrolled: 1-line block ×3, first 2 shown]
	s_and_saveexec_b64 s[2:3], s[24:25]
	s_cbranch_execz .LBB64_17
; %bb.62:                               ;   in Loop: Header=BB64_19 Depth=1
	v_mbcnt_lo_u32_b32 v10, exec_lo, 0
	v_mbcnt_hi_u32_b32 v10, exec_hi, v10
	v_cmp_eq_u32_e32 vcc, 0, v10
	s_and_saveexec_b64 s[24:25], vcc
	s_cbranch_execz .LBB64_16
; %bb.63:                               ;   in Loop: Header=BB64_19 Depth=1
	v_mov_b32_e32 v10, s23
	global_atomic_smin v0, v10, s[14:15]
	s_branch .LBB64_16
.LBB64_64:
	s_cmp_lg_u32 s33, 0
	s_cselect_b64 s[8:9], -1, 0
	s_cmp_eq_u32 s33, 0
	v_mov_b32_e32 v0, v18
	s_cbranch_scc1 .LBB64_66
; %bb.65:
	v_mad_u32_u24 v0, v16, 6, v17
.LBB64_66:
	s_mul_i32 s30, s30, 36
	v_add_u32_e32 v0, s30, v0
	v_ashrrev_i32_e32 v1, 31, v0
	v_lshlrev_b64 v[0:1], 4, v[0:1]
	v_mov_b32_e32 v2, s21
	v_add_co_u32_e32 v0, vcc, s20, v0
	v_addc_co_u32_e32 v1, vcc, v2, v1, vcc
	global_load_dwordx4 v[0:3], v[0:1], off
	s_movk_i32 s0, 0x70
	v_cmp_ne_u32_e64 s[2:3], 0, v17
	v_mad_u32_u24 v6, v17, s0, v21
	v_cmp_eq_u32_e32 vcc, 0, v17
	s_waitcnt vmcnt(0)
	ds_write2_b64 v6, v[0:1], v[2:3] offset0:168 offset1:169
	s_waitcnt lgkmcnt(0)
	s_and_saveexec_b64 s[0:1], vcc
	s_cbranch_execz .LBB64_75
; %bb.67:
	v_mov_b32_e32 v4, 0
	ds_read_b128 v[0:3], v4 offset:2016
	ds_read_b128 v[8:11], v4 offset:1344
	s_waitcnt lgkmcnt(0)
	v_add_f64 v[0:1], v[8:9], -v[0:1]
	v_add_f64 v[4:5], v[10:11], -v[2:3]
	v_xor_b32_e32 v2, 0x80000000, v1
	v_cmp_gt_f64_e32 vcc, 0, v[0:1]
	v_cndmask_b32_e32 v1, v1, v2, vcc
	v_cndmask_b32_e32 v0, v0, v0, vcc
	v_xor_b32_e32 v2, 0x80000000, v5
	v_cmp_gt_f64_e32 vcc, 0, v[4:5]
	v_cndmask_b32_e32 v3, v5, v2, vcc
	v_cndmask_b32_e32 v2, v4, v4, vcc
	v_cmp_ngt_f64_e32 vcc, v[0:1], v[2:3]
	s_cbranch_vccz .LBB64_71
; %bb.68:
	v_cmp_eq_f64_e32 vcc, 0, v[4:5]
	s_mov_b64 s[4:5], 0
	v_pk_mov_b32 v[4:5], 0, 0
	s_cbranch_vccnz .LBB64_72
; %bb.69:
	v_div_scale_f64 v[4:5], s[16:17], v[2:3], v[2:3], v[0:1]
	v_rcp_f64_e32 v[8:9], v[4:5]
	v_div_scale_f64 v[10:11], vcc, v[0:1], v[2:3], v[0:1]
	s_mov_b32 s16, 0
	v_fma_f64 v[12:13], -v[4:5], v[8:9], 1.0
	v_fmac_f64_e32 v[8:9], v[8:9], v[12:13]
	v_fma_f64 v[12:13], -v[4:5], v[8:9], 1.0
	v_fmac_f64_e32 v[8:9], v[8:9], v[12:13]
	v_mul_f64 v[12:13], v[10:11], v[8:9]
	v_fma_f64 v[4:5], -v[4:5], v[12:13], v[10:11]
	v_div_fmas_f64 v[4:5], v[4:5], v[8:9], v[12:13]
	v_div_fixup_f64 v[4:5], v[4:5], v[2:3], v[0:1]
	v_fma_f64 v[4:5], v[4:5], v[4:5], 1.0
	s_brev_b32 s17, 8
	v_cmp_gt_f64_e32 vcc, s[16:17], v[4:5]
	v_cndmask_b32_e64 v8, 0, 1, vcc
	v_lshlrev_b32_e32 v8, 8, v8
	v_ldexp_f64 v[4:5], v[4:5], v8
	v_rsq_f64_e32 v[8:9], v[4:5]
	s_and_b64 s[16:17], vcc, exec
	s_cselect_b32 s16, 0xffffff80, 0
	v_mul_f64 v[10:11], v[4:5], v[8:9]
	v_mul_f64 v[8:9], v[8:9], 0.5
	v_fma_f64 v[12:13], -v[8:9], v[10:11], 0.5
	v_fmac_f64_e32 v[10:11], v[10:11], v[12:13]
	v_fma_f64 v[14:15], -v[10:11], v[10:11], v[4:5]
	v_fmac_f64_e32 v[8:9], v[8:9], v[12:13]
	v_fmac_f64_e32 v[10:11], v[14:15], v[8:9]
	v_fma_f64 v[12:13], -v[10:11], v[10:11], v[4:5]
	v_fmac_f64_e32 v[10:11], v[12:13], v[8:9]
	v_ldexp_f64 v[8:9], v[10:11], s16
	v_mov_b32_e32 v10, 0x260
	v_cmp_class_f64_e32 vcc, v[4:5], v10
	v_cndmask_b32_e32 v5, v9, v5, vcc
	v_cndmask_b32_e32 v4, v8, v4, vcc
	v_mul_f64 v[4:5], v[2:3], v[4:5]
	s_branch .LBB64_72
.LBB64_70:
	s_mov_b64 s[0:1], 0
	s_cbranch_execnz .LBB64_150
	s_branch .LBB64_155
.LBB64_71:
	s_mov_b64 s[4:5], -1
                                        ; implicit-def: $vgpr4_vgpr5
.LBB64_72:
	s_andn2_b64 vcc, exec, s[4:5]
	s_cbranch_vccnz .LBB64_74
; %bb.73:
	v_div_scale_f64 v[4:5], s[4:5], v[0:1], v[0:1], v[2:3]
	v_rcp_f64_e32 v[8:9], v[4:5]
	v_div_scale_f64 v[10:11], vcc, v[2:3], v[0:1], v[2:3]
	s_mov_b32 s4, 0
	v_fma_f64 v[12:13], -v[4:5], v[8:9], 1.0
	v_fmac_f64_e32 v[8:9], v[8:9], v[12:13]
	v_fma_f64 v[12:13], -v[4:5], v[8:9], 1.0
	v_fmac_f64_e32 v[8:9], v[8:9], v[12:13]
	v_mul_f64 v[12:13], v[10:11], v[8:9]
	v_fma_f64 v[4:5], -v[4:5], v[12:13], v[10:11]
	v_div_fmas_f64 v[4:5], v[4:5], v[8:9], v[12:13]
	v_div_fixup_f64 v[2:3], v[4:5], v[0:1], v[2:3]
	v_fma_f64 v[2:3], v[2:3], v[2:3], 1.0
	s_brev_b32 s5, 8
	v_cmp_gt_f64_e32 vcc, s[4:5], v[2:3]
	v_cndmask_b32_e64 v4, 0, 1, vcc
	v_lshlrev_b32_e32 v4, 8, v4
	v_ldexp_f64 v[2:3], v[2:3], v4
	v_rsq_f64_e32 v[4:5], v[2:3]
	s_and_b64 s[4:5], vcc, exec
	s_cselect_b32 s4, 0xffffff80, 0
	v_mul_f64 v[8:9], v[2:3], v[4:5]
	v_mul_f64 v[4:5], v[4:5], 0.5
	v_fma_f64 v[10:11], -v[4:5], v[8:9], 0.5
	v_fmac_f64_e32 v[8:9], v[8:9], v[10:11]
	v_fma_f64 v[12:13], -v[8:9], v[8:9], v[2:3]
	v_fmac_f64_e32 v[4:5], v[4:5], v[10:11]
	v_fmac_f64_e32 v[8:9], v[12:13], v[4:5]
	v_fma_f64 v[10:11], -v[8:9], v[8:9], v[2:3]
	v_fmac_f64_e32 v[8:9], v[10:11], v[4:5]
	v_ldexp_f64 v[4:5], v[8:9], s4
	v_mov_b32_e32 v8, 0x260
	v_cmp_class_f64_e32 vcc, v[2:3], v8
	v_cndmask_b32_e32 v3, v5, v3, vcc
	v_cndmask_b32_e32 v2, v4, v2, vcc
	v_mul_f64 v[4:5], v[0:1], v[2:3]
.LBB64_74:
	s_mov_b32 s4, 0
	s_brev_b32 s5, 8
	v_cmp_gt_f64_e32 vcc, s[4:5], v[4:5]
	v_cndmask_b32_e64 v0, 0, 1, vcc
	v_lshlrev_b32_e32 v0, 8, v0
	v_ldexp_f64 v[0:1], v[4:5], v0
	v_rsq_f64_e32 v[2:3], v[0:1]
	s_and_b64 s[4:5], vcc, exec
	s_cselect_b32 s4, 0xffffff80, 0
	v_mul_f64 v[4:5], v[0:1], v[2:3]
	v_mul_f64 v[2:3], v[2:3], 0.5
	v_fma_f64 v[8:9], -v[2:3], v[4:5], 0.5
	v_fmac_f64_e32 v[4:5], v[4:5], v[8:9]
	v_fma_f64 v[10:11], -v[4:5], v[4:5], v[0:1]
	v_fmac_f64_e32 v[2:3], v[2:3], v[8:9]
	v_fmac_f64_e32 v[4:5], v[10:11], v[2:3]
	v_fma_f64 v[8:9], -v[4:5], v[4:5], v[0:1]
	v_fmac_f64_e32 v[4:5], v[8:9], v[2:3]
	v_ldexp_f64 v[2:3], v[4:5], s4
	v_mov_b32_e32 v4, 0x260
	v_cmp_class_f64_e32 vcc, v[0:1], v4
	v_cndmask_b32_e32 v0, v2, v0, vcc
	v_mov_b32_e32 v2, 0
	v_cndmask_b32_e32 v1, v3, v1, vcc
	v_mov_b32_e32 v3, v2
	ds_write_b128 v2, v[0:3] offset:1344
.LBB64_75:
	s_or_b64 exec, exec, s[0:1]
	v_mov_b32_e32 v0, 0
	s_waitcnt lgkmcnt(0)
	ds_read_b128 v[0:3], v0 offset:1344
	v_or_b32_e32 v8, v16, v17
	v_cmp_ne_u32_e64 s[0:1], 0, v8
	v_mov_b32_e32 v4, 0x3ff00000
	v_add_u32_e32 v6, 0x540, v6
	s_waitcnt lgkmcnt(0)
	v_cmp_neq_f64_e32 vcc, 0, v[0:1]
	v_cmp_neq_f64_e64 s[4:5], 0, v[2:3]
	s_or_b64 vcc, vcc, s[4:5]
	s_or_b64 s[4:5], vcc, s[0:1]
	s_add_i32 s18, s12, s13
	v_cndmask_b32_e32 v1, v4, v1, vcc
	s_xor_b64 s[16:17], s[4:5], -1
	v_cndmask_b32_e32 v0, 0, v0, vcc
	v_cndmask_b32_e32 v3, 0, v3, vcc
	;; [unrolled: 1-line block ×3, first 2 shown]
	s_and_saveexec_b64 s[4:5], s[16:17]
	s_cbranch_execz .LBB64_79
; %bb.76:
	v_mbcnt_lo_u32_b32 v0, exec_lo, 0
	v_mbcnt_hi_u32_b32 v0, exec_hi, v0
	v_cmp_eq_u32_e32 vcc, 0, v0
	s_and_saveexec_b64 s[16:17], vcc
	s_cbranch_execz .LBB64_78
; %bb.77:
	v_mov_b32_e32 v0, 0
	v_mov_b32_e32 v1, s18
	global_atomic_smin v0, v1, s[14:15]
.LBB64_78:
	s_or_b64 exec, exec, s[16:17]
	v_mov_b32_e32 v0, 0
	v_mov_b32_e32 v1, 0x3ff00000
	v_pk_mov_b32 v[2:3], 0, 0
.LBB64_79:
	s_or_b64 exec, exec, s[4:5]
	s_and_saveexec_b64 s[4:5], s[2:3]
	s_cbranch_execz .LBB64_81
; %bb.80:
	v_mul_f64 v[4:5], v[2:3], v[2:3]
	v_mul_u32_u24_e32 v9, 0x70, v17
	v_fmac_f64_e32 v[4:5], v[0:1], v[0:1]
	ds_read_b128 v[10:13], v9 offset:1344
	ds_read_b128 v[20:23], v9 offset:2016
	v_div_scale_f64 v[14:15], s[2:3], v[4:5], v[4:5], 1.0
	v_rcp_f64_e32 v[24:25], v[14:15]
	s_waitcnt lgkmcnt(0)
	v_add_f64 v[20:21], v[10:11], -v[20:21]
	v_add_f64 v[12:13], v[12:13], -v[22:23]
	v_fma_f64 v[10:11], -v[14:15], v[24:25], 1.0
	v_fmac_f64_e32 v[24:25], v[24:25], v[10:11]
	v_fma_f64 v[10:11], -v[14:15], v[24:25], 1.0
	v_fmac_f64_e32 v[24:25], v[24:25], v[10:11]
	v_div_scale_f64 v[10:11], vcc, 1.0, v[4:5], 1.0
	v_mul_f64 v[22:23], v[10:11], v[24:25]
	v_fma_f64 v[10:11], -v[14:15], v[22:23], v[10:11]
	s_nop 1
	v_div_fmas_f64 v[10:11], v[10:11], v[24:25], v[22:23]
	v_div_fixup_f64 v[4:5], v[10:11], v[4:5], 1.0
	v_mul_f64 v[10:11], v[2:3], v[12:13]
	v_mul_f64 v[2:3], v[2:3], -v[20:21]
	v_fmac_f64_e32 v[10:11], v[20:21], v[0:1]
	v_fmac_f64_e32 v[2:3], v[12:13], v[0:1]
	v_mul_f64 v[10:11], v[4:5], v[10:11]
	v_mul_f64 v[12:13], v[4:5], v[2:3]
	v_mul_u32_u24_e32 v0, 0x70, v16
	ds_write_b128 v9, v[10:13] offset:1344
	s_waitcnt lgkmcnt(0)
	ds_read_b128 v[0:3], v0 offset:1344
	ds_read_b128 v[20:23], v19
	s_waitcnt lgkmcnt(0)
	v_fmac_f64_e32 v[20:21], v[10:11], v[0:1]
	v_fmac_f64_e32 v[22:23], v[12:13], v[0:1]
	;; [unrolled: 1-line block ×3, first 2 shown]
	v_fma_f64 v[22:23], v[10:11], -v[2:3], v[22:23]
	ds_write_b128 v19, v[20:23]
.LBB64_81:
	s_or_b64 exec, exec, s[4:5]
	v_cmp_eq_u32_e32 vcc, 1, v17
	s_waitcnt lgkmcnt(0)
	s_and_saveexec_b64 s[2:3], vcc
	s_cbranch_execz .LBB64_89
; %bb.82:
	v_mov_b32_e32 v4, 0
	ds_read_b128 v[0:3], v4 offset:2144
	ds_read_b128 v[10:13], v4 offset:1472
	s_waitcnt lgkmcnt(0)
	v_add_f64 v[0:1], v[10:11], -v[0:1]
	v_add_f64 v[4:5], v[12:13], -v[2:3]
	v_xor_b32_e32 v2, 0x80000000, v1
	v_cmp_gt_f64_e32 vcc, 0, v[0:1]
	v_cndmask_b32_e32 v1, v1, v2, vcc
	v_cndmask_b32_e32 v0, v0, v0, vcc
	v_xor_b32_e32 v2, 0x80000000, v5
	v_cmp_gt_f64_e32 vcc, 0, v[4:5]
	v_cndmask_b32_e32 v3, v5, v2, vcc
	v_cndmask_b32_e32 v2, v4, v4, vcc
	v_cmp_gt_f64_e32 vcc, v[0:1], v[2:3]
	s_cbranch_vccnz .LBB64_85
; %bb.83:
	v_cmp_eq_f64_e32 vcc, 0, v[4:5]
	s_mov_b64 s[4:5], 0
	v_pk_mov_b32 v[4:5], 0, 0
	s_cbranch_vccnz .LBB64_86
; %bb.84:
	v_div_scale_f64 v[4:5], s[16:17], v[2:3], v[2:3], v[0:1]
	v_rcp_f64_e32 v[10:11], v[4:5]
	v_div_scale_f64 v[12:13], vcc, v[0:1], v[2:3], v[0:1]
	s_mov_b32 s16, 0
	v_fma_f64 v[14:15], -v[4:5], v[10:11], 1.0
	v_fmac_f64_e32 v[10:11], v[10:11], v[14:15]
	v_fma_f64 v[14:15], -v[4:5], v[10:11], 1.0
	v_fmac_f64_e32 v[10:11], v[10:11], v[14:15]
	v_mul_f64 v[14:15], v[12:13], v[10:11]
	v_fma_f64 v[4:5], -v[4:5], v[14:15], v[12:13]
	v_div_fmas_f64 v[4:5], v[4:5], v[10:11], v[14:15]
	v_div_fixup_f64 v[4:5], v[4:5], v[2:3], v[0:1]
	v_fma_f64 v[4:5], v[4:5], v[4:5], 1.0
	s_brev_b32 s17, 8
	v_cmp_gt_f64_e32 vcc, s[16:17], v[4:5]
	v_cndmask_b32_e64 v9, 0, 1, vcc
	v_lshlrev_b32_e32 v9, 8, v9
	v_ldexp_f64 v[4:5], v[4:5], v9
	v_rsq_f64_e32 v[10:11], v[4:5]
	s_and_b64 s[16:17], vcc, exec
	s_cselect_b32 s16, 0xffffff80, 0
	v_mov_b32_e32 v9, 0x260
	v_mul_f64 v[12:13], v[4:5], v[10:11]
	v_mul_f64 v[10:11], v[10:11], 0.5
	v_fma_f64 v[14:15], -v[10:11], v[12:13], 0.5
	v_fmac_f64_e32 v[12:13], v[12:13], v[14:15]
	v_fma_f64 v[20:21], -v[12:13], v[12:13], v[4:5]
	v_fmac_f64_e32 v[10:11], v[10:11], v[14:15]
	v_fmac_f64_e32 v[12:13], v[20:21], v[10:11]
	v_fma_f64 v[14:15], -v[12:13], v[12:13], v[4:5]
	v_fmac_f64_e32 v[12:13], v[14:15], v[10:11]
	v_ldexp_f64 v[10:11], v[12:13], s16
	v_cmp_class_f64_e32 vcc, v[4:5], v9
	v_cndmask_b32_e32 v5, v11, v5, vcc
	v_cndmask_b32_e32 v4, v10, v4, vcc
	v_mul_f64 v[4:5], v[2:3], v[4:5]
	s_branch .LBB64_86
.LBB64_85:
	s_mov_b64 s[4:5], -1
                                        ; implicit-def: $vgpr4_vgpr5
.LBB64_86:
	s_andn2_b64 vcc, exec, s[4:5]
	s_cbranch_vccnz .LBB64_88
; %bb.87:
	v_div_scale_f64 v[4:5], s[4:5], v[0:1], v[0:1], v[2:3]
	v_rcp_f64_e32 v[10:11], v[4:5]
	v_div_scale_f64 v[12:13], vcc, v[2:3], v[0:1], v[2:3]
	s_mov_b32 s4, 0
	v_fma_f64 v[14:15], -v[4:5], v[10:11], 1.0
	v_fmac_f64_e32 v[10:11], v[10:11], v[14:15]
	v_fma_f64 v[14:15], -v[4:5], v[10:11], 1.0
	v_fmac_f64_e32 v[10:11], v[10:11], v[14:15]
	v_mul_f64 v[14:15], v[12:13], v[10:11]
	v_fma_f64 v[4:5], -v[4:5], v[14:15], v[12:13]
	v_div_fmas_f64 v[4:5], v[4:5], v[10:11], v[14:15]
	v_div_fixup_f64 v[2:3], v[4:5], v[0:1], v[2:3]
	v_fma_f64 v[2:3], v[2:3], v[2:3], 1.0
	s_brev_b32 s5, 8
	v_cmp_gt_f64_e32 vcc, s[4:5], v[2:3]
	v_cndmask_b32_e64 v4, 0, 1, vcc
	v_lshlrev_b32_e32 v4, 8, v4
	v_ldexp_f64 v[2:3], v[2:3], v4
	v_rsq_f64_e32 v[4:5], v[2:3]
	s_and_b64 s[4:5], vcc, exec
	s_cselect_b32 s4, 0xffffff80, 0
	v_mov_b32_e32 v9, 0x260
	v_mul_f64 v[10:11], v[2:3], v[4:5]
	v_mul_f64 v[4:5], v[4:5], 0.5
	v_fma_f64 v[12:13], -v[4:5], v[10:11], 0.5
	v_fmac_f64_e32 v[10:11], v[10:11], v[12:13]
	v_fma_f64 v[14:15], -v[10:11], v[10:11], v[2:3]
	v_fmac_f64_e32 v[4:5], v[4:5], v[12:13]
	v_fmac_f64_e32 v[10:11], v[14:15], v[4:5]
	v_fma_f64 v[12:13], -v[10:11], v[10:11], v[2:3]
	v_fmac_f64_e32 v[10:11], v[12:13], v[4:5]
	v_ldexp_f64 v[4:5], v[10:11], s4
	v_cmp_class_f64_e32 vcc, v[2:3], v9
	v_cndmask_b32_e32 v3, v5, v3, vcc
	v_cndmask_b32_e32 v2, v4, v2, vcc
	v_mul_f64 v[4:5], v[0:1], v[2:3]
.LBB64_88:
	s_mov_b32 s4, 0
	s_brev_b32 s5, 8
	v_cmp_gt_f64_e32 vcc, s[4:5], v[4:5]
	v_cndmask_b32_e64 v0, 0, 1, vcc
	v_lshlrev_b32_e32 v0, 8, v0
	v_ldexp_f64 v[0:1], v[4:5], v0
	v_rsq_f64_e32 v[2:3], v[0:1]
	s_and_b64 s[4:5], vcc, exec
	s_cselect_b32 s4, 0xffffff80, 0
	v_mul_f64 v[4:5], v[0:1], v[2:3]
	v_mul_f64 v[2:3], v[2:3], 0.5
	v_fma_f64 v[10:11], -v[2:3], v[4:5], 0.5
	v_fmac_f64_e32 v[4:5], v[4:5], v[10:11]
	v_fma_f64 v[12:13], -v[4:5], v[4:5], v[0:1]
	v_fmac_f64_e32 v[2:3], v[2:3], v[10:11]
	v_fmac_f64_e32 v[4:5], v[12:13], v[2:3]
	v_fma_f64 v[10:11], -v[4:5], v[4:5], v[0:1]
	v_fmac_f64_e32 v[4:5], v[10:11], v[2:3]
	v_ldexp_f64 v[2:3], v[4:5], s4
	v_mov_b32_e32 v4, 0x260
	v_cmp_class_f64_e32 vcc, v[0:1], v4
	v_cndmask_b32_e32 v0, v2, v0, vcc
	v_mov_b32_e32 v2, 0
	v_cndmask_b32_e32 v1, v3, v1, vcc
	v_mov_b32_e32 v3, v2
	ds_write_b128 v2, v[0:3] offset:1472
.LBB64_89:
	s_or_b64 exec, exec, s[2:3]
	v_mov_b32_e32 v0, 0
	s_waitcnt lgkmcnt(0)
	ds_read_b128 v[0:3], v0 offset:1472
	v_mov_b32_e32 v4, 0x3ff00000
	s_waitcnt lgkmcnt(0)
	v_cmp_neq_f64_e32 vcc, 0, v[0:1]
	v_cmp_neq_f64_e64 s[2:3], 0, v[2:3]
	s_or_b64 vcc, vcc, s[2:3]
	s_or_b64 s[2:3], vcc, s[0:1]
	v_cndmask_b32_e32 v1, v4, v1, vcc
	s_xor_b64 s[4:5], s[2:3], -1
	v_cndmask_b32_e32 v0, 0, v0, vcc
	v_cndmask_b32_e32 v3, 0, v3, vcc
	;; [unrolled: 1-line block ×3, first 2 shown]
	s_and_saveexec_b64 s[2:3], s[4:5]
	s_cbranch_execz .LBB64_93
; %bb.90:
	v_mbcnt_lo_u32_b32 v0, exec_lo, 0
	v_mbcnt_hi_u32_b32 v0, exec_hi, v0
	v_cmp_eq_u32_e32 vcc, 0, v0
	s_and_saveexec_b64 s[4:5], vcc
	s_cbranch_execz .LBB64_92
; %bb.91:
	v_mov_b32_e32 v0, 0
	v_mov_b32_e32 v1, s18
	global_atomic_smin v0, v1, s[14:15]
.LBB64_92:
	s_or_b64 exec, exec, s[4:5]
	v_mov_b32_e32 v0, 0
	v_mov_b32_e32 v1, 0x3ff00000
	v_pk_mov_b32 v[2:3], 0, 0
.LBB64_93:
	s_or_b64 exec, exec, s[2:3]
	v_cmp_lt_u32_e32 vcc, 1, v17
	s_and_saveexec_b64 s[2:3], vcc
	s_cbranch_execz .LBB64_95
; %bb.94:
	v_mul_f64 v[4:5], v[2:3], v[2:3]
	v_mul_u32_u24_e32 v9, 0x70, v17
	v_fmac_f64_e32 v[4:5], v[0:1], v[0:1]
	ds_read_b128 v[10:13], v9 offset:1360
	ds_read_b128 v[20:23], v9 offset:2032
	v_div_scale_f64 v[14:15], s[4:5], v[4:5], v[4:5], 1.0
	v_rcp_f64_e32 v[24:25], v[14:15]
	s_waitcnt lgkmcnt(0)
	v_add_f64 v[20:21], v[10:11], -v[20:21]
	v_add_f64 v[12:13], v[12:13], -v[22:23]
	v_fma_f64 v[10:11], -v[14:15], v[24:25], 1.0
	v_fmac_f64_e32 v[24:25], v[24:25], v[10:11]
	v_fma_f64 v[10:11], -v[14:15], v[24:25], 1.0
	v_fmac_f64_e32 v[24:25], v[24:25], v[10:11]
	v_div_scale_f64 v[10:11], vcc, 1.0, v[4:5], 1.0
	v_mul_f64 v[22:23], v[10:11], v[24:25]
	v_fma_f64 v[10:11], -v[14:15], v[22:23], v[10:11]
	s_nop 1
	v_div_fmas_f64 v[10:11], v[10:11], v[24:25], v[22:23]
	v_div_fixup_f64 v[4:5], v[10:11], v[4:5], 1.0
	v_mul_f64 v[10:11], v[2:3], v[12:13]
	v_mul_f64 v[2:3], v[2:3], -v[20:21]
	v_fmac_f64_e32 v[10:11], v[20:21], v[0:1]
	v_fmac_f64_e32 v[2:3], v[12:13], v[0:1]
	v_mul_f64 v[10:11], v[4:5], v[10:11]
	v_mul_f64 v[12:13], v[4:5], v[2:3]
	v_mul_u32_u24_e32 v0, 0x70, v16
	ds_write_b128 v9, v[10:13] offset:1360
	s_waitcnt lgkmcnt(0)
	ds_read_b128 v[0:3], v0 offset:1360
	ds_read_b128 v[20:23], v19
	s_waitcnt lgkmcnt(0)
	v_fmac_f64_e32 v[20:21], v[10:11], v[0:1]
	v_fmac_f64_e32 v[22:23], v[12:13], v[0:1]
	;; [unrolled: 1-line block ×3, first 2 shown]
	v_fma_f64 v[22:23], v[10:11], -v[2:3], v[22:23]
	ds_write_b128 v19, v[20:23]
.LBB64_95:
	s_or_b64 exec, exec, s[2:3]
	v_cmp_eq_u32_e32 vcc, 2, v17
	s_waitcnt lgkmcnt(0)
	s_and_saveexec_b64 s[2:3], vcc
	s_cbranch_execz .LBB64_103
; %bb.96:
	v_mov_b32_e32 v4, 0
	ds_read_b128 v[0:3], v4 offset:2272
	ds_read_b128 v[10:13], v4 offset:1600
	s_waitcnt lgkmcnt(0)
	v_add_f64 v[0:1], v[10:11], -v[0:1]
	v_add_f64 v[4:5], v[12:13], -v[2:3]
	v_xor_b32_e32 v2, 0x80000000, v1
	v_cmp_gt_f64_e32 vcc, 0, v[0:1]
	v_cndmask_b32_e32 v1, v1, v2, vcc
	v_cndmask_b32_e32 v0, v0, v0, vcc
	v_xor_b32_e32 v2, 0x80000000, v5
	v_cmp_gt_f64_e32 vcc, 0, v[4:5]
	v_cndmask_b32_e32 v3, v5, v2, vcc
	v_cndmask_b32_e32 v2, v4, v4, vcc
	v_cmp_gt_f64_e32 vcc, v[0:1], v[2:3]
	s_cbranch_vccnz .LBB64_99
; %bb.97:
	v_cmp_eq_f64_e32 vcc, 0, v[4:5]
	s_mov_b64 s[4:5], 0
	v_pk_mov_b32 v[4:5], 0, 0
	s_cbranch_vccnz .LBB64_100
; %bb.98:
	v_div_scale_f64 v[4:5], s[16:17], v[2:3], v[2:3], v[0:1]
	v_rcp_f64_e32 v[10:11], v[4:5]
	v_div_scale_f64 v[12:13], vcc, v[0:1], v[2:3], v[0:1]
	s_mov_b32 s16, 0
	v_fma_f64 v[14:15], -v[4:5], v[10:11], 1.0
	v_fmac_f64_e32 v[10:11], v[10:11], v[14:15]
	v_fma_f64 v[14:15], -v[4:5], v[10:11], 1.0
	v_fmac_f64_e32 v[10:11], v[10:11], v[14:15]
	v_mul_f64 v[14:15], v[12:13], v[10:11]
	v_fma_f64 v[4:5], -v[4:5], v[14:15], v[12:13]
	v_div_fmas_f64 v[4:5], v[4:5], v[10:11], v[14:15]
	v_div_fixup_f64 v[4:5], v[4:5], v[2:3], v[0:1]
	v_fma_f64 v[4:5], v[4:5], v[4:5], 1.0
	s_brev_b32 s17, 8
	v_cmp_gt_f64_e32 vcc, s[16:17], v[4:5]
	v_cndmask_b32_e64 v9, 0, 1, vcc
	v_lshlrev_b32_e32 v9, 8, v9
	v_ldexp_f64 v[4:5], v[4:5], v9
	v_rsq_f64_e32 v[10:11], v[4:5]
	s_and_b64 s[16:17], vcc, exec
	s_cselect_b32 s16, 0xffffff80, 0
	v_mov_b32_e32 v9, 0x260
	v_mul_f64 v[12:13], v[4:5], v[10:11]
	v_mul_f64 v[10:11], v[10:11], 0.5
	v_fma_f64 v[14:15], -v[10:11], v[12:13], 0.5
	v_fmac_f64_e32 v[12:13], v[12:13], v[14:15]
	v_fma_f64 v[20:21], -v[12:13], v[12:13], v[4:5]
	v_fmac_f64_e32 v[10:11], v[10:11], v[14:15]
	v_fmac_f64_e32 v[12:13], v[20:21], v[10:11]
	v_fma_f64 v[14:15], -v[12:13], v[12:13], v[4:5]
	v_fmac_f64_e32 v[12:13], v[14:15], v[10:11]
	v_ldexp_f64 v[10:11], v[12:13], s16
	v_cmp_class_f64_e32 vcc, v[4:5], v9
	v_cndmask_b32_e32 v5, v11, v5, vcc
	v_cndmask_b32_e32 v4, v10, v4, vcc
	v_mul_f64 v[4:5], v[2:3], v[4:5]
	s_branch .LBB64_100
.LBB64_99:
	s_mov_b64 s[4:5], -1
                                        ; implicit-def: $vgpr4_vgpr5
.LBB64_100:
	s_andn2_b64 vcc, exec, s[4:5]
	s_cbranch_vccnz .LBB64_102
; %bb.101:
	v_div_scale_f64 v[4:5], s[4:5], v[0:1], v[0:1], v[2:3]
	v_rcp_f64_e32 v[10:11], v[4:5]
	v_div_scale_f64 v[12:13], vcc, v[2:3], v[0:1], v[2:3]
	s_mov_b32 s4, 0
	v_fma_f64 v[14:15], -v[4:5], v[10:11], 1.0
	v_fmac_f64_e32 v[10:11], v[10:11], v[14:15]
	v_fma_f64 v[14:15], -v[4:5], v[10:11], 1.0
	v_fmac_f64_e32 v[10:11], v[10:11], v[14:15]
	v_mul_f64 v[14:15], v[12:13], v[10:11]
	v_fma_f64 v[4:5], -v[4:5], v[14:15], v[12:13]
	v_div_fmas_f64 v[4:5], v[4:5], v[10:11], v[14:15]
	v_div_fixup_f64 v[2:3], v[4:5], v[0:1], v[2:3]
	v_fma_f64 v[2:3], v[2:3], v[2:3], 1.0
	s_brev_b32 s5, 8
	v_cmp_gt_f64_e32 vcc, s[4:5], v[2:3]
	v_cndmask_b32_e64 v4, 0, 1, vcc
	v_lshlrev_b32_e32 v4, 8, v4
	v_ldexp_f64 v[2:3], v[2:3], v4
	v_rsq_f64_e32 v[4:5], v[2:3]
	s_and_b64 s[4:5], vcc, exec
	s_cselect_b32 s4, 0xffffff80, 0
	v_mov_b32_e32 v9, 0x260
	v_mul_f64 v[10:11], v[2:3], v[4:5]
	v_mul_f64 v[4:5], v[4:5], 0.5
	v_fma_f64 v[12:13], -v[4:5], v[10:11], 0.5
	v_fmac_f64_e32 v[10:11], v[10:11], v[12:13]
	v_fma_f64 v[14:15], -v[10:11], v[10:11], v[2:3]
	v_fmac_f64_e32 v[4:5], v[4:5], v[12:13]
	v_fmac_f64_e32 v[10:11], v[14:15], v[4:5]
	v_fma_f64 v[12:13], -v[10:11], v[10:11], v[2:3]
	v_fmac_f64_e32 v[10:11], v[12:13], v[4:5]
	v_ldexp_f64 v[4:5], v[10:11], s4
	v_cmp_class_f64_e32 vcc, v[2:3], v9
	v_cndmask_b32_e32 v3, v5, v3, vcc
	v_cndmask_b32_e32 v2, v4, v2, vcc
	v_mul_f64 v[4:5], v[0:1], v[2:3]
.LBB64_102:
	s_mov_b32 s4, 0
	s_brev_b32 s5, 8
	v_cmp_gt_f64_e32 vcc, s[4:5], v[4:5]
	v_cndmask_b32_e64 v0, 0, 1, vcc
	v_lshlrev_b32_e32 v0, 8, v0
	v_ldexp_f64 v[0:1], v[4:5], v0
	v_rsq_f64_e32 v[2:3], v[0:1]
	s_and_b64 s[4:5], vcc, exec
	s_cselect_b32 s4, 0xffffff80, 0
	v_mul_f64 v[4:5], v[0:1], v[2:3]
	v_mul_f64 v[2:3], v[2:3], 0.5
	v_fma_f64 v[10:11], -v[2:3], v[4:5], 0.5
	v_fmac_f64_e32 v[4:5], v[4:5], v[10:11]
	v_fma_f64 v[12:13], -v[4:5], v[4:5], v[0:1]
	v_fmac_f64_e32 v[2:3], v[2:3], v[10:11]
	v_fmac_f64_e32 v[4:5], v[12:13], v[2:3]
	v_fma_f64 v[10:11], -v[4:5], v[4:5], v[0:1]
	v_fmac_f64_e32 v[4:5], v[10:11], v[2:3]
	v_ldexp_f64 v[2:3], v[4:5], s4
	v_mov_b32_e32 v4, 0x260
	v_cmp_class_f64_e32 vcc, v[0:1], v4
	v_cndmask_b32_e32 v0, v2, v0, vcc
	v_mov_b32_e32 v2, 0
	v_cndmask_b32_e32 v1, v3, v1, vcc
	v_mov_b32_e32 v3, v2
	ds_write_b128 v2, v[0:3] offset:1600
.LBB64_103:
	s_or_b64 exec, exec, s[2:3]
	v_mov_b32_e32 v0, 0
	s_waitcnt lgkmcnt(0)
	ds_read_b128 v[0:3], v0 offset:1600
	v_mov_b32_e32 v4, 0x3ff00000
	s_waitcnt lgkmcnt(0)
	v_cmp_neq_f64_e32 vcc, 0, v[0:1]
	v_cmp_neq_f64_e64 s[2:3], 0, v[2:3]
	s_or_b64 vcc, vcc, s[2:3]
	s_or_b64 s[2:3], vcc, s[0:1]
	v_cndmask_b32_e32 v1, v4, v1, vcc
	s_xor_b64 s[4:5], s[2:3], -1
	v_cndmask_b32_e32 v0, 0, v0, vcc
	v_cndmask_b32_e32 v3, 0, v3, vcc
	;; [unrolled: 1-line block ×3, first 2 shown]
	s_and_saveexec_b64 s[2:3], s[4:5]
	s_cbranch_execz .LBB64_107
; %bb.104:
	v_mbcnt_lo_u32_b32 v0, exec_lo, 0
	v_mbcnt_hi_u32_b32 v0, exec_hi, v0
	v_cmp_eq_u32_e32 vcc, 0, v0
	s_and_saveexec_b64 s[4:5], vcc
	s_cbranch_execz .LBB64_106
; %bb.105:
	v_mov_b32_e32 v0, 0
	v_mov_b32_e32 v1, s18
	global_atomic_smin v0, v1, s[14:15]
.LBB64_106:
	s_or_b64 exec, exec, s[4:5]
	v_mov_b32_e32 v0, 0
	v_mov_b32_e32 v1, 0x3ff00000
	v_pk_mov_b32 v[2:3], 0, 0
.LBB64_107:
	s_or_b64 exec, exec, s[2:3]
	v_cmp_lt_u32_e32 vcc, 2, v17
	s_and_saveexec_b64 s[2:3], vcc
	s_cbranch_execz .LBB64_109
; %bb.108:
	v_mul_f64 v[4:5], v[2:3], v[2:3]
	v_mul_u32_u24_e32 v9, 0x70, v17
	v_fmac_f64_e32 v[4:5], v[0:1], v[0:1]
	ds_read_b128 v[10:13], v9 offset:1376
	ds_read_b128 v[20:23], v9 offset:2048
	v_div_scale_f64 v[14:15], s[4:5], v[4:5], v[4:5], 1.0
	v_rcp_f64_e32 v[24:25], v[14:15]
	s_waitcnt lgkmcnt(0)
	v_add_f64 v[20:21], v[10:11], -v[20:21]
	v_add_f64 v[12:13], v[12:13], -v[22:23]
	v_fma_f64 v[10:11], -v[14:15], v[24:25], 1.0
	v_fmac_f64_e32 v[24:25], v[24:25], v[10:11]
	v_fma_f64 v[10:11], -v[14:15], v[24:25], 1.0
	v_fmac_f64_e32 v[24:25], v[24:25], v[10:11]
	v_div_scale_f64 v[10:11], vcc, 1.0, v[4:5], 1.0
	v_mul_f64 v[22:23], v[10:11], v[24:25]
	v_fma_f64 v[10:11], -v[14:15], v[22:23], v[10:11]
	s_nop 1
	v_div_fmas_f64 v[10:11], v[10:11], v[24:25], v[22:23]
	v_div_fixup_f64 v[4:5], v[10:11], v[4:5], 1.0
	v_mul_f64 v[10:11], v[2:3], v[12:13]
	v_mul_f64 v[2:3], v[2:3], -v[20:21]
	v_fmac_f64_e32 v[10:11], v[20:21], v[0:1]
	v_fmac_f64_e32 v[2:3], v[12:13], v[0:1]
	v_mul_f64 v[10:11], v[4:5], v[10:11]
	v_mul_f64 v[12:13], v[4:5], v[2:3]
	v_mul_u32_u24_e32 v0, 0x70, v16
	ds_write_b128 v9, v[10:13] offset:1376
	s_waitcnt lgkmcnt(0)
	ds_read_b128 v[0:3], v0 offset:1376
	ds_read_b128 v[20:23], v19
	s_waitcnt lgkmcnt(0)
	v_fmac_f64_e32 v[20:21], v[10:11], v[0:1]
	v_fmac_f64_e32 v[22:23], v[12:13], v[0:1]
	;; [unrolled: 1-line block ×3, first 2 shown]
	v_fma_f64 v[22:23], v[10:11], -v[2:3], v[22:23]
	ds_write_b128 v19, v[20:23]
.LBB64_109:
	s_or_b64 exec, exec, s[2:3]
	v_cmp_eq_u32_e32 vcc, 3, v17
	s_waitcnt lgkmcnt(0)
	s_and_saveexec_b64 s[2:3], vcc
	s_cbranch_execz .LBB64_117
; %bb.110:
	v_mov_b32_e32 v4, 0
	ds_read_b128 v[0:3], v4 offset:2400
	ds_read_b128 v[10:13], v4 offset:1728
	s_waitcnt lgkmcnt(0)
	v_add_f64 v[0:1], v[10:11], -v[0:1]
	v_add_f64 v[4:5], v[12:13], -v[2:3]
	v_xor_b32_e32 v2, 0x80000000, v1
	v_cmp_gt_f64_e32 vcc, 0, v[0:1]
	v_cndmask_b32_e32 v1, v1, v2, vcc
	v_cndmask_b32_e32 v0, v0, v0, vcc
	v_xor_b32_e32 v2, 0x80000000, v5
	v_cmp_gt_f64_e32 vcc, 0, v[4:5]
	v_cndmask_b32_e32 v3, v5, v2, vcc
	v_cndmask_b32_e32 v2, v4, v4, vcc
	v_cmp_gt_f64_e32 vcc, v[0:1], v[2:3]
	s_cbranch_vccnz .LBB64_113
; %bb.111:
	v_cmp_eq_f64_e32 vcc, 0, v[4:5]
	s_mov_b64 s[4:5], 0
	v_pk_mov_b32 v[4:5], 0, 0
	s_cbranch_vccnz .LBB64_114
; %bb.112:
	v_div_scale_f64 v[4:5], s[16:17], v[2:3], v[2:3], v[0:1]
	v_rcp_f64_e32 v[10:11], v[4:5]
	v_div_scale_f64 v[12:13], vcc, v[0:1], v[2:3], v[0:1]
	s_mov_b32 s16, 0
	v_fma_f64 v[14:15], -v[4:5], v[10:11], 1.0
	v_fmac_f64_e32 v[10:11], v[10:11], v[14:15]
	v_fma_f64 v[14:15], -v[4:5], v[10:11], 1.0
	v_fmac_f64_e32 v[10:11], v[10:11], v[14:15]
	v_mul_f64 v[14:15], v[12:13], v[10:11]
	v_fma_f64 v[4:5], -v[4:5], v[14:15], v[12:13]
	v_div_fmas_f64 v[4:5], v[4:5], v[10:11], v[14:15]
	v_div_fixup_f64 v[4:5], v[4:5], v[2:3], v[0:1]
	v_fma_f64 v[4:5], v[4:5], v[4:5], 1.0
	s_brev_b32 s17, 8
	v_cmp_gt_f64_e32 vcc, s[16:17], v[4:5]
	v_cndmask_b32_e64 v9, 0, 1, vcc
	v_lshlrev_b32_e32 v9, 8, v9
	v_ldexp_f64 v[4:5], v[4:5], v9
	v_rsq_f64_e32 v[10:11], v[4:5]
	s_and_b64 s[16:17], vcc, exec
	s_cselect_b32 s16, 0xffffff80, 0
	v_mov_b32_e32 v9, 0x260
	v_mul_f64 v[12:13], v[4:5], v[10:11]
	v_mul_f64 v[10:11], v[10:11], 0.5
	v_fma_f64 v[14:15], -v[10:11], v[12:13], 0.5
	v_fmac_f64_e32 v[12:13], v[12:13], v[14:15]
	v_fma_f64 v[20:21], -v[12:13], v[12:13], v[4:5]
	v_fmac_f64_e32 v[10:11], v[10:11], v[14:15]
	v_fmac_f64_e32 v[12:13], v[20:21], v[10:11]
	v_fma_f64 v[14:15], -v[12:13], v[12:13], v[4:5]
	v_fmac_f64_e32 v[12:13], v[14:15], v[10:11]
	v_ldexp_f64 v[10:11], v[12:13], s16
	v_cmp_class_f64_e32 vcc, v[4:5], v9
	v_cndmask_b32_e32 v5, v11, v5, vcc
	v_cndmask_b32_e32 v4, v10, v4, vcc
	v_mul_f64 v[4:5], v[2:3], v[4:5]
	s_branch .LBB64_114
.LBB64_113:
	s_mov_b64 s[4:5], -1
                                        ; implicit-def: $vgpr4_vgpr5
.LBB64_114:
	s_andn2_b64 vcc, exec, s[4:5]
	s_cbranch_vccnz .LBB64_116
; %bb.115:
	v_div_scale_f64 v[4:5], s[4:5], v[0:1], v[0:1], v[2:3]
	v_rcp_f64_e32 v[10:11], v[4:5]
	v_div_scale_f64 v[12:13], vcc, v[2:3], v[0:1], v[2:3]
	s_mov_b32 s4, 0
	v_fma_f64 v[14:15], -v[4:5], v[10:11], 1.0
	v_fmac_f64_e32 v[10:11], v[10:11], v[14:15]
	v_fma_f64 v[14:15], -v[4:5], v[10:11], 1.0
	v_fmac_f64_e32 v[10:11], v[10:11], v[14:15]
	v_mul_f64 v[14:15], v[12:13], v[10:11]
	v_fma_f64 v[4:5], -v[4:5], v[14:15], v[12:13]
	v_div_fmas_f64 v[4:5], v[4:5], v[10:11], v[14:15]
	v_div_fixup_f64 v[2:3], v[4:5], v[0:1], v[2:3]
	v_fma_f64 v[2:3], v[2:3], v[2:3], 1.0
	s_brev_b32 s5, 8
	v_cmp_gt_f64_e32 vcc, s[4:5], v[2:3]
	v_cndmask_b32_e64 v4, 0, 1, vcc
	v_lshlrev_b32_e32 v4, 8, v4
	v_ldexp_f64 v[2:3], v[2:3], v4
	v_rsq_f64_e32 v[4:5], v[2:3]
	s_and_b64 s[4:5], vcc, exec
	s_cselect_b32 s4, 0xffffff80, 0
	v_mov_b32_e32 v9, 0x260
	v_mul_f64 v[10:11], v[2:3], v[4:5]
	v_mul_f64 v[4:5], v[4:5], 0.5
	v_fma_f64 v[12:13], -v[4:5], v[10:11], 0.5
	v_fmac_f64_e32 v[10:11], v[10:11], v[12:13]
	v_fma_f64 v[14:15], -v[10:11], v[10:11], v[2:3]
	v_fmac_f64_e32 v[4:5], v[4:5], v[12:13]
	v_fmac_f64_e32 v[10:11], v[14:15], v[4:5]
	v_fma_f64 v[12:13], -v[10:11], v[10:11], v[2:3]
	v_fmac_f64_e32 v[10:11], v[12:13], v[4:5]
	v_ldexp_f64 v[4:5], v[10:11], s4
	v_cmp_class_f64_e32 vcc, v[2:3], v9
	v_cndmask_b32_e32 v3, v5, v3, vcc
	v_cndmask_b32_e32 v2, v4, v2, vcc
	v_mul_f64 v[4:5], v[0:1], v[2:3]
.LBB64_116:
	s_mov_b32 s4, 0
	s_brev_b32 s5, 8
	v_cmp_gt_f64_e32 vcc, s[4:5], v[4:5]
	v_cndmask_b32_e64 v0, 0, 1, vcc
	v_lshlrev_b32_e32 v0, 8, v0
	v_ldexp_f64 v[0:1], v[4:5], v0
	v_rsq_f64_e32 v[2:3], v[0:1]
	s_and_b64 s[4:5], vcc, exec
	s_cselect_b32 s4, 0xffffff80, 0
	v_mul_f64 v[4:5], v[0:1], v[2:3]
	v_mul_f64 v[2:3], v[2:3], 0.5
	v_fma_f64 v[10:11], -v[2:3], v[4:5], 0.5
	v_fmac_f64_e32 v[4:5], v[4:5], v[10:11]
	v_fma_f64 v[12:13], -v[4:5], v[4:5], v[0:1]
	v_fmac_f64_e32 v[2:3], v[2:3], v[10:11]
	v_fmac_f64_e32 v[4:5], v[12:13], v[2:3]
	v_fma_f64 v[10:11], -v[4:5], v[4:5], v[0:1]
	v_fmac_f64_e32 v[4:5], v[10:11], v[2:3]
	v_ldexp_f64 v[2:3], v[4:5], s4
	v_mov_b32_e32 v4, 0x260
	v_cmp_class_f64_e32 vcc, v[0:1], v4
	v_cndmask_b32_e32 v0, v2, v0, vcc
	v_mov_b32_e32 v2, 0
	v_cndmask_b32_e32 v1, v3, v1, vcc
	v_mov_b32_e32 v3, v2
	ds_write_b128 v2, v[0:3] offset:1728
.LBB64_117:
	s_or_b64 exec, exec, s[2:3]
	v_mov_b32_e32 v0, 0
	s_waitcnt lgkmcnt(0)
	ds_read_b128 v[0:3], v0 offset:1728
	v_mov_b32_e32 v4, 0x3ff00000
	s_waitcnt lgkmcnt(0)
	v_cmp_neq_f64_e32 vcc, 0, v[0:1]
	v_cmp_neq_f64_e64 s[2:3], 0, v[2:3]
	s_or_b64 vcc, vcc, s[2:3]
	s_or_b64 s[2:3], vcc, s[0:1]
	v_cndmask_b32_e32 v1, v4, v1, vcc
	s_xor_b64 s[4:5], s[2:3], -1
	v_cndmask_b32_e32 v0, 0, v0, vcc
	v_cndmask_b32_e32 v3, 0, v3, vcc
	;; [unrolled: 1-line block ×3, first 2 shown]
	s_and_saveexec_b64 s[2:3], s[4:5]
	s_cbranch_execz .LBB64_121
; %bb.118:
	v_mbcnt_lo_u32_b32 v0, exec_lo, 0
	v_mbcnt_hi_u32_b32 v0, exec_hi, v0
	v_cmp_eq_u32_e32 vcc, 0, v0
	s_and_saveexec_b64 s[4:5], vcc
	s_cbranch_execz .LBB64_120
; %bb.119:
	v_mov_b32_e32 v0, 0
	v_mov_b32_e32 v1, s18
	global_atomic_smin v0, v1, s[14:15]
.LBB64_120:
	s_or_b64 exec, exec, s[4:5]
	v_mov_b32_e32 v0, 0
	v_mov_b32_e32 v1, 0x3ff00000
	v_pk_mov_b32 v[2:3], 0, 0
.LBB64_121:
	s_or_b64 exec, exec, s[2:3]
	v_cmp_lt_u32_e32 vcc, 3, v17
	s_and_saveexec_b64 s[2:3], vcc
	s_cbranch_execz .LBB64_123
; %bb.122:
	v_mul_f64 v[4:5], v[2:3], v[2:3]
	v_mul_u32_u24_e32 v9, 0x70, v17
	v_fmac_f64_e32 v[4:5], v[0:1], v[0:1]
	ds_read_b128 v[10:13], v9 offset:1392
	ds_read_b128 v[20:23], v9 offset:2064
	v_div_scale_f64 v[14:15], s[4:5], v[4:5], v[4:5], 1.0
	v_rcp_f64_e32 v[24:25], v[14:15]
	s_waitcnt lgkmcnt(0)
	v_add_f64 v[20:21], v[10:11], -v[20:21]
	v_add_f64 v[12:13], v[12:13], -v[22:23]
	v_fma_f64 v[10:11], -v[14:15], v[24:25], 1.0
	v_fmac_f64_e32 v[24:25], v[24:25], v[10:11]
	v_fma_f64 v[10:11], -v[14:15], v[24:25], 1.0
	v_fmac_f64_e32 v[24:25], v[24:25], v[10:11]
	v_div_scale_f64 v[10:11], vcc, 1.0, v[4:5], 1.0
	v_mul_f64 v[22:23], v[10:11], v[24:25]
	v_fma_f64 v[10:11], -v[14:15], v[22:23], v[10:11]
	s_nop 1
	v_div_fmas_f64 v[10:11], v[10:11], v[24:25], v[22:23]
	v_div_fixup_f64 v[4:5], v[10:11], v[4:5], 1.0
	v_mul_f64 v[10:11], v[2:3], v[12:13]
	v_mul_f64 v[2:3], v[2:3], -v[20:21]
	v_fmac_f64_e32 v[10:11], v[20:21], v[0:1]
	v_fmac_f64_e32 v[2:3], v[12:13], v[0:1]
	v_mul_f64 v[10:11], v[4:5], v[10:11]
	v_mul_f64 v[12:13], v[4:5], v[2:3]
	v_mul_u32_u24_e32 v0, 0x70, v16
	ds_write_b128 v9, v[10:13] offset:1392
	s_waitcnt lgkmcnt(0)
	ds_read_b128 v[0:3], v0 offset:1392
	ds_read_b128 v[20:23], v19
	s_waitcnt lgkmcnt(0)
	v_fmac_f64_e32 v[20:21], v[10:11], v[0:1]
	v_fmac_f64_e32 v[22:23], v[12:13], v[0:1]
	;; [unrolled: 1-line block ×3, first 2 shown]
	v_fma_f64 v[22:23], v[10:11], -v[2:3], v[22:23]
	ds_write_b128 v19, v[20:23]
.LBB64_123:
	s_or_b64 exec, exec, s[2:3]
	v_cmp_eq_u32_e32 vcc, 4, v17
	s_waitcnt lgkmcnt(0)
	s_and_saveexec_b64 s[2:3], vcc
	s_cbranch_execz .LBB64_131
; %bb.124:
	v_mov_b32_e32 v4, 0
	ds_read_b128 v[0:3], v4 offset:2528
	ds_read_b128 v[10:13], v4 offset:1856
	s_waitcnt lgkmcnt(0)
	v_add_f64 v[0:1], v[10:11], -v[0:1]
	v_add_f64 v[4:5], v[12:13], -v[2:3]
	v_xor_b32_e32 v2, 0x80000000, v1
	v_cmp_gt_f64_e32 vcc, 0, v[0:1]
	v_cndmask_b32_e32 v1, v1, v2, vcc
	v_cndmask_b32_e32 v0, v0, v0, vcc
	v_xor_b32_e32 v2, 0x80000000, v5
	v_cmp_gt_f64_e32 vcc, 0, v[4:5]
	v_cndmask_b32_e32 v3, v5, v2, vcc
	v_cndmask_b32_e32 v2, v4, v4, vcc
	v_cmp_gt_f64_e32 vcc, v[0:1], v[2:3]
	s_cbranch_vccnz .LBB64_127
; %bb.125:
	v_cmp_eq_f64_e32 vcc, 0, v[4:5]
	s_mov_b64 s[4:5], 0
	v_pk_mov_b32 v[4:5], 0, 0
	s_cbranch_vccnz .LBB64_128
; %bb.126:
	v_div_scale_f64 v[4:5], s[16:17], v[2:3], v[2:3], v[0:1]
	v_rcp_f64_e32 v[10:11], v[4:5]
	v_div_scale_f64 v[12:13], vcc, v[0:1], v[2:3], v[0:1]
	s_mov_b32 s16, 0
	v_fma_f64 v[14:15], -v[4:5], v[10:11], 1.0
	v_fmac_f64_e32 v[10:11], v[10:11], v[14:15]
	v_fma_f64 v[14:15], -v[4:5], v[10:11], 1.0
	v_fmac_f64_e32 v[10:11], v[10:11], v[14:15]
	v_mul_f64 v[14:15], v[12:13], v[10:11]
	v_fma_f64 v[4:5], -v[4:5], v[14:15], v[12:13]
	v_div_fmas_f64 v[4:5], v[4:5], v[10:11], v[14:15]
	v_div_fixup_f64 v[4:5], v[4:5], v[2:3], v[0:1]
	v_fma_f64 v[4:5], v[4:5], v[4:5], 1.0
	s_brev_b32 s17, 8
	v_cmp_gt_f64_e32 vcc, s[16:17], v[4:5]
	v_cndmask_b32_e64 v9, 0, 1, vcc
	v_lshlrev_b32_e32 v9, 8, v9
	v_ldexp_f64 v[4:5], v[4:5], v9
	v_rsq_f64_e32 v[10:11], v[4:5]
	s_and_b64 s[16:17], vcc, exec
	s_cselect_b32 s16, 0xffffff80, 0
	v_mov_b32_e32 v9, 0x260
	v_mul_f64 v[12:13], v[4:5], v[10:11]
	v_mul_f64 v[10:11], v[10:11], 0.5
	v_fma_f64 v[14:15], -v[10:11], v[12:13], 0.5
	v_fmac_f64_e32 v[12:13], v[12:13], v[14:15]
	v_fma_f64 v[20:21], -v[12:13], v[12:13], v[4:5]
	v_fmac_f64_e32 v[10:11], v[10:11], v[14:15]
	v_fmac_f64_e32 v[12:13], v[20:21], v[10:11]
	v_fma_f64 v[14:15], -v[12:13], v[12:13], v[4:5]
	v_fmac_f64_e32 v[12:13], v[14:15], v[10:11]
	v_ldexp_f64 v[10:11], v[12:13], s16
	v_cmp_class_f64_e32 vcc, v[4:5], v9
	v_cndmask_b32_e32 v5, v11, v5, vcc
	v_cndmask_b32_e32 v4, v10, v4, vcc
	v_mul_f64 v[4:5], v[2:3], v[4:5]
	s_branch .LBB64_128
.LBB64_127:
	s_mov_b64 s[4:5], -1
                                        ; implicit-def: $vgpr4_vgpr5
.LBB64_128:
	s_andn2_b64 vcc, exec, s[4:5]
	s_cbranch_vccnz .LBB64_130
; %bb.129:
	v_div_scale_f64 v[4:5], s[4:5], v[0:1], v[0:1], v[2:3]
	v_rcp_f64_e32 v[10:11], v[4:5]
	v_div_scale_f64 v[12:13], vcc, v[2:3], v[0:1], v[2:3]
	s_mov_b32 s4, 0
	v_fma_f64 v[14:15], -v[4:5], v[10:11], 1.0
	v_fmac_f64_e32 v[10:11], v[10:11], v[14:15]
	v_fma_f64 v[14:15], -v[4:5], v[10:11], 1.0
	v_fmac_f64_e32 v[10:11], v[10:11], v[14:15]
	v_mul_f64 v[14:15], v[12:13], v[10:11]
	v_fma_f64 v[4:5], -v[4:5], v[14:15], v[12:13]
	v_div_fmas_f64 v[4:5], v[4:5], v[10:11], v[14:15]
	v_div_fixup_f64 v[2:3], v[4:5], v[0:1], v[2:3]
	v_fma_f64 v[2:3], v[2:3], v[2:3], 1.0
	s_brev_b32 s5, 8
	v_cmp_gt_f64_e32 vcc, s[4:5], v[2:3]
	v_cndmask_b32_e64 v4, 0, 1, vcc
	v_lshlrev_b32_e32 v4, 8, v4
	v_ldexp_f64 v[2:3], v[2:3], v4
	v_rsq_f64_e32 v[4:5], v[2:3]
	s_and_b64 s[4:5], vcc, exec
	s_cselect_b32 s4, 0xffffff80, 0
	v_mov_b32_e32 v9, 0x260
	v_mul_f64 v[10:11], v[2:3], v[4:5]
	v_mul_f64 v[4:5], v[4:5], 0.5
	v_fma_f64 v[12:13], -v[4:5], v[10:11], 0.5
	v_fmac_f64_e32 v[10:11], v[10:11], v[12:13]
	v_fma_f64 v[14:15], -v[10:11], v[10:11], v[2:3]
	v_fmac_f64_e32 v[4:5], v[4:5], v[12:13]
	v_fmac_f64_e32 v[10:11], v[14:15], v[4:5]
	v_fma_f64 v[12:13], -v[10:11], v[10:11], v[2:3]
	v_fmac_f64_e32 v[10:11], v[12:13], v[4:5]
	v_ldexp_f64 v[4:5], v[10:11], s4
	v_cmp_class_f64_e32 vcc, v[2:3], v9
	v_cndmask_b32_e32 v3, v5, v3, vcc
	v_cndmask_b32_e32 v2, v4, v2, vcc
	v_mul_f64 v[4:5], v[0:1], v[2:3]
.LBB64_130:
	s_mov_b32 s4, 0
	s_brev_b32 s5, 8
	v_cmp_gt_f64_e32 vcc, s[4:5], v[4:5]
	v_cndmask_b32_e64 v0, 0, 1, vcc
	v_lshlrev_b32_e32 v0, 8, v0
	v_ldexp_f64 v[0:1], v[4:5], v0
	v_rsq_f64_e32 v[2:3], v[0:1]
	s_and_b64 s[4:5], vcc, exec
	s_cselect_b32 s4, 0xffffff80, 0
	v_mul_f64 v[4:5], v[0:1], v[2:3]
	v_mul_f64 v[2:3], v[2:3], 0.5
	v_fma_f64 v[10:11], -v[2:3], v[4:5], 0.5
	v_fmac_f64_e32 v[4:5], v[4:5], v[10:11]
	v_fma_f64 v[12:13], -v[4:5], v[4:5], v[0:1]
	v_fmac_f64_e32 v[2:3], v[2:3], v[10:11]
	v_fmac_f64_e32 v[4:5], v[12:13], v[2:3]
	v_fma_f64 v[10:11], -v[4:5], v[4:5], v[0:1]
	v_fmac_f64_e32 v[4:5], v[10:11], v[2:3]
	v_ldexp_f64 v[2:3], v[4:5], s4
	v_mov_b32_e32 v4, 0x260
	v_cmp_class_f64_e32 vcc, v[0:1], v4
	v_cndmask_b32_e32 v0, v2, v0, vcc
	v_mov_b32_e32 v2, 0
	v_cndmask_b32_e32 v1, v3, v1, vcc
	v_mov_b32_e32 v3, v2
	ds_write_b128 v2, v[0:3] offset:1856
.LBB64_131:
	s_or_b64 exec, exec, s[2:3]
	v_mov_b32_e32 v0, 0
	s_waitcnt lgkmcnt(0)
	ds_read_b128 v[0:3], v0 offset:1856
	v_mov_b32_e32 v4, 0x3ff00000
	s_waitcnt lgkmcnt(0)
	v_cmp_neq_f64_e32 vcc, 0, v[0:1]
	v_cmp_neq_f64_e64 s[2:3], 0, v[2:3]
	s_or_b64 vcc, vcc, s[2:3]
	s_or_b64 s[2:3], vcc, s[0:1]
	v_cndmask_b32_e32 v1, v4, v1, vcc
	s_xor_b64 s[4:5], s[2:3], -1
	v_cndmask_b32_e32 v0, 0, v0, vcc
	v_cndmask_b32_e32 v3, 0, v3, vcc
	;; [unrolled: 1-line block ×3, first 2 shown]
	s_and_saveexec_b64 s[2:3], s[4:5]
	s_cbranch_execz .LBB64_135
; %bb.132:
	v_mbcnt_lo_u32_b32 v0, exec_lo, 0
	v_mbcnt_hi_u32_b32 v0, exec_hi, v0
	v_cmp_eq_u32_e32 vcc, 0, v0
	s_and_saveexec_b64 s[4:5], vcc
	s_cbranch_execz .LBB64_134
; %bb.133:
	v_mov_b32_e32 v0, 0
	v_mov_b32_e32 v1, s18
	global_atomic_smin v0, v1, s[14:15]
.LBB64_134:
	s_or_b64 exec, exec, s[4:5]
	v_mov_b32_e32 v0, 0
	v_mov_b32_e32 v1, 0x3ff00000
	v_pk_mov_b32 v[2:3], 0, 0
.LBB64_135:
	s_or_b64 exec, exec, s[2:3]
	v_cmp_lt_u32_e32 vcc, 4, v17
	s_and_saveexec_b64 s[2:3], vcc
	s_cbranch_execz .LBB64_137
; %bb.136:
	v_mul_f64 v[4:5], v[2:3], v[2:3]
	v_mul_u32_u24_e32 v9, 0x70, v17
	v_fmac_f64_e32 v[4:5], v[0:1], v[0:1]
	ds_read_b128 v[10:13], v9 offset:1408
	ds_read_b128 v[20:23], v9 offset:2080
	v_div_scale_f64 v[14:15], s[4:5], v[4:5], v[4:5], 1.0
	v_rcp_f64_e32 v[24:25], v[14:15]
	s_waitcnt lgkmcnt(0)
	v_add_f64 v[20:21], v[10:11], -v[20:21]
	v_add_f64 v[12:13], v[12:13], -v[22:23]
	v_fma_f64 v[10:11], -v[14:15], v[24:25], 1.0
	v_fmac_f64_e32 v[24:25], v[24:25], v[10:11]
	v_fma_f64 v[10:11], -v[14:15], v[24:25], 1.0
	v_fmac_f64_e32 v[24:25], v[24:25], v[10:11]
	v_div_scale_f64 v[10:11], vcc, 1.0, v[4:5], 1.0
	v_mul_f64 v[22:23], v[10:11], v[24:25]
	v_fma_f64 v[10:11], -v[14:15], v[22:23], v[10:11]
	s_nop 1
	v_div_fmas_f64 v[10:11], v[10:11], v[24:25], v[22:23]
	v_div_fixup_f64 v[4:5], v[10:11], v[4:5], 1.0
	v_mul_f64 v[10:11], v[2:3], v[12:13]
	v_mul_f64 v[2:3], v[2:3], -v[20:21]
	v_fmac_f64_e32 v[10:11], v[20:21], v[0:1]
	v_fmac_f64_e32 v[2:3], v[12:13], v[0:1]
	v_mul_f64 v[10:11], v[4:5], v[10:11]
	v_mul_f64 v[12:13], v[4:5], v[2:3]
	v_mul_u32_u24_e32 v0, 0x70, v16
	ds_write_b128 v9, v[10:13] offset:1408
	s_waitcnt lgkmcnt(0)
	ds_read_b128 v[0:3], v0 offset:1408
	ds_read_b128 v[20:23], v19
	s_waitcnt lgkmcnt(0)
	v_fmac_f64_e32 v[20:21], v[10:11], v[0:1]
	v_fmac_f64_e32 v[22:23], v[12:13], v[0:1]
	;; [unrolled: 1-line block ×3, first 2 shown]
	v_fma_f64 v[22:23], v[10:11], -v[2:3], v[22:23]
	ds_write_b128 v19, v[20:23]
.LBB64_137:
	s_or_b64 exec, exec, s[2:3]
	v_cmp_eq_u32_e32 vcc, 5, v17
	s_waitcnt lgkmcnt(0)
	s_and_saveexec_b64 s[2:3], vcc
	s_cbranch_execz .LBB64_145
; %bb.138:
	v_mov_b32_e32 v4, 0
	ds_read_b128 v[0:3], v4 offset:2656
	ds_read_b128 v[10:13], v4 offset:1984
	s_waitcnt lgkmcnt(0)
	v_add_f64 v[0:1], v[10:11], -v[0:1]
	v_add_f64 v[4:5], v[12:13], -v[2:3]
	v_xor_b32_e32 v2, 0x80000000, v1
	v_cmp_gt_f64_e32 vcc, 0, v[0:1]
	v_cndmask_b32_e32 v1, v1, v2, vcc
	v_cndmask_b32_e32 v0, v0, v0, vcc
	v_xor_b32_e32 v2, 0x80000000, v5
	v_cmp_gt_f64_e32 vcc, 0, v[4:5]
	v_cndmask_b32_e32 v3, v5, v2, vcc
	v_cndmask_b32_e32 v2, v4, v4, vcc
	v_cmp_gt_f64_e32 vcc, v[0:1], v[2:3]
	s_cbranch_vccnz .LBB64_141
; %bb.139:
	v_cmp_eq_f64_e32 vcc, 0, v[4:5]
	s_mov_b64 s[4:5], 0
	v_pk_mov_b32 v[4:5], 0, 0
	s_cbranch_vccnz .LBB64_142
; %bb.140:
	v_div_scale_f64 v[4:5], s[16:17], v[2:3], v[2:3], v[0:1]
	v_rcp_f64_e32 v[10:11], v[4:5]
	v_div_scale_f64 v[12:13], vcc, v[0:1], v[2:3], v[0:1]
	s_mov_b32 s16, 0
	v_fma_f64 v[14:15], -v[4:5], v[10:11], 1.0
	v_fmac_f64_e32 v[10:11], v[10:11], v[14:15]
	v_fma_f64 v[14:15], -v[4:5], v[10:11], 1.0
	v_fmac_f64_e32 v[10:11], v[10:11], v[14:15]
	v_mul_f64 v[14:15], v[12:13], v[10:11]
	v_fma_f64 v[4:5], -v[4:5], v[14:15], v[12:13]
	v_div_fmas_f64 v[4:5], v[4:5], v[10:11], v[14:15]
	v_div_fixup_f64 v[4:5], v[4:5], v[2:3], v[0:1]
	v_fma_f64 v[4:5], v[4:5], v[4:5], 1.0
	s_brev_b32 s17, 8
	v_cmp_gt_f64_e32 vcc, s[16:17], v[4:5]
	v_cndmask_b32_e64 v9, 0, 1, vcc
	v_lshlrev_b32_e32 v9, 8, v9
	v_ldexp_f64 v[4:5], v[4:5], v9
	v_rsq_f64_e32 v[10:11], v[4:5]
	s_and_b64 s[16:17], vcc, exec
	s_cselect_b32 s16, 0xffffff80, 0
	v_mov_b32_e32 v9, 0x260
	v_mul_f64 v[12:13], v[4:5], v[10:11]
	v_mul_f64 v[10:11], v[10:11], 0.5
	v_fma_f64 v[14:15], -v[10:11], v[12:13], 0.5
	v_fmac_f64_e32 v[12:13], v[12:13], v[14:15]
	v_fma_f64 v[20:21], -v[12:13], v[12:13], v[4:5]
	v_fmac_f64_e32 v[10:11], v[10:11], v[14:15]
	v_fmac_f64_e32 v[12:13], v[20:21], v[10:11]
	v_fma_f64 v[14:15], -v[12:13], v[12:13], v[4:5]
	v_fmac_f64_e32 v[12:13], v[14:15], v[10:11]
	v_ldexp_f64 v[10:11], v[12:13], s16
	v_cmp_class_f64_e32 vcc, v[4:5], v9
	v_cndmask_b32_e32 v5, v11, v5, vcc
	v_cndmask_b32_e32 v4, v10, v4, vcc
	v_mul_f64 v[4:5], v[2:3], v[4:5]
	s_branch .LBB64_142
.LBB64_141:
	s_mov_b64 s[4:5], -1
                                        ; implicit-def: $vgpr4_vgpr5
.LBB64_142:
	s_andn2_b64 vcc, exec, s[4:5]
	s_cbranch_vccnz .LBB64_144
; %bb.143:
	v_div_scale_f64 v[4:5], s[4:5], v[0:1], v[0:1], v[2:3]
	v_rcp_f64_e32 v[10:11], v[4:5]
	v_div_scale_f64 v[12:13], vcc, v[2:3], v[0:1], v[2:3]
	s_mov_b32 s4, 0
	v_fma_f64 v[14:15], -v[4:5], v[10:11], 1.0
	v_fmac_f64_e32 v[10:11], v[10:11], v[14:15]
	v_fma_f64 v[14:15], -v[4:5], v[10:11], 1.0
	v_fmac_f64_e32 v[10:11], v[10:11], v[14:15]
	v_mul_f64 v[14:15], v[12:13], v[10:11]
	v_fma_f64 v[4:5], -v[4:5], v[14:15], v[12:13]
	v_div_fmas_f64 v[4:5], v[4:5], v[10:11], v[14:15]
	v_div_fixup_f64 v[2:3], v[4:5], v[0:1], v[2:3]
	v_fma_f64 v[2:3], v[2:3], v[2:3], 1.0
	s_brev_b32 s5, 8
	v_cmp_gt_f64_e32 vcc, s[4:5], v[2:3]
	v_cndmask_b32_e64 v4, 0, 1, vcc
	v_lshlrev_b32_e32 v4, 8, v4
	v_ldexp_f64 v[2:3], v[2:3], v4
	v_rsq_f64_e32 v[4:5], v[2:3]
	s_and_b64 s[4:5], vcc, exec
	s_cselect_b32 s4, 0xffffff80, 0
	v_mov_b32_e32 v9, 0x260
	v_mul_f64 v[10:11], v[2:3], v[4:5]
	v_mul_f64 v[4:5], v[4:5], 0.5
	v_fma_f64 v[12:13], -v[4:5], v[10:11], 0.5
	v_fmac_f64_e32 v[10:11], v[10:11], v[12:13]
	v_fma_f64 v[14:15], -v[10:11], v[10:11], v[2:3]
	v_fmac_f64_e32 v[4:5], v[4:5], v[12:13]
	v_fmac_f64_e32 v[10:11], v[14:15], v[4:5]
	v_fma_f64 v[12:13], -v[10:11], v[10:11], v[2:3]
	v_fmac_f64_e32 v[10:11], v[12:13], v[4:5]
	v_ldexp_f64 v[4:5], v[10:11], s4
	v_cmp_class_f64_e32 vcc, v[2:3], v9
	v_cndmask_b32_e32 v3, v5, v3, vcc
	v_cndmask_b32_e32 v2, v4, v2, vcc
	v_mul_f64 v[4:5], v[0:1], v[2:3]
.LBB64_144:
	s_mov_b32 s4, 0
	s_brev_b32 s5, 8
	v_cmp_gt_f64_e32 vcc, s[4:5], v[4:5]
	v_cndmask_b32_e64 v0, 0, 1, vcc
	v_lshlrev_b32_e32 v0, 8, v0
	v_ldexp_f64 v[0:1], v[4:5], v0
	v_rsq_f64_e32 v[2:3], v[0:1]
	s_and_b64 s[4:5], vcc, exec
	s_cselect_b32 s4, 0xffffff80, 0
	v_mul_f64 v[4:5], v[0:1], v[2:3]
	v_mul_f64 v[2:3], v[2:3], 0.5
	v_fma_f64 v[10:11], -v[2:3], v[4:5], 0.5
	v_fmac_f64_e32 v[4:5], v[4:5], v[10:11]
	v_fma_f64 v[12:13], -v[4:5], v[4:5], v[0:1]
	v_fmac_f64_e32 v[2:3], v[2:3], v[10:11]
	v_fmac_f64_e32 v[4:5], v[12:13], v[2:3]
	v_fma_f64 v[10:11], -v[4:5], v[4:5], v[0:1]
	v_fmac_f64_e32 v[4:5], v[10:11], v[2:3]
	v_ldexp_f64 v[2:3], v[4:5], s4
	v_mov_b32_e32 v4, 0x260
	v_cmp_class_f64_e32 vcc, v[0:1], v4
	v_cndmask_b32_e32 v0, v2, v0, vcc
	v_mov_b32_e32 v2, 0
	v_cndmask_b32_e32 v1, v3, v1, vcc
	v_mov_b32_e32 v3, v2
	ds_write_b128 v2, v[0:3] offset:1984
.LBB64_145:
	s_or_b64 exec, exec, s[2:3]
	v_mov_b32_e32 v0, 0
	s_waitcnt lgkmcnt(0)
	ds_read_b128 v[0:3], v0 offset:1984
	v_mov_b32_e32 v4, 0x3ff00000
	s_waitcnt lgkmcnt(0)
	v_cmp_neq_f64_e32 vcc, 0, v[0:1]
	v_cmp_neq_f64_e64 s[2:3], 0, v[2:3]
	s_or_b64 vcc, vcc, s[2:3]
	s_or_b64 s[0:1], vcc, s[0:1]
	v_cndmask_b32_e32 v1, v4, v1, vcc
	s_xor_b64 s[2:3], s[0:1], -1
	v_cndmask_b32_e32 v0, 0, v0, vcc
	v_cndmask_b32_e32 v3, 0, v3, vcc
	;; [unrolled: 1-line block ×3, first 2 shown]
	s_and_saveexec_b64 s[0:1], s[2:3]
	s_cbranch_execnz .LBB64_158
; %bb.146:
	s_or_b64 exec, exec, s[0:1]
	v_cmp_lt_u32_e32 vcc, 5, v17
	s_and_saveexec_b64 s[0:1], vcc
	s_cbranch_execnz .LBB64_161
.LBB64_147:
	s_or_b64 exec, exec, s[0:1]
	s_andn2_b64 vcc, exec, s[8:9]
	s_cbranch_vccnz .LBB64_149
.LBB64_148:
	v_mov_b32_e32 v18, v7
.LBB64_149:
	v_add_u32_e32 v0, s30, v18
	v_ashrrev_i32_e32 v1, 31, v0
	v_lshlrev_b64 v[4:5], 4, v[0:1]
	ds_read2_b64 v[0:3], v6 offset1:1
	v_mov_b32_e32 v7, s21
	v_add_co_u32_e32 v4, vcc, s20, v4
	v_addc_co_u32_e32 v5, vcc, v7, v5, vcc
	s_waitcnt lgkmcnt(0)
	global_store_dwordx4 v[4:5], v[0:3], off
	v_cmp_eq_u32_e64 s[0:1], 0, v8
	s_branch .LBB64_155
.LBB64_150:
	v_or_b32_e32 v0, v16, v17
	v_cmp_eq_u32_e32 vcc, 0, v0
	s_and_saveexec_b64 s[2:3], vcc
	s_cbranch_execz .LBB64_154
; %bb.151:
	v_mbcnt_lo_u32_b32 v0, exec_lo, 0
	v_mbcnt_hi_u32_b32 v0, exec_hi, v0
	v_cmp_eq_u32_e32 vcc, 0, v0
	s_and_saveexec_b64 s[4:5], vcc
	s_cbranch_execz .LBB64_153
; %bb.152:
	s_add_i32 s8, s12, s13
	v_mov_b32_e32 v0, 0
	v_mov_b32_e32 v1, s8
	global_atomic_smin v0, v1, s[14:15]
.LBB64_153:
	s_or_b64 exec, exec, s[4:5]
	s_or_b64 s[0:1], s[0:1], exec
.LBB64_154:
	s_or_b64 exec, exec, s[2:3]
.LBB64_155:
	s_and_saveexec_b64 s[2:3], s[0:1]
	s_cbranch_execnz .LBB64_157
; %bb.156:
	s_endpgm
.LBB64_157:
	s_add_u32 s0, s10, s6
	s_addc_u32 s1, s11, s7
	v_mov_b32_e32 v0, 0
	v_mov_b32_e32 v1, 1
	s_waitcnt vmcnt(0)
	global_store_dword v0, v1, s[0:1]
	s_endpgm
.LBB64_158:
	v_mbcnt_lo_u32_b32 v0, exec_lo, 0
	v_mbcnt_hi_u32_b32 v0, exec_hi, v0
	v_cmp_eq_u32_e32 vcc, 0, v0
	s_and_saveexec_b64 s[2:3], vcc
	s_cbranch_execz .LBB64_160
; %bb.159:
	v_mov_b32_e32 v0, 0
	v_mov_b32_e32 v1, s18
	global_atomic_smin v0, v1, s[14:15]
.LBB64_160:
	s_or_b64 exec, exec, s[2:3]
	v_mov_b32_e32 v0, 0
	v_mov_b32_e32 v1, 0x3ff00000
	v_pk_mov_b32 v[2:3], 0, 0
	s_or_b64 exec, exec, s[0:1]
	v_cmp_lt_u32_e32 vcc, 5, v17
	s_and_saveexec_b64 s[0:1], vcc
	s_cbranch_execz .LBB64_147
.LBB64_161:
	v_mul_f64 v[4:5], v[2:3], v[2:3]
	v_mul_u32_u24_e32 v9, 0x70, v17
	v_fmac_f64_e32 v[4:5], v[0:1], v[0:1]
	ds_read_b128 v[10:13], v9 offset:1424
	ds_read_b128 v[20:23], v9 offset:2096
	v_div_scale_f64 v[14:15], s[2:3], v[4:5], v[4:5], 1.0
	v_rcp_f64_e32 v[24:25], v[14:15]
	s_waitcnt lgkmcnt(0)
	v_add_f64 v[20:21], v[10:11], -v[20:21]
	v_add_f64 v[12:13], v[12:13], -v[22:23]
	v_fma_f64 v[10:11], -v[14:15], v[24:25], 1.0
	v_fmac_f64_e32 v[24:25], v[24:25], v[10:11]
	v_fma_f64 v[10:11], -v[14:15], v[24:25], 1.0
	v_fmac_f64_e32 v[24:25], v[24:25], v[10:11]
	v_div_scale_f64 v[10:11], vcc, 1.0, v[4:5], 1.0
	v_mul_f64 v[22:23], v[10:11], v[24:25]
	v_fma_f64 v[10:11], -v[14:15], v[22:23], v[10:11]
	s_nop 1
	v_div_fmas_f64 v[10:11], v[10:11], v[24:25], v[22:23]
	v_div_fixup_f64 v[4:5], v[10:11], v[4:5], 1.0
	v_mul_f64 v[10:11], v[2:3], v[12:13]
	v_mul_f64 v[2:3], v[2:3], -v[20:21]
	v_fmac_f64_e32 v[10:11], v[20:21], v[0:1]
	v_fmac_f64_e32 v[2:3], v[12:13], v[0:1]
	v_mul_f64 v[10:11], v[4:5], v[10:11]
	v_mul_f64 v[12:13], v[4:5], v[2:3]
	v_mul_u32_u24_e32 v0, 0x70, v16
	ds_write_b128 v9, v[10:13] offset:1424
	s_waitcnt lgkmcnt(0)
	ds_read_b128 v[0:3], v0 offset:1424
	ds_read_b128 v[20:23], v19
	s_waitcnt lgkmcnt(0)
	v_fmac_f64_e32 v[20:21], v[10:11], v[0:1]
	v_fmac_f64_e32 v[22:23], v[12:13], v[0:1]
	v_fmac_f64_e32 v[20:21], v[12:13], v[2:3]
	v_fma_f64 v[22:23], v[10:11], -v[2:3], v[22:23]
	ds_write_b128 v19, v[20:23]
	s_or_b64 exec, exec, s[0:1]
	s_andn2_b64 vcc, exec, s[8:9]
	s_waitcnt lgkmcnt(0)
	s_cbranch_vccz .LBB64_148
	s_branch .LBB64_149
	.section	.rodata,"a",@progbits
	.p2align	6, 0x0
	.amdhsa_kernel _ZN9rocsparseL26bsric0_2_8_unrolled_kernelILi36ELi32ELi6E21rocsparse_complex_numIdEEEv20rocsparse_direction_iiPKiS5_PT2_S5_PiS5_S8_21rocsparse_index_base_
		.amdhsa_group_segment_fixed_size 3072
		.amdhsa_private_segment_fixed_size 0
		.amdhsa_kernarg_size 76
		.amdhsa_user_sgpr_count 6
		.amdhsa_user_sgpr_private_segment_buffer 1
		.amdhsa_user_sgpr_dispatch_ptr 0
		.amdhsa_user_sgpr_queue_ptr 0
		.amdhsa_user_sgpr_kernarg_segment_ptr 1
		.amdhsa_user_sgpr_dispatch_id 0
		.amdhsa_user_sgpr_flat_scratch_init 0
		.amdhsa_user_sgpr_kernarg_preload_length 0
		.amdhsa_user_sgpr_kernarg_preload_offset 0
		.amdhsa_user_sgpr_private_segment_size 0
		.amdhsa_uses_dynamic_stack 0
		.amdhsa_system_sgpr_private_segment_wavefront_offset 0
		.amdhsa_system_sgpr_workgroup_id_x 1
		.amdhsa_system_sgpr_workgroup_id_y 0
		.amdhsa_system_sgpr_workgroup_id_z 0
		.amdhsa_system_sgpr_workgroup_info 0
		.amdhsa_system_vgpr_workitem_id 1
		.amdhsa_next_free_vgpr 78
		.amdhsa_next_free_sgpr 40
		.amdhsa_accum_offset 80
		.amdhsa_reserve_vcc 1
		.amdhsa_reserve_flat_scratch 0
		.amdhsa_float_round_mode_32 0
		.amdhsa_float_round_mode_16_64 0
		.amdhsa_float_denorm_mode_32 3
		.amdhsa_float_denorm_mode_16_64 3
		.amdhsa_dx10_clamp 1
		.amdhsa_ieee_mode 1
		.amdhsa_fp16_overflow 0
		.amdhsa_tg_split 0
		.amdhsa_exception_fp_ieee_invalid_op 0
		.amdhsa_exception_fp_denorm_src 0
		.amdhsa_exception_fp_ieee_div_zero 0
		.amdhsa_exception_fp_ieee_overflow 0
		.amdhsa_exception_fp_ieee_underflow 0
		.amdhsa_exception_fp_ieee_inexact 0
		.amdhsa_exception_int_div_zero 0
	.end_amdhsa_kernel
	.section	.text._ZN9rocsparseL26bsric0_2_8_unrolled_kernelILi36ELi32ELi6E21rocsparse_complex_numIdEEEv20rocsparse_direction_iiPKiS5_PT2_S5_PiS5_S8_21rocsparse_index_base_,"axG",@progbits,_ZN9rocsparseL26bsric0_2_8_unrolled_kernelILi36ELi32ELi6E21rocsparse_complex_numIdEEEv20rocsparse_direction_iiPKiS5_PT2_S5_PiS5_S8_21rocsparse_index_base_,comdat
.Lfunc_end64:
	.size	_ZN9rocsparseL26bsric0_2_8_unrolled_kernelILi36ELi32ELi6E21rocsparse_complex_numIdEEEv20rocsparse_direction_iiPKiS5_PT2_S5_PiS5_S8_21rocsparse_index_base_, .Lfunc_end64-_ZN9rocsparseL26bsric0_2_8_unrolled_kernelILi36ELi32ELi6E21rocsparse_complex_numIdEEEv20rocsparse_direction_iiPKiS5_PT2_S5_PiS5_S8_21rocsparse_index_base_
                                        ; -- End function
	.section	.AMDGPU.csdata,"",@progbits
; Kernel info:
; codeLenInByte = 13380
; NumSgprs: 44
; NumVgprs: 78
; NumAgprs: 0
; TotalNumVgprs: 78
; ScratchSize: 0
; MemoryBound: 1
; FloatMode: 240
; IeeeMode: 1
; LDSByteSize: 3072 bytes/workgroup (compile time only)
; SGPRBlocks: 5
; VGPRBlocks: 9
; NumSGPRsForWavesPerEU: 44
; NumVGPRsForWavesPerEU: 78
; AccumOffset: 80
; Occupancy: 6
; WaveLimiterHint : 1
; COMPUTE_PGM_RSRC2:SCRATCH_EN: 0
; COMPUTE_PGM_RSRC2:USER_SGPR: 6
; COMPUTE_PGM_RSRC2:TRAP_HANDLER: 0
; COMPUTE_PGM_RSRC2:TGID_X_EN: 1
; COMPUTE_PGM_RSRC2:TGID_Y_EN: 0
; COMPUTE_PGM_RSRC2:TGID_Z_EN: 0
; COMPUTE_PGM_RSRC2:TIDIG_COMP_CNT: 1
; COMPUTE_PGM_RSRC3_GFX90A:ACCUM_OFFSET: 19
; COMPUTE_PGM_RSRC3_GFX90A:TG_SPLIT: 0
	.section	.text._ZN9rocsparseL26bsric0_2_8_unrolled_kernelILi49ELi32ELi7E21rocsparse_complex_numIdEEEv20rocsparse_direction_iiPKiS5_PT2_S5_PiS5_S8_21rocsparse_index_base_,"axG",@progbits,_ZN9rocsparseL26bsric0_2_8_unrolled_kernelILi49ELi32ELi7E21rocsparse_complex_numIdEEEv20rocsparse_direction_iiPKiS5_PT2_S5_PiS5_S8_21rocsparse_index_base_,comdat
	.globl	_ZN9rocsparseL26bsric0_2_8_unrolled_kernelILi49ELi32ELi7E21rocsparse_complex_numIdEEEv20rocsparse_direction_iiPKiS5_PT2_S5_PiS5_S8_21rocsparse_index_base_ ; -- Begin function _ZN9rocsparseL26bsric0_2_8_unrolled_kernelILi49ELi32ELi7E21rocsparse_complex_numIdEEEv20rocsparse_direction_iiPKiS5_PT2_S5_PiS5_S8_21rocsparse_index_base_
	.p2align	8
	.type	_ZN9rocsparseL26bsric0_2_8_unrolled_kernelILi49ELi32ELi7E21rocsparse_complex_numIdEEEv20rocsparse_direction_iiPKiS5_PT2_S5_PiS5_S8_21rocsparse_index_base_,@function
_ZN9rocsparseL26bsric0_2_8_unrolled_kernelILi49ELi32ELi7E21rocsparse_complex_numIdEEEv20rocsparse_direction_iiPKiS5_PT2_S5_PiS5_S8_21rocsparse_index_base_: ; @_ZN9rocsparseL26bsric0_2_8_unrolled_kernelILi49ELi32ELi7E21rocsparse_complex_numIdEEEv20rocsparse_direction_iiPKiS5_PT2_S5_PiS5_S8_21rocsparse_index_base_
; %bb.0:
	s_load_dwordx8 s[8:15], s[4:5], 0x28
	s_mov_b32 s7, 0
	s_lshl_b64 s[0:1], s[6:7], 2
	v_and_b32_e32 v15, 0x3ff, v0
	v_bfe_u32 v24, v0, 10, 10
	s_waitcnt lgkmcnt(0)
	s_add_u32 s0, s12, s0
	s_addc_u32 s1, s13, s1
	s_load_dword s12, s[0:1], 0x0
	s_waitcnt lgkmcnt(0)
	s_ashr_i32 s13, s12, 31
	s_lshl_b64 s[6:7], s[12:13], 2
	s_add_u32 s0, s8, s6
	s_addc_u32 s1, s9, s7
	s_load_dword s30, s[0:1], 0x0
	s_load_dword s13, s[4:5], 0x48
	s_waitcnt lgkmcnt(0)
	s_cmp_lg_u32 s30, -1
	s_cbranch_scc0 .LBB65_74
; %bb.1:
	s_load_dwordx4 s[16:19], s[4:5], 0x10
	s_load_dwordx2 s[20:21], s[4:5], 0x20
	v_mad_u32_u24 v25, v24, 7, v15
	v_mul_u32_u24_e32 v28, 7, v24
	s_waitcnt lgkmcnt(0)
	s_add_u32 s0, s16, s6
	s_addc_u32 s1, s17, s7
	s_load_dword s26, s[0:1], 0x0
	s_waitcnt lgkmcnt(0)
	s_sub_i32 s31, s26, s13
	v_add_u32_e32 v0, s31, v25
	v_cmp_ge_i32_e32 vcc, s30, v0
	s_and_saveexec_b64 s[2:3], vcc
	s_cbranch_execz .LBB65_14
; %bb.2:
	v_add_u32_e32 v1, s26, v15
	v_add_u32_e32 v2, v1, v28
	v_subrev_u32_e32 v2, s13, v2
	v_add_u32_e32 v2, 49, v2
	s_add_i32 s0, s30, 1
	v_max_i32_e32 v2, s0, v2
	v_add_u32_e32 v2, s13, v2
	v_sub_u32_e32 v1, v2, v1
	v_subrev_u32_e32 v1, 49, v1
	v_cmp_ne_u32_e32 vcc, v1, v28
	v_addc_co_u32_e64 v2, s[0:1], 0, v28, vcc
	v_sub_u32_e32 v1, v1, v2
	s_mov_b32 s0, 0x5397829d
	v_mul_hi_u32 v1, v1, s0
	v_lshrrev_b32_e32 v1, 4, v1
	v_addc_co_u32_e32 v12, vcc, 0, v1, vcc
	v_cmp_ne_u32_e32 vcc, 0, v12
	s_mov_b64 s[22:23], -1
	s_and_saveexec_b64 s[0:1], vcc
	s_cbranch_execz .LBB65_11
; %bb.3:
	v_add_u32_e32 v2, -1, v12
	v_add_u32_e32 v1, 49, v0
	v_lshrrev_b32_e32 v2, 1, v2
	v_add_u32_e32 v13, 1, v2
	v_cmp_lt_u32_e32 vcc, 14, v12
	v_pk_mov_b32 v[2:3], v[0:1], v[0:1] op_sel:[0,1]
	s_and_saveexec_b64 s[22:23], vcc
	s_cbranch_execz .LBB65_7
; %bb.4:
	v_and_b32_e32 v14, -8, v13
	s_mov_b64 s[24:25], 0
	v_mov_b32_e32 v16, s19
	v_pk_mov_b32 v[2:3], v[0:1], v[0:1] op_sel:[0,1]
.LBB65_5:                               ; =>This Inner Loop Header: Depth=1
	v_ashrrev_i32_e32 v21, 31, v2
	v_mov_b32_e32 v20, v2
	v_lshlrev_b64 v[20:21], 2, v[20:21]
	v_ashrrev_i32_e32 v19, 31, v3
	v_mov_b32_e32 v18, v3
	v_add_co_u32_e32 v20, vcc, s18, v20
	v_add_u32_e32 v4, 0x62, v2
	v_lshlrev_b64 v[18:19], 2, v[18:19]
	v_addc_co_u32_e32 v21, vcc, v16, v21, vcc
	v_ashrrev_i32_e32 v5, 31, v4
	v_add_co_u32_e32 v18, vcc, s18, v18
	v_add_u32_e32 v6, 0x62, v3
	v_addc_co_u32_e32 v19, vcc, v16, v19, vcc
	v_lshlrev_b64 v[46:47], 2, v[4:5]
	v_ashrrev_i32_e32 v7, 31, v6
	global_load_dword v1, v[20:21], off
	global_load_dword v5, v[18:19], off
	v_add_co_u32_e32 v18, vcc, s18, v46
	v_add_u32_e32 v8, 0xc4, v2
	v_lshlrev_b64 v[48:49], 2, v[6:7]
	v_addc_co_u32_e32 v19, vcc, v16, v47, vcc
	v_ashrrev_i32_e32 v9, 31, v8
	v_add_co_u32_e32 v20, vcc, s18, v48
	v_add_u32_e32 v10, 0xc4, v3
	v_lshlrev_b64 v[50:51], 2, v[8:9]
	v_addc_co_u32_e32 v21, vcc, v16, v49, vcc
	v_ashrrev_i32_e32 v11, 31, v10
	;; [unrolled: 5-line block ×12, first 2 shown]
	v_add_co_u32_e32 v66, vcc, s18, v70
	v_lshlrev_b64 v[72:73], 2, v[44:45]
	v_addc_co_u32_e32 v67, vcc, v16, v71, vcc
	v_add_co_u32_e32 v68, vcc, s18, v72
	v_addc_co_u32_e32 v69, vcc, v16, v73, vcc
	global_load_dword v7, v[20:21], off
	global_load_dword v9, v[18:19], off
	;; [unrolled: 1-line block ×14, first 2 shown]
	v_subrev_u32_e32 v19, s31, v2
	v_add_u32_e32 v14, -8, v14
	v_subrev_u32_e32 v18, s31, v3
	v_lshlrev_b32_e32 v19, 2, v19
	v_subrev_u32_e32 v4, s31, v4
	v_cmp_eq_u32_e32 vcc, 0, v14
	s_waitcnt vmcnt(14)
	v_subrev_u32_e32 v5, s13, v5
	v_subrev_u32_e32 v1, s13, v1
	v_add_u32_e32 v3, 0x310, v3
	v_add_u32_e32 v2, 0x310, v2
	v_lshlrev_b32_e32 v18, 2, v18
	v_subrev_u32_e32 v6, s31, v6
	v_subrev_u32_e32 v10, s31, v10
	;; [unrolled: 1-line block ×13, first 2 shown]
	v_lshlrev_b32_e32 v4, 2, v4
	s_or_b64 s[24:25], vcc, s[24:25]
	ds_write_b32 v19, v1 offset:3840
	ds_write_b32 v18, v5 offset:3840
	v_lshlrev_b32_e32 v6, 2, v6
	v_lshlrev_b32_e32 v8, 2, v8
	;; [unrolled: 1-line block ×13, first 2 shown]
	s_waitcnt vmcnt(13)
	v_subrev_u32_e32 v1, s13, v7
	s_waitcnt vmcnt(12)
	v_subrev_u32_e32 v5, s13, v9
	;; [unrolled: 2-line block ×14, first 2 shown]
	ds_write_b32 v4, v5 offset:3840
	ds_write_b32 v6, v1 offset:3840
	;; [unrolled: 1-line block ×14, first 2 shown]
	s_andn2_b64 exec, exec, s[24:25]
	s_cbranch_execnz .LBB65_5
; %bb.6:
	s_or_b64 exec, exec, s[24:25]
.LBB65_7:
	s_or_b64 exec, exec, s[22:23]
	v_and_b32_e32 v1, 7, v13
	v_cmp_ne_u32_e32 vcc, 0, v1
	s_and_saveexec_b64 s[22:23], vcc
	s_cbranch_execz .LBB65_10
; %bb.8:
	v_sub_u32_e32 v1, 0, v1
	s_mov_b64 s[24:25], 0
	v_mov_b32_e32 v4, s19
.LBB65_9:                               ; =>This Inner Loop Header: Depth=1
	v_ashrrev_i32_e32 v9, 31, v2
	v_mov_b32_e32 v8, v2
	v_lshlrev_b64 v[8:9], 2, v[8:9]
	v_ashrrev_i32_e32 v7, 31, v3
	v_mov_b32_e32 v6, v3
	v_add_co_u32_e32 v8, vcc, s18, v8
	v_lshlrev_b64 v[6:7], 2, v[6:7]
	v_addc_co_u32_e32 v9, vcc, v4, v9, vcc
	v_add_co_u32_e32 v6, vcc, s18, v6
	v_addc_co_u32_e32 v7, vcc, v4, v7, vcc
	global_load_dword v5, v[6:7], off
	global_load_dword v10, v[8:9], off
	v_subrev_u32_e32 v7, s31, v2
	v_add_co_u32_e32 v1, vcc, 1, v1
	v_subrev_u32_e32 v6, s31, v3
	v_add_u32_e32 v3, 0x62, v3
	v_add_u32_e32 v2, 0x62, v2
	v_lshlrev_b32_e32 v7, 2, v7
	s_or_b64 s[24:25], vcc, s[24:25]
	v_lshlrev_b32_e32 v6, 2, v6
	s_waitcnt vmcnt(1)
	v_subrev_u32_e32 v5, s13, v5
	s_waitcnt vmcnt(0)
	v_subrev_u32_e32 v8, s13, v10
	ds_write_b32 v7, v8 offset:3840
	ds_write_b32 v6, v5 offset:3840
	s_andn2_b64 exec, exec, s[24:25]
	s_cbranch_execnz .LBB65_9
.LBB65_10:
	s_or_b64 exec, exec, s[22:23]
	v_add_u32_e32 v2, 1, v12
	v_and_b32_e32 v3, 0x1ffffffe, v2
	v_mad_u64_u32 v[0:1], s[22:23], v3, 49, v[0:1]
	v_cmp_ne_u32_e32 vcc, v2, v3
	s_orn2_b64 s[22:23], vcc, exec
.LBB65_11:
	s_or_b64 exec, exec, s[0:1]
	s_and_b64 exec, exec, s[22:23]
	s_cbranch_execz .LBB65_14
; %bb.12:
	v_add_u32_e32 v1, s13, v0
	v_subrev_u32_e32 v1, s26, v1
	v_mov_b32_e32 v2, 0xf00
	v_lshl_add_u32 v4, v1, 2, v2
	v_ashrrev_i32_e32 v1, 31, v0
	v_lshlrev_b64 v[2:3], 2, v[0:1]
	v_mov_b32_e32 v1, s19
	v_add_co_u32_e32 v2, vcc, s18, v2
	v_addc_co_u32_e32 v3, vcc, v1, v3, vcc
	s_mov_b64 s[0:1], 0
.LBB65_13:                              ; =>This Inner Loop Header: Depth=1
	global_load_dword v1, v[2:3], off
	v_add_co_u32_e32 v2, vcc, 0xc4, v2
	v_add_u32_e32 v0, 49, v0
	v_addc_co_u32_e32 v3, vcc, 0, v3, vcc
	v_cmp_lt_i32_e32 vcc, s30, v0
	s_or_b64 s[0:1], vcc, s[0:1]
	s_waitcnt vmcnt(0)
	v_subrev_u32_e32 v1, s13, v1
	ds_write_b32 v4, v1
	v_add_u32_e32 v4, 0xc4, v4
	s_andn2_b64 exec, exec, s[0:1]
	s_cbranch_execnz .LBB65_13
.LBB65_14:
	s_or_b64 exec, exec, s[2:3]
	s_load_dword s33, s[4:5], 0x0
	v_lshlrev_b32_e32 v4, 4, v15
	v_lshl_add_u32 v29, v24, 7, v4
	v_mov_b32_e32 v0, 0
	v_add_u32_e32 v27, 0xa80, v29
	v_mov_b32_e32 v1, v0
	v_mov_b32_e32 v2, v0
	;; [unrolled: 1-line block ×3, first 2 shown]
	s_cmp_ge_i32 s31, s30
	v_mad_u32_u24 v26, v15, 7, v24
	ds_write_b128 v29, v[0:3] offset:2688
	s_waitcnt lgkmcnt(0)
	s_cbranch_scc1 .LBB65_68
; %bb.15:
	v_lshlrev_b32_e32 v3, 7, v24
	s_cmp_eq_u32 s33, 0
	v_add_u32_e32 v30, 0x700, v3
	v_add_u32_e32 v32, v3, v4
	;; [unrolled: 1-line block ×3, first 2 shown]
	v_or_b32_e32 v3, v15, v24
	v_mad_u32_u24 v2, v15, 7, v24
	s_cselect_b64 vcc, -1, 0
	s_cmp_lg_u32 s33, 0
	v_cmp_ne_u32_e64 s[0:1], 0, v3
	v_mov_b32_e32 v3, 0x700
	s_cselect_b64 s[4:5], -1, 0
	v_mul_u32_u24_e32 v1, 7, v15
	v_add_u32_e32 v31, v30, v4
	v_add_u32_e32 v34, v33, v4
	v_lshl_add_u32 v35, v15, 7, v3
	v_cndmask_b32_e32 v14, v2, v25, vcc
	v_mov_b32_e32 v36, 0x3ff00000
	s_mov_b32 s22, s31
	s_branch .LBB65_19
.LBB65_16:                              ;   in Loop: Header=BB65_19 Depth=1
	s_or_b64 exec, exec, s[24:25]
	v_mov_b32_e32 v6, 0
	v_mov_b32_e32 v7, 0x3ff00000
	v_pk_mov_b32 v[8:9], 0, 0
.LBB65_17:                              ;   in Loop: Header=BB65_19 Depth=1
	s_or_b64 exec, exec, s[2:3]
	ds_read_b128 v[10:13], v0 offset:848
	ds_read_b128 v[18:21], v30 offset:80
	;; [unrolled: 1-line block ×5, first 2 shown]
	ds_read_b128 v[50:53], v30
	ds_read_b128 v[54:57], v0 offset:768
	ds_read_b128 v[58:61], v33 offset:96
	;; [unrolled: 1-line block ×7, first 2 shown]
	s_waitcnt lgkmcnt(5)
	v_fmac_f64_e32 v[60:61], v[56:57], v[50:51]
	v_fma_f64 v[22:23], v[54:55], -v[52:53], v[60:61]
	v_fmac_f64_e32 v[58:59], v[54:55], v[50:51]
	s_waitcnt lgkmcnt(2)
	v_fmac_f64_e32 v[22:23], v[44:45], v[70:71]
	v_fmac_f64_e32 v[58:59], v[56:57], v[52:53]
	v_fma_f64 v[22:23], v[42:43], -v[72:73], v[22:23]
	v_fmac_f64_e32 v[58:59], v[42:43], v[70:71]
	s_waitcnt lgkmcnt(1)
	v_fmac_f64_e32 v[22:23], v[48:49], v[74:75]
	;; [unrolled: 5-line block ×3, first 2 shown]
	v_fmac_f64_e32 v[58:59], v[48:49], v[76:77]
	v_fma_f64 v[22:23], v[66:67], -v[80:81], v[22:23]
	v_fmac_f64_e32 v[58:59], v[66:67], v[78:79]
	v_fmac_f64_e32 v[22:23], v[64:65], v[38:39]
	;; [unrolled: 1-line block ×3, first 2 shown]
	v_fma_f64 v[22:23], v[62:63], -v[40:41], v[22:23]
	v_fmac_f64_e32 v[58:59], v[62:63], v[38:39]
	v_fmac_f64_e32 v[22:23], v[12:13], v[18:19]
	;; [unrolled: 1-line block ×3, first 2 shown]
	v_fma_f64 v[22:23], v[10:11], -v[20:21], v[22:23]
	v_fmac_f64_e32 v[58:59], v[10:11], v[18:19]
	v_mul_f64 v[10:11], v[8:9], v[8:9]
	v_fmac_f64_e32 v[10:11], v[6:7], v[6:7]
	v_div_scale_f64 v[18:19], s[2:3], v[10:11], v[10:11], 1.0
	v_rcp_f64_e32 v[38:39], v[18:19]
	v_fmac_f64_e32 v[58:59], v[12:13], v[20:21]
	v_add_f64 v[12:13], v[2:3], -v[58:59]
	v_add_f64 v[4:5], v[4:5], -v[22:23]
	v_fma_f64 v[2:3], -v[18:19], v[38:39], 1.0
	v_fmac_f64_e32 v[38:39], v[38:39], v[2:3]
	v_fma_f64 v[2:3], -v[18:19], v[38:39], 1.0
	v_fmac_f64_e32 v[38:39], v[38:39], v[2:3]
	v_div_scale_f64 v[2:3], vcc, 1.0, v[10:11], 1.0
	v_mul_f64 v[20:21], v[2:3], v[38:39]
	v_fma_f64 v[2:3], -v[18:19], v[20:21], v[2:3]
	s_add_i32 s22, s22, 1
	s_nop 0
	v_div_fmas_f64 v[2:3], v[2:3], v[38:39], v[20:21]
	v_div_fixup_f64 v[10:11], v[2:3], v[10:11], 1.0
	v_mul_f64 v[2:3], v[8:9], v[4:5]
	v_mul_f64 v[8:9], v[8:9], -v[12:13]
	v_fmac_f64_e32 v[2:3], v[12:13], v[6:7]
	v_fmac_f64_e32 v[8:9], v[4:5], v[6:7]
	v_mul_f64 v[2:3], v[10:11], v[2:3]
	v_mul_f64 v[4:5], v[10:11], v[8:9]
	ds_write_b128 v30, v[2:5] offset:96
	s_waitcnt lgkmcnt(0)
	ds_read_b128 v[6:9], v35 offset:96
	ds_read_b128 v[10:13], v27
	s_cmp_ge_i32 s22, s30
	s_cselect_b64 s[26:27], -1, 0
	s_waitcnt lgkmcnt(0)
	v_fmac_f64_e32 v[10:11], v[2:3], v[6:7]
	v_fmac_f64_e32 v[12:13], v[4:5], v[6:7]
	;; [unrolled: 1-line block ×3, first 2 shown]
	v_fma_f64 v[12:13], v[2:3], -v[8:9], v[12:13]
	ds_write_b128 v27, v[10:13]
	s_waitcnt lgkmcnt(0)
	ds_read2_b64 v[2:5], v31 offset1:1
	s_waitcnt lgkmcnt(0)
	global_store_dwordx4 v[16:17], v[2:5], off
	s_waitcnt vmcnt(0)
	buffer_wbinvl1_vol
.LBB65_18:                              ;   in Loop: Header=BB65_19 Depth=1
	s_and_b64 vcc, exec, s[26:27]
	s_cbranch_vccnz .LBB65_68
.LBB65_19:                              ; =>This Loop Header: Depth=1
                                        ;     Child Loop BB65_22 Depth 2
                                        ;     Child Loop BB65_33 Depth 2
	s_ashr_i32 s23, s22, 31
	s_lshl_b64 s[2:3], s[22:23], 2
	s_add_u32 s2, s18, s2
	s_addc_u32 s3, s19, s3
	s_load_dword s23, s[2:3], 0x0
	s_waitcnt lgkmcnt(0)
	s_sub_i32 s24, s23, s13
	s_ashr_i32 s25, s24, 31
	s_lshl_b64 s[2:3], s[24:25], 2
	s_add_u32 s26, s8, s2
	s_addc_u32 s27, s9, s3
	s_load_dword s25, s[26:27], 0x0
	s_mov_b64 s[26:27], -1
	s_waitcnt lgkmcnt(0)
	s_cmp_eq_u32 s25, -1
	s_cbranch_scc1 .LBB65_18
; %bb.20:                               ;   in Loop: Header=BB65_19 Depth=1
	v_mad_u64_u32 v[2:3], s[26:27], s22, 49, v[14:15]
	v_ashrrev_i32_e32 v3, 31, v2
	v_lshlrev_b64 v[2:3], 4, v[2:3]
	v_mov_b32_e32 v4, s21
	v_add_co_u32_e32 v16, vcc, s20, v2
	v_addc_co_u32_e32 v17, vcc, v4, v3, vcc
	global_load_dwordx4 v[2:5], v[16:17], off
	s_add_u32 s26, s16, s2
	s_addc_u32 s27, s17, s3
	s_load_dword s26, s[26:27], 0x0
	ds_read_b32 v6, v0 offset:3840
	s_mov_b32 s27, 0
	s_waitcnt lgkmcnt(0)
	s_sub_i32 s26, s26, s13
	s_cmp_le_i32 s26, s25
	v_cmp_ge_i32_e32 vcc, s24, v6
	s_cselect_b64 s[28:29], -1, 0
	s_and_b64 s[28:29], s[28:29], vcc
	s_andn2_b64 vcc, exec, s[28:29]
	s_waitcnt vmcnt(0)
	ds_write2_b64 v31, v[2:3], v[4:5] offset1:1
	s_cbranch_vccnz .LBB65_32
; %bb.21:                               ;   in Loop: Header=BB65_19 Depth=1
	s_mov_b32 s34, 0
	s_mov_b32 s35, 0
.LBB65_22:                              ;   Parent Loop BB65_19 Depth=1
                                        ; =>  This Inner Loop Header: Depth=2
	s_ashr_i32 s27, s26, 31
	s_lshl_b64 s[28:29], s[26:27], 2
	s_add_u32 s28, s18, s28
	s_addc_u32 s29, s19, s29
	s_load_dword s27, s[28:29], 0x0
	s_lshl_b32 s28, s35, 2
	v_mov_b32_e32 v2, s28
	ds_read_b32 v2, v2 offset:3840
	s_mov_b64 s[28:29], -1
	s_waitcnt lgkmcnt(0)
	s_sub_i32 s39, s27, s13
                                        ; implicit-def: $sgpr27
                                        ; implicit-def: $sgpr38
                                        ; implicit-def: $sgpr37
	v_cmp_ge_i32_e32 vcc, s39, v2
	v_readfirstlane_b32 s36, v2
	s_cbranch_vccz .LBB65_28
; %bb.23:                               ;   in Loop: Header=BB65_22 Depth=2
	s_cmp_le_i32 s39, s36
                                        ; implicit-def: $sgpr27
                                        ; implicit-def: $sgpr38
                                        ; implicit-def: $sgpr37
	s_cbranch_scc0 .LBB65_25
; %bb.24:                               ;   in Loop: Header=BB65_22 Depth=2
	s_add_i32 s27, s35, s31
	s_mul_i32 s27, s27, 49
	s_lshl_b32 s28, s34, 2
	v_mov_b32_e32 v2, s28
	v_mov_b32_e32 v3, s27
	s_mul_i32 s27, s26, 49
	v_mov_b32_e32 v4, s27
	v_add_u32_e32 v2, 0xc00, v2
	ds_write2_b32 v2, v4, v3 offset0:128 offset1:160
	s_add_i32 s37, s35, 1
	s_add_i32 s38, s26, 1
	;; [unrolled: 1-line block ×3, first 2 shown]
	s_mov_b64 s[28:29], 0
.LBB65_25:                              ;   in Loop: Header=BB65_22 Depth=2
	s_andn2_b64 vcc, exec, s[28:29]
	s_cbranch_vccnz .LBB65_27
; %bb.26:                               ;   in Loop: Header=BB65_22 Depth=2
	s_add_i32 s37, s35, 1
	s_mov_b32 s27, s34
	s_mov_b32 s38, s26
.LBB65_27:                              ;   in Loop: Header=BB65_22 Depth=2
	s_mov_b64 s[28:29], 0
.LBB65_28:                              ;   in Loop: Header=BB65_22 Depth=2
	s_andn2_b64 vcc, exec, s[28:29]
	s_cbranch_vccnz .LBB65_30
; %bb.29:                               ;   in Loop: Header=BB65_22 Depth=2
	s_add_i32 s38, s26, 1
	s_mov_b32 s37, s35
	s_mov_b32 s27, s34
.LBB65_30:                              ;   in Loop: Header=BB65_22 Depth=2
	s_cmp_le_i32 s38, s25
	s_cselect_b64 s[28:29], -1, 0
	s_cmp_le_i32 s36, s24
	s_cselect_b64 s[34:35], -1, 0
	s_and_b64 s[28:29], s[28:29], s[34:35]
	s_and_b64 vcc, exec, s[28:29]
	s_cbranch_vccz .LBB65_32
; %bb.31:                               ;   in Loop: Header=BB65_22 Depth=2
	s_mov_b32 s34, s27
	s_mov_b32 s26, s38
	s_mov_b32 s35, s37
	s_branch .LBB65_22
.LBB65_32:                              ;   in Loop: Header=BB65_19 Depth=1
	s_add_u32 s2, s10, s2
	s_addc_u32 s3, s11, s3
	s_waitcnt lgkmcnt(0)
.LBB65_33:                              ;   Parent Loop BB65_19 Depth=1
                                        ; =>  This Inner Loop Header: Depth=2
	global_load_dword v2, v0, s[2:3] glc
	s_waitcnt vmcnt(0)
	v_cmp_eq_u32_e32 vcc, 0, v2
	s_cbranch_vccnz .LBB65_33
; %bb.34:                               ;   in Loop: Header=BB65_19 Depth=1
	v_mad_u64_u32 v[2:3], s[2:3], s25, 49, v[14:15]
	v_ashrrev_i32_e32 v3, 31, v2
	v_lshlrev_b64 v[2:3], 4, v[2:3]
	v_mov_b32_e32 v4, s21
	v_add_co_u32_e32 v2, vcc, s20, v2
	v_addc_co_u32_e32 v3, vcc, v4, v3, vcc
	buffer_wbinvl1_vol
	global_load_dwordx4 v[2:5], v[2:3], off
	v_pk_mov_b32 v[12:13], 0, 0
	s_cmp_lt_i32 s27, 2
	v_pk_mov_b32 v[10:11], v[12:13], v[12:13] op_sel:[0,1]
	s_waitcnt vmcnt(0)
	ds_write2_b64 v32, v[2:3], v[4:5] offset1:1
	s_waitcnt lgkmcnt(0)
	s_cbranch_scc1 .LBB65_41
; %bb.35:                               ;   in Loop: Header=BB65_19 Depth=1
	v_pk_mov_b32 v[20:21], 0, 0
	s_add_i32 s24, s27, -1
	s_movk_i32 s25, 0xe00
	v_pk_mov_b32 v[18:19], v[20:21], v[20:21] op_sel:[0,1]
	v_mov_b32_e32 v2, s25
	ds_read2_b32 v[22:23], v2 offset1:32
	s_and_b64 vcc, exec, s[4:5]
	s_cbranch_vccz .LBB65_37
.LBB65_36:                              ;   in Loop: Header=BB65_19 Depth=1
	s_waitcnt lgkmcnt(0)
	v_add_u32_e32 v10, v22, v15
	v_ashrrev_i32_e32 v11, 31, v10
	v_lshlrev_b64 v[2:3], 4, v[10:11]
	v_add_u32_e32 v12, v23, v24
	v_mov_b32_e32 v37, s21
	v_add_co_u32_e32 v38, vcc, s20, v2
	v_ashrrev_i32_e32 v13, 31, v12
	v_addc_co_u32_e32 v39, vcc, v37, v3, vcc
	v_lshlrev_b64 v[2:3], 4, v[12:13]
	v_add_co_u32_e32 v40, vcc, s20, v2
	v_addc_co_u32_e32 v41, vcc, v37, v3, vcc
	global_load_dwordx4 v[2:5], v[38:39], off
	global_load_dwordx4 v[6:9], v[40:41], off
	v_add_u32_e32 v38, 7, v10
	v_ashrrev_i32_e32 v39, 31, v38
	v_lshlrev_b64 v[38:39], 4, v[38:39]
	v_add_co_u32_e32 v46, vcc, s20, v38
	v_add_u32_e32 v38, 7, v12
	v_addc_co_u32_e32 v47, vcc, v37, v39, vcc
	v_ashrrev_i32_e32 v39, 31, v38
	v_lshlrev_b64 v[38:39], 4, v[38:39]
	v_add_co_u32_e32 v48, vcc, s20, v38
	v_addc_co_u32_e32 v49, vcc, v37, v39, vcc
	global_load_dwordx4 v[38:41], v[46:47], off
	global_load_dwordx4 v[42:45], v[48:49], off
	v_add_u32_e32 v46, 14, v10
	v_ashrrev_i32_e32 v47, 31, v46
	v_lshlrev_b64 v[46:47], 4, v[46:47]
	v_add_co_u32_e32 v54, vcc, s20, v46
	v_add_u32_e32 v46, 14, v12
	v_addc_co_u32_e32 v55, vcc, v37, v47, vcc
	v_ashrrev_i32_e32 v47, 31, v46
	v_lshlrev_b64 v[46:47], 4, v[46:47]
	v_add_co_u32_e32 v56, vcc, s20, v46
	v_addc_co_u32_e32 v57, vcc, v37, v47, vcc
	global_load_dwordx4 v[46:49], v[54:55], off
	global_load_dwordx4 v[50:53], v[56:57], off
	v_add_u32_e32 v54, 21, v10
	v_ashrrev_i32_e32 v55, 31, v54
	v_lshlrev_b64 v[54:55], 4, v[54:55]
	v_add_co_u32_e32 v62, vcc, s20, v54
	v_add_u32_e32 v54, 21, v12
	v_addc_co_u32_e32 v63, vcc, v37, v55, vcc
	v_ashrrev_i32_e32 v55, 31, v54
	v_lshlrev_b64 v[54:55], 4, v[54:55]
	v_add_co_u32_e32 v64, vcc, s20, v54
	v_addc_co_u32_e32 v65, vcc, v37, v55, vcc
	global_load_dwordx4 v[54:57], v[62:63], off
	global_load_dwordx4 v[58:61], v[64:65], off
	v_add_u32_e32 v62, 28, v10
	v_ashrrev_i32_e32 v63, 31, v62
	v_lshlrev_b64 v[62:63], 4, v[62:63]
	v_add_co_u32_e32 v70, vcc, s20, v62
	v_add_u32_e32 v62, 28, v12
	v_addc_co_u32_e32 v71, vcc, v37, v63, vcc
	v_ashrrev_i32_e32 v63, 31, v62
	v_lshlrev_b64 v[62:63], 4, v[62:63]
	v_add_co_u32_e32 v72, vcc, s20, v62
	v_addc_co_u32_e32 v73, vcc, v37, v63, vcc
	global_load_dwordx4 v[62:65], v[70:71], off
	global_load_dwordx4 v[66:69], v[72:73], off
	v_add_u32_e32 v70, 35, v10
	v_ashrrev_i32_e32 v71, 31, v70
	v_lshlrev_b64 v[70:71], 4, v[70:71]
	v_add_co_u32_e32 v78, vcc, s20, v70
	v_add_u32_e32 v70, 35, v12
	v_addc_co_u32_e32 v79, vcc, v37, v71, vcc
	v_ashrrev_i32_e32 v71, 31, v70
	v_lshlrev_b64 v[70:71], 4, v[70:71]
	v_add_u32_e32 v10, 42, v10
	v_add_co_u32_e32 v80, vcc, s20, v70
	v_ashrrev_i32_e32 v11, 31, v10
	v_addc_co_u32_e32 v81, vcc, v37, v71, vcc
	v_lshlrev_b64 v[10:11], 4, v[10:11]
	v_add_u32_e32 v12, 42, v12
	v_add_co_u32_e32 v10, vcc, s20, v10
	v_ashrrev_i32_e32 v13, 31, v12
	global_load_dwordx4 v[70:73], v[78:79], off
	global_load_dwordx4 v[74:77], v[80:81], off
	v_addc_co_u32_e32 v11, vcc, v37, v11, vcc
	v_lshlrev_b64 v[12:13], 4, v[12:13]
	v_add_co_u32_e32 v12, vcc, s20, v12
	v_addc_co_u32_e32 v13, vcc, v37, v13, vcc
	global_load_dwordx4 v[78:81], v[10:11], off
	global_load_dwordx4 v[82:85], v[12:13], off
	s_waitcnt vmcnt(12)
	v_fma_f64 v[10:11], v[2:3], v[6:7], v[18:19]
	v_fmac_f64_e32 v[10:11], v[4:5], v[8:9]
	v_fma_f64 v[4:5], v[4:5], v[6:7], v[20:21]
	v_fma_f64 v[2:3], v[2:3], -v[8:9], v[4:5]
	s_waitcnt vmcnt(10)
	v_fmac_f64_e32 v[10:11], v[38:39], v[42:43]
	v_fmac_f64_e32 v[2:3], v[40:41], v[42:43]
	v_fmac_f64_e32 v[10:11], v[40:41], v[44:45]
	v_fma_f64 v[2:3], v[38:39], -v[44:45], v[2:3]
	s_waitcnt vmcnt(8)
	v_fmac_f64_e32 v[10:11], v[46:47], v[50:51]
	v_fmac_f64_e32 v[2:3], v[48:49], v[50:51]
	v_fmac_f64_e32 v[10:11], v[48:49], v[52:53]
	v_fma_f64 v[2:3], v[46:47], -v[52:53], v[2:3]
	s_waitcnt vmcnt(6)
	v_fmac_f64_e32 v[10:11], v[54:55], v[58:59]
	v_fmac_f64_e32 v[2:3], v[56:57], v[58:59]
	v_fmac_f64_e32 v[10:11], v[56:57], v[60:61]
	v_fma_f64 v[2:3], v[54:55], -v[60:61], v[2:3]
	s_waitcnt vmcnt(4)
	v_fmac_f64_e32 v[10:11], v[62:63], v[66:67]
	v_fmac_f64_e32 v[2:3], v[64:65], v[66:67]
	v_fmac_f64_e32 v[10:11], v[64:65], v[68:69]
	v_fma_f64 v[2:3], v[62:63], -v[68:69], v[2:3]
	s_waitcnt vmcnt(2)
	v_fmac_f64_e32 v[10:11], v[70:71], v[74:75]
	v_fmac_f64_e32 v[2:3], v[72:73], v[74:75]
	v_fmac_f64_e32 v[10:11], v[72:73], v[76:77]
	v_fma_f64 v[2:3], v[70:71], -v[76:77], v[2:3]
	s_waitcnt vmcnt(0)
	v_fmac_f64_e32 v[10:11], v[78:79], v[82:83]
	v_fmac_f64_e32 v[2:3], v[80:81], v[82:83]
	v_fmac_f64_e32 v[10:11], v[80:81], v[84:85]
	v_fma_f64 v[12:13], v[78:79], -v[84:85], v[2:3]
	s_cbranch_execz .LBB65_38
	s_branch .LBB65_39
.LBB65_37:                              ;   in Loop: Header=BB65_19 Depth=1
                                        ; implicit-def: $vgpr12_vgpr13
.LBB65_38:                              ;   in Loop: Header=BB65_19 Depth=1
	s_waitcnt lgkmcnt(0)
	v_add_u32_e32 v2, v22, v1
	v_ashrrev_i32_e32 v3, 31, v2
	v_lshlrev_b64 v[2:3], 4, v[2:3]
	v_mov_b32_e32 v8, s21
	v_add_co_u32_e32 v82, vcc, s20, v2
	v_addc_co_u32_e32 v83, vcc, v8, v3, vcc
	global_load_dwordx4 v[2:5], v[82:83], off
	v_add_u32_e32 v6, v23, v28
	v_ashrrev_i32_e32 v7, 31, v6
	v_lshlrev_b64 v[6:7], 4, v[6:7]
	v_add_co_u32_e32 v22, vcc, s20, v6
	v_addc_co_u32_e32 v23, vcc, v8, v7, vcc
	global_load_dwordx4 v[6:9], v[22:23], off
	global_load_dwordx4 v[10:13], v[82:83], off offset:16
	global_load_dwordx4 v[38:41], v[22:23], off offset:16
	;; [unrolled: 1-line block ×12, first 2 shown]
	s_waitcnt vmcnt(12)
	v_fmac_f64_e32 v[18:19], v[2:3], v[6:7]
	v_fmac_f64_e32 v[20:21], v[4:5], v[6:7]
	v_fmac_f64_e32 v[18:19], v[4:5], v[8:9]
	v_fma_f64 v[2:3], v[2:3], -v[8:9], v[20:21]
	s_waitcnt vmcnt(10)
	v_fmac_f64_e32 v[18:19], v[10:11], v[38:39]
	v_fmac_f64_e32 v[2:3], v[12:13], v[38:39]
	v_fmac_f64_e32 v[18:19], v[12:13], v[40:41]
	v_fma_f64 v[2:3], v[10:11], -v[40:41], v[2:3]
	;; [unrolled: 5-line block ×7, first 2 shown]
	v_pk_mov_b32 v[10:11], v[18:19], v[18:19] op_sel:[0,1]
.LBB65_39:                              ;   in Loop: Header=BB65_19 Depth=1
	s_add_i32 s24, s24, -1
	s_add_i32 s25, s25, 4
	s_cmp_eq_u32 s24, 0
	s_cbranch_scc1 .LBB65_41
; %bb.40:                               ;   in Loop: Header=BB65_19 Depth=1
	v_pk_mov_b32 v[20:21], v[12:13], v[12:13] op_sel:[0,1]
	v_pk_mov_b32 v[18:19], v[10:11], v[10:11] op_sel:[0,1]
	v_mov_b32_e32 v2, s25
	s_waitcnt lgkmcnt(0)
	ds_read2_b32 v[22:23], v2 offset1:32
	s_and_b64 vcc, exec, s[4:5]
	s_cbranch_vccz .LBB65_37
	s_branch .LBB65_36
.LBB65_41:                              ;   in Loop: Header=BB65_19 Depth=1
	ds_write_b128 v34, v[10:13]
	s_waitcnt lgkmcnt(0)
	ds_read_b128 v[6:9], v0
	ds_read_b128 v[2:5], v30
	s_waitcnt lgkmcnt(1)
	v_cmp_neq_f64_e32 vcc, 0, v[6:7]
	v_cmp_neq_f64_e64 s[2:3], 0, v[8:9]
	s_or_b64 vcc, vcc, s[2:3]
	s_or_b64 s[2:3], vcc, s[0:1]
	v_cndmask_b32_e32 v7, v36, v7, vcc
	s_xor_b64 s[24:25], s[2:3], -1
	v_cndmask_b32_e32 v6, 0, v6, vcc
	v_cndmask_b32_e32 v9, 0, v9, vcc
	;; [unrolled: 1-line block ×3, first 2 shown]
	s_and_saveexec_b64 s[2:3], s[24:25]
	s_cbranch_execz .LBB65_45
; %bb.42:                               ;   in Loop: Header=BB65_19 Depth=1
	v_mbcnt_lo_u32_b32 v6, exec_lo, 0
	v_mbcnt_hi_u32_b32 v6, exec_hi, v6
	v_cmp_eq_u32_e32 vcc, 0, v6
	s_and_saveexec_b64 s[24:25], vcc
	s_cbranch_execz .LBB65_44
; %bb.43:                               ;   in Loop: Header=BB65_19 Depth=1
	v_mov_b32_e32 v6, s23
	global_atomic_smin v0, v6, s[14:15]
.LBB65_44:                              ;   in Loop: Header=BB65_19 Depth=1
	s_or_b64 exec, exec, s[24:25]
	v_mov_b32_e32 v6, 0
	v_mov_b32_e32 v7, 0x3ff00000
	v_pk_mov_b32 v[8:9], 0, 0
.LBB65_45:                              ;   in Loop: Header=BB65_19 Depth=1
	s_or_b64 exec, exec, s[2:3]
	v_mul_f64 v[18:19], v[8:9], v[8:9]
	v_fmac_f64_e32 v[18:19], v[6:7], v[6:7]
	ds_read_b128 v[10:13], v33
	v_div_scale_f64 v[20:21], s[2:3], v[18:19], v[18:19], 1.0
	v_rcp_f64_e32 v[22:23], v[20:21]
	s_waitcnt lgkmcnt(0)
	v_add_f64 v[10:11], v[2:3], -v[10:11]
	v_add_f64 v[4:5], v[4:5], -v[12:13]
	v_fma_f64 v[2:3], -v[20:21], v[22:23], 1.0
	v_fmac_f64_e32 v[22:23], v[22:23], v[2:3]
	v_fma_f64 v[2:3], -v[20:21], v[22:23], 1.0
	v_fmac_f64_e32 v[22:23], v[22:23], v[2:3]
	v_div_scale_f64 v[2:3], vcc, 1.0, v[18:19], 1.0
	v_mul_f64 v[12:13], v[2:3], v[22:23]
	v_fma_f64 v[2:3], -v[20:21], v[12:13], v[2:3]
	s_nop 1
	v_div_fmas_f64 v[2:3], v[2:3], v[22:23], v[12:13]
	v_div_fixup_f64 v[12:13], v[2:3], v[18:19], 1.0
	v_mul_f64 v[2:3], v[8:9], v[4:5]
	v_mul_f64 v[8:9], v[8:9], -v[10:11]
	v_fmac_f64_e32 v[2:3], v[10:11], v[6:7]
	v_fmac_f64_e32 v[8:9], v[4:5], v[6:7]
	v_mul_f64 v[2:3], v[12:13], v[2:3]
	v_mul_f64 v[4:5], v[12:13], v[8:9]
	ds_write_b128 v30, v[2:5]
	s_waitcnt lgkmcnt(0)
	ds_read_b128 v[6:9], v35
	ds_read_b128 v[10:13], v27
	s_waitcnt lgkmcnt(0)
	v_fmac_f64_e32 v[10:11], v[2:3], v[6:7]
	v_fmac_f64_e32 v[12:13], v[4:5], v[6:7]
	;; [unrolled: 1-line block ×3, first 2 shown]
	v_fma_f64 v[12:13], v[2:3], -v[8:9], v[12:13]
	ds_write_b128 v27, v[10:13]
	s_waitcnt lgkmcnt(0)
	ds_read_b128 v[6:9], v0 offset:144
	ds_read_b128 v[2:5], v30 offset:16
	s_waitcnt lgkmcnt(1)
	v_cmp_neq_f64_e32 vcc, 0, v[6:7]
	v_cmp_neq_f64_e64 s[2:3], 0, v[8:9]
	s_or_b64 vcc, vcc, s[2:3]
	s_or_b64 s[2:3], vcc, s[0:1]
	v_cndmask_b32_e32 v7, v36, v7, vcc
	s_xor_b64 s[24:25], s[2:3], -1
	v_cndmask_b32_e32 v6, 0, v6, vcc
	v_cndmask_b32_e32 v9, 0, v9, vcc
	;; [unrolled: 1-line block ×3, first 2 shown]
	s_and_saveexec_b64 s[2:3], s[24:25]
	s_cbranch_execz .LBB65_49
; %bb.46:                               ;   in Loop: Header=BB65_19 Depth=1
	v_mbcnt_lo_u32_b32 v6, exec_lo, 0
	v_mbcnt_hi_u32_b32 v6, exec_hi, v6
	v_cmp_eq_u32_e32 vcc, 0, v6
	s_and_saveexec_b64 s[24:25], vcc
	s_cbranch_execz .LBB65_48
; %bb.47:                               ;   in Loop: Header=BB65_19 Depth=1
	v_mov_b32_e32 v6, s23
	global_atomic_smin v0, v6, s[14:15]
.LBB65_48:                              ;   in Loop: Header=BB65_19 Depth=1
	s_or_b64 exec, exec, s[24:25]
	v_mov_b32_e32 v6, 0
	v_mov_b32_e32 v7, 0x3ff00000
	v_pk_mov_b32 v[8:9], 0, 0
.LBB65_49:                              ;   in Loop: Header=BB65_19 Depth=1
	s_or_b64 exec, exec, s[2:3]
	ds_read_b128 v[10:13], v0 offset:128
	ds_read_b128 v[18:21], v30
	ds_read_b128 v[38:41], v33 offset:16
	v_mul_f64 v[22:23], v[8:9], v[8:9]
	v_fmac_f64_e32 v[22:23], v[6:7], v[6:7]
	s_waitcnt lgkmcnt(0)
	v_fmac_f64_e32 v[40:41], v[12:13], v[18:19]
	v_fmac_f64_e32 v[38:39], v[10:11], v[18:19]
	v_div_scale_f64 v[18:19], s[2:3], v[22:23], v[22:23], 1.0
	v_fma_f64 v[10:11], v[10:11], -v[20:21], v[40:41]
	v_rcp_f64_e32 v[40:41], v[18:19]
	v_fmac_f64_e32 v[38:39], v[12:13], v[20:21]
	v_add_f64 v[12:13], v[2:3], -v[38:39]
	v_add_f64 v[4:5], v[4:5], -v[10:11]
	v_fma_f64 v[2:3], -v[18:19], v[40:41], 1.0
	v_fmac_f64_e32 v[40:41], v[40:41], v[2:3]
	v_fma_f64 v[2:3], -v[18:19], v[40:41], 1.0
	v_fmac_f64_e32 v[40:41], v[40:41], v[2:3]
	v_div_scale_f64 v[2:3], vcc, 1.0, v[22:23], 1.0
	v_mul_f64 v[10:11], v[2:3], v[40:41]
	v_fma_f64 v[2:3], -v[18:19], v[10:11], v[2:3]
	s_nop 1
	v_div_fmas_f64 v[2:3], v[2:3], v[40:41], v[10:11]
	v_div_fixup_f64 v[10:11], v[2:3], v[22:23], 1.0
	v_mul_f64 v[2:3], v[8:9], v[4:5]
	v_mul_f64 v[8:9], v[8:9], -v[12:13]
	v_fmac_f64_e32 v[2:3], v[12:13], v[6:7]
	v_fmac_f64_e32 v[8:9], v[4:5], v[6:7]
	v_mul_f64 v[2:3], v[10:11], v[2:3]
	v_mul_f64 v[4:5], v[10:11], v[8:9]
	ds_write_b128 v30, v[2:5] offset:16
	s_waitcnt lgkmcnt(0)
	ds_read_b128 v[6:9], v35 offset:16
	ds_read_b128 v[10:13], v27
	s_waitcnt lgkmcnt(0)
	v_fmac_f64_e32 v[10:11], v[2:3], v[6:7]
	v_fmac_f64_e32 v[12:13], v[4:5], v[6:7]
	;; [unrolled: 1-line block ×3, first 2 shown]
	v_fma_f64 v[12:13], v[2:3], -v[8:9], v[12:13]
	ds_write_b128 v27, v[10:13]
	s_waitcnt lgkmcnt(0)
	ds_read_b128 v[6:9], v0 offset:288
	ds_read_b128 v[2:5], v30 offset:32
	s_waitcnt lgkmcnt(1)
	v_cmp_neq_f64_e32 vcc, 0, v[6:7]
	v_cmp_neq_f64_e64 s[2:3], 0, v[8:9]
	s_or_b64 vcc, vcc, s[2:3]
	s_or_b64 s[2:3], vcc, s[0:1]
	v_cndmask_b32_e32 v7, v36, v7, vcc
	s_xor_b64 s[24:25], s[2:3], -1
	v_cndmask_b32_e32 v6, 0, v6, vcc
	v_cndmask_b32_e32 v9, 0, v9, vcc
	;; [unrolled: 1-line block ×3, first 2 shown]
	s_and_saveexec_b64 s[2:3], s[24:25]
	s_cbranch_execz .LBB65_53
; %bb.50:                               ;   in Loop: Header=BB65_19 Depth=1
	v_mbcnt_lo_u32_b32 v6, exec_lo, 0
	v_mbcnt_hi_u32_b32 v6, exec_hi, v6
	v_cmp_eq_u32_e32 vcc, 0, v6
	s_and_saveexec_b64 s[24:25], vcc
	s_cbranch_execz .LBB65_52
; %bb.51:                               ;   in Loop: Header=BB65_19 Depth=1
	v_mov_b32_e32 v6, s23
	global_atomic_smin v0, v6, s[14:15]
.LBB65_52:                              ;   in Loop: Header=BB65_19 Depth=1
	s_or_b64 exec, exec, s[24:25]
	v_mov_b32_e32 v6, 0
	v_mov_b32_e32 v7, 0x3ff00000
	v_pk_mov_b32 v[8:9], 0, 0
.LBB65_53:                              ;   in Loop: Header=BB65_19 Depth=1
	s_or_b64 exec, exec, s[2:3]
	ds_read_b128 v[10:13], v0 offset:256
	ds_read_b128 v[18:21], v33 offset:32
	ds_read_b128 v[38:41], v30
	ds_read_b128 v[42:45], v0 offset:272
	ds_read_b128 v[46:49], v30 offset:16
	s_waitcnt lgkmcnt(2)
	v_fmac_f64_e32 v[20:21], v[12:13], v[38:39]
	v_fma_f64 v[20:21], v[10:11], -v[40:41], v[20:21]
	v_fmac_f64_e32 v[18:19], v[10:11], v[38:39]
	v_mul_f64 v[10:11], v[8:9], v[8:9]
	v_fmac_f64_e32 v[10:11], v[6:7], v[6:7]
	v_fmac_f64_e32 v[18:19], v[12:13], v[40:41]
	v_div_scale_f64 v[12:13], s[2:3], v[10:11], v[10:11], 1.0
	v_rcp_f64_e32 v[22:23], v[12:13]
	s_waitcnt lgkmcnt(0)
	v_fmac_f64_e32 v[18:19], v[42:43], v[46:47]
	v_fmac_f64_e32 v[18:19], v[44:45], v[48:49]
	v_add_f64 v[18:19], v[2:3], -v[18:19]
	v_fma_f64 v[2:3], -v[12:13], v[22:23], 1.0
	v_fmac_f64_e32 v[22:23], v[22:23], v[2:3]
	v_fmac_f64_e32 v[20:21], v[44:45], v[46:47]
	v_fma_f64 v[2:3], -v[12:13], v[22:23], 1.0
	v_fma_f64 v[20:21], v[42:43], -v[48:49], v[20:21]
	v_fmac_f64_e32 v[22:23], v[22:23], v[2:3]
	v_div_scale_f64 v[2:3], vcc, 1.0, v[10:11], 1.0
	v_add_f64 v[4:5], v[4:5], -v[20:21]
	v_mul_f64 v[20:21], v[2:3], v[22:23]
	v_fma_f64 v[2:3], -v[12:13], v[20:21], v[2:3]
	s_nop 0
	v_div_fmas_f64 v[2:3], v[2:3], v[22:23], v[20:21]
	v_div_fixup_f64 v[10:11], v[2:3], v[10:11], 1.0
	v_mul_f64 v[2:3], v[8:9], v[4:5]
	v_mul_f64 v[8:9], v[8:9], -v[18:19]
	v_fmac_f64_e32 v[2:3], v[18:19], v[6:7]
	v_fmac_f64_e32 v[8:9], v[4:5], v[6:7]
	v_mul_f64 v[2:3], v[10:11], v[2:3]
	v_mul_f64 v[4:5], v[10:11], v[8:9]
	ds_write_b128 v30, v[2:5] offset:32
	s_waitcnt lgkmcnt(0)
	ds_read_b128 v[6:9], v35 offset:32
	ds_read_b128 v[10:13], v27
	s_waitcnt lgkmcnt(0)
	v_fmac_f64_e32 v[10:11], v[2:3], v[6:7]
	v_fmac_f64_e32 v[12:13], v[4:5], v[6:7]
	;; [unrolled: 1-line block ×3, first 2 shown]
	v_fma_f64 v[12:13], v[2:3], -v[8:9], v[12:13]
	ds_write_b128 v27, v[10:13]
	s_waitcnt lgkmcnt(0)
	ds_read_b128 v[6:9], v0 offset:432
	ds_read_b128 v[2:5], v30 offset:48
	s_waitcnt lgkmcnt(1)
	v_cmp_neq_f64_e32 vcc, 0, v[6:7]
	v_cmp_neq_f64_e64 s[2:3], 0, v[8:9]
	s_or_b64 vcc, vcc, s[2:3]
	s_or_b64 s[2:3], vcc, s[0:1]
	v_cndmask_b32_e32 v7, v36, v7, vcc
	s_xor_b64 s[24:25], s[2:3], -1
	v_cndmask_b32_e32 v6, 0, v6, vcc
	v_cndmask_b32_e32 v9, 0, v9, vcc
	;; [unrolled: 1-line block ×3, first 2 shown]
	s_and_saveexec_b64 s[2:3], s[24:25]
	s_cbranch_execz .LBB65_57
; %bb.54:                               ;   in Loop: Header=BB65_19 Depth=1
	v_mbcnt_lo_u32_b32 v6, exec_lo, 0
	v_mbcnt_hi_u32_b32 v6, exec_hi, v6
	v_cmp_eq_u32_e32 vcc, 0, v6
	s_and_saveexec_b64 s[24:25], vcc
	s_cbranch_execz .LBB65_56
; %bb.55:                               ;   in Loop: Header=BB65_19 Depth=1
	v_mov_b32_e32 v6, s23
	global_atomic_smin v0, v6, s[14:15]
.LBB65_56:                              ;   in Loop: Header=BB65_19 Depth=1
	s_or_b64 exec, exec, s[24:25]
	v_mov_b32_e32 v6, 0
	v_mov_b32_e32 v7, 0x3ff00000
	v_pk_mov_b32 v[8:9], 0, 0
.LBB65_57:                              ;   in Loop: Header=BB65_19 Depth=1
	s_or_b64 exec, exec, s[2:3]
	ds_read_b128 v[10:13], v30
	ds_read_b128 v[18:21], v33 offset:48
	ds_read_b128 v[38:41], v0 offset:384
	ds_read_b128 v[42:45], v0 offset:400
	ds_read_b128 v[46:49], v30 offset:16
	ds_read_b128 v[50:53], v30 offset:32
	ds_read_b128 v[54:57], v0 offset:416
	s_waitcnt lgkmcnt(4)
	v_fmac_f64_e32 v[20:21], v[40:41], v[10:11]
	v_fmac_f64_e32 v[18:19], v[38:39], v[10:11]
	v_mul_f64 v[10:11], v[8:9], v[8:9]
	v_fmac_f64_e32 v[10:11], v[6:7], v[6:7]
	v_fma_f64 v[20:21], v[38:39], -v[12:13], v[20:21]
	v_fmac_f64_e32 v[18:19], v[40:41], v[12:13]
	v_div_scale_f64 v[12:13], s[2:3], v[10:11], v[10:11], 1.0
	s_waitcnt lgkmcnt(2)
	v_fmac_f64_e32 v[18:19], v[42:43], v[46:47]
	v_rcp_f64_e32 v[22:23], v[12:13]
	v_fmac_f64_e32 v[18:19], v[44:45], v[48:49]
	s_waitcnt lgkmcnt(0)
	v_fmac_f64_e32 v[18:19], v[54:55], v[50:51]
	v_fmac_f64_e32 v[18:19], v[56:57], v[52:53]
	;; [unrolled: 1-line block ×3, first 2 shown]
	v_add_f64 v[18:19], v[2:3], -v[18:19]
	v_fma_f64 v[2:3], -v[12:13], v[22:23], 1.0
	v_fma_f64 v[20:21], v[42:43], -v[48:49], v[20:21]
	v_fmac_f64_e32 v[22:23], v[22:23], v[2:3]
	v_fmac_f64_e32 v[20:21], v[56:57], v[50:51]
	v_fma_f64 v[2:3], -v[12:13], v[22:23], 1.0
	v_fma_f64 v[20:21], v[54:55], -v[52:53], v[20:21]
	v_fmac_f64_e32 v[22:23], v[22:23], v[2:3]
	v_div_scale_f64 v[2:3], vcc, 1.0, v[10:11], 1.0
	v_add_f64 v[4:5], v[4:5], -v[20:21]
	v_mul_f64 v[20:21], v[2:3], v[22:23]
	v_fma_f64 v[2:3], -v[12:13], v[20:21], v[2:3]
	s_nop 0
	v_div_fmas_f64 v[2:3], v[2:3], v[22:23], v[20:21]
	v_div_fixup_f64 v[10:11], v[2:3], v[10:11], 1.0
	v_mul_f64 v[2:3], v[8:9], v[4:5]
	v_mul_f64 v[8:9], v[8:9], -v[18:19]
	v_fmac_f64_e32 v[2:3], v[18:19], v[6:7]
	v_fmac_f64_e32 v[8:9], v[4:5], v[6:7]
	v_mul_f64 v[2:3], v[10:11], v[2:3]
	v_mul_f64 v[4:5], v[10:11], v[8:9]
	ds_write_b128 v30, v[2:5] offset:48
	s_waitcnt lgkmcnt(0)
	ds_read_b128 v[6:9], v35 offset:48
	ds_read_b128 v[10:13], v27
	s_waitcnt lgkmcnt(0)
	v_fmac_f64_e32 v[10:11], v[2:3], v[6:7]
	v_fmac_f64_e32 v[12:13], v[4:5], v[6:7]
	;; [unrolled: 1-line block ×3, first 2 shown]
	v_fma_f64 v[12:13], v[2:3], -v[8:9], v[12:13]
	ds_write_b128 v27, v[10:13]
	s_waitcnt lgkmcnt(0)
	ds_read_b128 v[6:9], v0 offset:576
	ds_read_b128 v[2:5], v30 offset:64
	s_waitcnt lgkmcnt(1)
	v_cmp_neq_f64_e32 vcc, 0, v[6:7]
	v_cmp_neq_f64_e64 s[2:3], 0, v[8:9]
	s_or_b64 vcc, vcc, s[2:3]
	s_or_b64 s[2:3], vcc, s[0:1]
	v_cndmask_b32_e32 v7, v36, v7, vcc
	s_xor_b64 s[24:25], s[2:3], -1
	v_cndmask_b32_e32 v6, 0, v6, vcc
	v_cndmask_b32_e32 v9, 0, v9, vcc
	;; [unrolled: 1-line block ×3, first 2 shown]
	s_and_saveexec_b64 s[2:3], s[24:25]
	s_cbranch_execz .LBB65_61
; %bb.58:                               ;   in Loop: Header=BB65_19 Depth=1
	v_mbcnt_lo_u32_b32 v6, exec_lo, 0
	v_mbcnt_hi_u32_b32 v6, exec_hi, v6
	v_cmp_eq_u32_e32 vcc, 0, v6
	s_and_saveexec_b64 s[24:25], vcc
	s_cbranch_execz .LBB65_60
; %bb.59:                               ;   in Loop: Header=BB65_19 Depth=1
	v_mov_b32_e32 v6, s23
	global_atomic_smin v0, v6, s[14:15]
.LBB65_60:                              ;   in Loop: Header=BB65_19 Depth=1
	s_or_b64 exec, exec, s[24:25]
	v_mov_b32_e32 v6, 0
	v_mov_b32_e32 v7, 0x3ff00000
	v_pk_mov_b32 v[8:9], 0, 0
.LBB65_61:                              ;   in Loop: Header=BB65_19 Depth=1
	s_or_b64 exec, exec, s[2:3]
	ds_read_b128 v[10:13], v0 offset:528
	ds_read_b128 v[18:21], v0 offset:544
	;; [unrolled: 1-line block ×4, first 2 shown]
	ds_read_b128 v[46:49], v30
	ds_read_b128 v[50:53], v0 offset:560
	ds_read_b128 v[54:57], v30 offset:16
	;; [unrolled: 1-line block ×4, first 2 shown]
	s_waitcnt lgkmcnt(4)
	v_fmac_f64_e32 v[44:45], v[40:41], v[46:47]
	v_fma_f64 v[22:23], v[38:39], -v[48:49], v[44:45]
	v_fmac_f64_e32 v[42:43], v[38:39], v[46:47]
	s_waitcnt lgkmcnt(2)
	v_fmac_f64_e32 v[22:23], v[12:13], v[54:55]
	v_fmac_f64_e32 v[42:43], v[40:41], v[48:49]
	v_fma_f64 v[22:23], v[10:11], -v[56:57], v[22:23]
	v_fmac_f64_e32 v[42:43], v[10:11], v[54:55]
	v_mul_f64 v[10:11], v[8:9], v[8:9]
	v_fmac_f64_e32 v[10:11], v[6:7], v[6:7]
	s_waitcnt lgkmcnt(1)
	v_fmac_f64_e32 v[22:23], v[20:21], v[58:59]
	v_fmac_f64_e32 v[42:43], v[12:13], v[56:57]
	v_div_scale_f64 v[12:13], s[2:3], v[10:11], v[10:11], 1.0
	v_fma_f64 v[22:23], v[18:19], -v[60:61], v[22:23]
	v_fmac_f64_e32 v[42:43], v[18:19], v[58:59]
	v_rcp_f64_e32 v[18:19], v[12:13]
	v_fmac_f64_e32 v[42:43], v[20:21], v[60:61]
	s_waitcnt lgkmcnt(0)
	v_fmac_f64_e32 v[42:43], v[50:51], v[62:63]
	v_fmac_f64_e32 v[42:43], v[52:53], v[64:65]
	v_add_f64 v[20:21], v[2:3], -v[42:43]
	v_fma_f64 v[2:3], -v[12:13], v[18:19], 1.0
	v_fmac_f64_e32 v[18:19], v[18:19], v[2:3]
	v_fmac_f64_e32 v[22:23], v[52:53], v[62:63]
	v_fma_f64 v[2:3], -v[12:13], v[18:19], 1.0
	v_fma_f64 v[22:23], v[50:51], -v[64:65], v[22:23]
	v_fmac_f64_e32 v[18:19], v[18:19], v[2:3]
	v_div_scale_f64 v[2:3], vcc, 1.0, v[10:11], 1.0
	v_add_f64 v[4:5], v[4:5], -v[22:23]
	v_mul_f64 v[22:23], v[2:3], v[18:19]
	v_fma_f64 v[2:3], -v[12:13], v[22:23], v[2:3]
	s_nop 0
	v_div_fmas_f64 v[2:3], v[2:3], v[18:19], v[22:23]
	v_div_fixup_f64 v[10:11], v[2:3], v[10:11], 1.0
	v_mul_f64 v[2:3], v[8:9], v[4:5]
	v_mul_f64 v[8:9], v[8:9], -v[20:21]
	v_fmac_f64_e32 v[2:3], v[20:21], v[6:7]
	v_fmac_f64_e32 v[8:9], v[4:5], v[6:7]
	v_mul_f64 v[2:3], v[10:11], v[2:3]
	v_mul_f64 v[4:5], v[10:11], v[8:9]
	ds_write_b128 v30, v[2:5] offset:64
	s_waitcnt lgkmcnt(0)
	ds_read_b128 v[6:9], v35 offset:64
	ds_read_b128 v[10:13], v27
	s_waitcnt lgkmcnt(0)
	v_fmac_f64_e32 v[10:11], v[2:3], v[6:7]
	v_fmac_f64_e32 v[12:13], v[4:5], v[6:7]
	;; [unrolled: 1-line block ×3, first 2 shown]
	v_fma_f64 v[12:13], v[2:3], -v[8:9], v[12:13]
	ds_write_b128 v27, v[10:13]
	s_waitcnt lgkmcnt(0)
	ds_read_b128 v[6:9], v0 offset:720
	ds_read_b128 v[2:5], v30 offset:80
	s_waitcnt lgkmcnt(1)
	v_cmp_neq_f64_e32 vcc, 0, v[6:7]
	v_cmp_neq_f64_e64 s[2:3], 0, v[8:9]
	s_or_b64 vcc, vcc, s[2:3]
	s_or_b64 s[2:3], vcc, s[0:1]
	v_cndmask_b32_e32 v7, v36, v7, vcc
	s_xor_b64 s[24:25], s[2:3], -1
	v_cndmask_b32_e32 v6, 0, v6, vcc
	v_cndmask_b32_e32 v9, 0, v9, vcc
	;; [unrolled: 1-line block ×3, first 2 shown]
	s_and_saveexec_b64 s[2:3], s[24:25]
	s_cbranch_execz .LBB65_65
; %bb.62:                               ;   in Loop: Header=BB65_19 Depth=1
	v_mbcnt_lo_u32_b32 v6, exec_lo, 0
	v_mbcnt_hi_u32_b32 v6, exec_hi, v6
	v_cmp_eq_u32_e32 vcc, 0, v6
	s_and_saveexec_b64 s[24:25], vcc
	s_cbranch_execz .LBB65_64
; %bb.63:                               ;   in Loop: Header=BB65_19 Depth=1
	v_mov_b32_e32 v6, s23
	global_atomic_smin v0, v6, s[14:15]
.LBB65_64:                              ;   in Loop: Header=BB65_19 Depth=1
	s_or_b64 exec, exec, s[24:25]
	v_mov_b32_e32 v6, 0
	v_mov_b32_e32 v7, 0x3ff00000
	v_pk_mov_b32 v[8:9], 0, 0
.LBB65_65:                              ;   in Loop: Header=BB65_19 Depth=1
	s_or_b64 exec, exec, s[2:3]
	ds_read_b128 v[10:13], v0 offset:704
	ds_read_b128 v[18:21], v0 offset:640
	ds_read_b128 v[38:41], v0 offset:656
	ds_read_b128 v[42:45], v30
	ds_read_b128 v[46:49], v30 offset:64
	ds_read_b128 v[50:53], v33 offset:80
	;; [unrolled: 1-line block ×7, first 2 shown]
	s_waitcnt lgkmcnt(5)
	v_fmac_f64_e32 v[52:53], v[20:21], v[42:43]
	v_fma_f64 v[22:23], v[18:19], -v[44:45], v[52:53]
	v_fmac_f64_e32 v[50:51], v[18:19], v[42:43]
	s_waitcnt lgkmcnt(2)
	v_fmac_f64_e32 v[22:23], v[40:41], v[62:63]
	v_fmac_f64_e32 v[50:51], v[20:21], v[44:45]
	v_fma_f64 v[22:23], v[38:39], -v[64:65], v[22:23]
	v_fmac_f64_e32 v[50:51], v[38:39], v[62:63]
	s_waitcnt lgkmcnt(1)
	v_fmac_f64_e32 v[22:23], v[56:57], v[66:67]
	;; [unrolled: 5-line block ×3, first 2 shown]
	v_fmac_f64_e32 v[50:51], v[56:57], v[68:69]
	v_fma_f64 v[22:23], v[58:59], -v[72:73], v[22:23]
	v_fmac_f64_e32 v[50:51], v[58:59], v[70:71]
	v_fmac_f64_e32 v[22:23], v[12:13], v[46:47]
	;; [unrolled: 1-line block ×3, first 2 shown]
	v_fma_f64 v[22:23], v[10:11], -v[48:49], v[22:23]
	v_fmac_f64_e32 v[50:51], v[10:11], v[46:47]
	v_mul_f64 v[10:11], v[8:9], v[8:9]
	v_fmac_f64_e32 v[10:11], v[6:7], v[6:7]
	v_div_scale_f64 v[18:19], s[2:3], v[10:11], v[10:11], 1.0
	v_rcp_f64_e32 v[20:21], v[18:19]
	v_fmac_f64_e32 v[50:51], v[12:13], v[48:49]
	v_add_f64 v[12:13], v[2:3], -v[50:51]
	v_add_f64 v[4:5], v[4:5], -v[22:23]
	v_fma_f64 v[2:3], -v[18:19], v[20:21], 1.0
	v_fmac_f64_e32 v[20:21], v[20:21], v[2:3]
	v_fma_f64 v[2:3], -v[18:19], v[20:21], 1.0
	v_fmac_f64_e32 v[20:21], v[20:21], v[2:3]
	v_div_scale_f64 v[2:3], vcc, 1.0, v[10:11], 1.0
	v_mul_f64 v[22:23], v[2:3], v[20:21]
	v_fma_f64 v[2:3], -v[18:19], v[22:23], v[2:3]
	s_nop 1
	v_div_fmas_f64 v[2:3], v[2:3], v[20:21], v[22:23]
	v_div_fixup_f64 v[10:11], v[2:3], v[10:11], 1.0
	v_mul_f64 v[2:3], v[8:9], v[4:5]
	v_mul_f64 v[8:9], v[8:9], -v[12:13]
	v_fmac_f64_e32 v[2:3], v[12:13], v[6:7]
	v_fmac_f64_e32 v[8:9], v[4:5], v[6:7]
	v_mul_f64 v[2:3], v[10:11], v[2:3]
	v_mul_f64 v[4:5], v[10:11], v[8:9]
	ds_write_b128 v30, v[2:5] offset:80
	s_waitcnt lgkmcnt(0)
	ds_read_b128 v[6:9], v35 offset:80
	ds_read_b128 v[10:13], v27
	s_waitcnt lgkmcnt(0)
	v_fmac_f64_e32 v[10:11], v[2:3], v[6:7]
	v_fmac_f64_e32 v[12:13], v[4:5], v[6:7]
	;; [unrolled: 1-line block ×3, first 2 shown]
	v_fma_f64 v[12:13], v[2:3], -v[8:9], v[12:13]
	ds_write_b128 v27, v[10:13]
	s_waitcnt lgkmcnt(0)
	ds_read_b128 v[6:9], v0 offset:864
	ds_read_b128 v[2:5], v30 offset:96
	s_waitcnt lgkmcnt(1)
	v_cmp_neq_f64_e32 vcc, 0, v[6:7]
	v_cmp_neq_f64_e64 s[2:3], 0, v[8:9]
	s_or_b64 vcc, vcc, s[2:3]
	s_or_b64 s[2:3], vcc, s[0:1]
	v_cndmask_b32_e32 v7, v36, v7, vcc
	s_xor_b64 s[24:25], s[2:3], -1
	v_cndmask_b32_e32 v6, 0, v6, vcc
	v_cndmask_b32_e32 v9, 0, v9, vcc
	;; [unrolled: 1-line block ×3, first 2 shown]
	s_and_saveexec_b64 s[2:3], s[24:25]
	s_cbranch_execz .LBB65_17
; %bb.66:                               ;   in Loop: Header=BB65_19 Depth=1
	v_mbcnt_lo_u32_b32 v6, exec_lo, 0
	v_mbcnt_hi_u32_b32 v6, exec_hi, v6
	v_cmp_eq_u32_e32 vcc, 0, v6
	s_and_saveexec_b64 s[24:25], vcc
	s_cbranch_execz .LBB65_16
; %bb.67:                               ;   in Loop: Header=BB65_19 Depth=1
	v_mov_b32_e32 v6, s23
	global_atomic_smin v0, v6, s[14:15]
	s_branch .LBB65_16
.LBB65_68:
	s_cmp_lg_u32 s33, 0
	s_cselect_b64 s[8:9], -1, 0
	s_cmp_eq_u32 s33, 0
	v_mov_b32_e32 v0, v25
	s_cbranch_scc1 .LBB65_70
; %bb.69:
	v_mad_u32_u24 v0, v15, 7, v24
.LBB65_70:
	s_mul_i32 s30, s30, 49
	v_add_u32_e32 v0, s30, v0
	v_ashrrev_i32_e32 v1, 31, v0
	v_lshlrev_b64 v[0:1], 4, v[0:1]
	v_mov_b32_e32 v2, s21
	v_add_co_u32_e32 v0, vcc, s20, v0
	v_addc_co_u32_e32 v1, vcc, v2, v1, vcc
	global_load_dwordx4 v[0:3], v[0:1], off
	v_cmp_ne_u32_e64 s[2:3], 0, v24
	v_cmp_eq_u32_e32 vcc, 0, v24
	s_waitcnt vmcnt(0)
	ds_write2_b64 v29, v[0:1], v[2:3] offset0:224 offset1:225
	s_waitcnt lgkmcnt(0)
	s_and_saveexec_b64 s[0:1], vcc
	s_cbranch_execz .LBB65_79
; %bb.71:
	v_mov_b32_e32 v4, 0
	ds_read_b128 v[0:3], v4 offset:2688
	ds_read_b128 v[4:7], v4 offset:1792
	s_waitcnt lgkmcnt(0)
	v_add_f64 v[0:1], v[4:5], -v[0:1]
	v_add_f64 v[4:5], v[6:7], -v[2:3]
	v_xor_b32_e32 v2, 0x80000000, v1
	v_cmp_gt_f64_e32 vcc, 0, v[0:1]
	v_cndmask_b32_e32 v1, v1, v2, vcc
	v_cndmask_b32_e32 v0, v0, v0, vcc
	v_xor_b32_e32 v2, 0x80000000, v5
	v_cmp_gt_f64_e32 vcc, 0, v[4:5]
	v_cndmask_b32_e32 v3, v5, v2, vcc
	v_cndmask_b32_e32 v2, v4, v4, vcc
	v_cmp_ngt_f64_e32 vcc, v[0:1], v[2:3]
	s_cbranch_vccz .LBB65_75
; %bb.72:
	v_cmp_eq_f64_e32 vcc, 0, v[4:5]
	s_mov_b64 s[4:5], 0
	v_pk_mov_b32 v[4:5], 0, 0
	s_cbranch_vccnz .LBB65_76
; %bb.73:
	v_div_scale_f64 v[4:5], s[16:17], v[2:3], v[2:3], v[0:1]
	v_rcp_f64_e32 v[6:7], v[4:5]
	v_div_scale_f64 v[8:9], vcc, v[0:1], v[2:3], v[0:1]
	s_mov_b32 s16, 0
	v_fma_f64 v[10:11], -v[4:5], v[6:7], 1.0
	v_fmac_f64_e32 v[6:7], v[6:7], v[10:11]
	v_fma_f64 v[10:11], -v[4:5], v[6:7], 1.0
	v_fmac_f64_e32 v[6:7], v[6:7], v[10:11]
	v_mul_f64 v[10:11], v[8:9], v[6:7]
	v_fma_f64 v[4:5], -v[4:5], v[10:11], v[8:9]
	v_div_fmas_f64 v[4:5], v[4:5], v[6:7], v[10:11]
	v_div_fixup_f64 v[4:5], v[4:5], v[2:3], v[0:1]
	v_fma_f64 v[4:5], v[4:5], v[4:5], 1.0
	s_brev_b32 s17, 8
	v_cmp_gt_f64_e32 vcc, s[16:17], v[4:5]
	v_cndmask_b32_e64 v6, 0, 1, vcc
	v_lshlrev_b32_e32 v6, 8, v6
	v_ldexp_f64 v[4:5], v[4:5], v6
	v_rsq_f64_e32 v[6:7], v[4:5]
	s_and_b64 s[16:17], vcc, exec
	s_cselect_b32 s16, 0xffffff80, 0
	v_mul_f64 v[8:9], v[4:5], v[6:7]
	v_mul_f64 v[6:7], v[6:7], 0.5
	v_fma_f64 v[10:11], -v[6:7], v[8:9], 0.5
	v_fmac_f64_e32 v[8:9], v[8:9], v[10:11]
	v_fma_f64 v[12:13], -v[8:9], v[8:9], v[4:5]
	v_fmac_f64_e32 v[6:7], v[6:7], v[10:11]
	v_fmac_f64_e32 v[8:9], v[12:13], v[6:7]
	v_fma_f64 v[10:11], -v[8:9], v[8:9], v[4:5]
	v_fmac_f64_e32 v[8:9], v[10:11], v[6:7]
	v_ldexp_f64 v[6:7], v[8:9], s16
	v_mov_b32_e32 v8, 0x260
	v_cmp_class_f64_e32 vcc, v[4:5], v8
	v_cndmask_b32_e32 v5, v7, v5, vcc
	v_cndmask_b32_e32 v4, v6, v4, vcc
	v_mul_f64 v[4:5], v[2:3], v[4:5]
	s_branch .LBB65_76
.LBB65_74:
	s_mov_b64 s[0:1], 0
	s_cbranch_execnz .LBB65_168
	s_branch .LBB65_173
.LBB65_75:
	s_mov_b64 s[4:5], -1
                                        ; implicit-def: $vgpr4_vgpr5
.LBB65_76:
	s_andn2_b64 vcc, exec, s[4:5]
	s_cbranch_vccnz .LBB65_78
; %bb.77:
	v_div_scale_f64 v[4:5], s[4:5], v[0:1], v[0:1], v[2:3]
	v_rcp_f64_e32 v[6:7], v[4:5]
	v_div_scale_f64 v[8:9], vcc, v[2:3], v[0:1], v[2:3]
	s_mov_b32 s4, 0
	v_fma_f64 v[10:11], -v[4:5], v[6:7], 1.0
	v_fmac_f64_e32 v[6:7], v[6:7], v[10:11]
	v_fma_f64 v[10:11], -v[4:5], v[6:7], 1.0
	v_fmac_f64_e32 v[6:7], v[6:7], v[10:11]
	v_mul_f64 v[10:11], v[8:9], v[6:7]
	v_fma_f64 v[4:5], -v[4:5], v[10:11], v[8:9]
	v_div_fmas_f64 v[4:5], v[4:5], v[6:7], v[10:11]
	v_div_fixup_f64 v[2:3], v[4:5], v[0:1], v[2:3]
	v_fma_f64 v[2:3], v[2:3], v[2:3], 1.0
	s_brev_b32 s5, 8
	v_cmp_gt_f64_e32 vcc, s[4:5], v[2:3]
	v_cndmask_b32_e64 v4, 0, 1, vcc
	v_lshlrev_b32_e32 v4, 8, v4
	v_ldexp_f64 v[2:3], v[2:3], v4
	v_rsq_f64_e32 v[4:5], v[2:3]
	s_and_b64 s[4:5], vcc, exec
	s_cselect_b32 s4, 0xffffff80, 0
	v_mul_f64 v[6:7], v[2:3], v[4:5]
	v_mul_f64 v[4:5], v[4:5], 0.5
	v_fma_f64 v[8:9], -v[4:5], v[6:7], 0.5
	v_fmac_f64_e32 v[6:7], v[6:7], v[8:9]
	v_fma_f64 v[10:11], -v[6:7], v[6:7], v[2:3]
	v_fmac_f64_e32 v[4:5], v[4:5], v[8:9]
	v_fmac_f64_e32 v[6:7], v[10:11], v[4:5]
	v_fma_f64 v[8:9], -v[6:7], v[6:7], v[2:3]
	v_fmac_f64_e32 v[6:7], v[8:9], v[4:5]
	v_ldexp_f64 v[4:5], v[6:7], s4
	v_mov_b32_e32 v6, 0x260
	v_cmp_class_f64_e32 vcc, v[2:3], v6
	v_cndmask_b32_e32 v3, v5, v3, vcc
	v_cndmask_b32_e32 v2, v4, v2, vcc
	v_mul_f64 v[4:5], v[0:1], v[2:3]
.LBB65_78:
	s_mov_b32 s4, 0
	s_brev_b32 s5, 8
	v_cmp_gt_f64_e32 vcc, s[4:5], v[4:5]
	v_cndmask_b32_e64 v0, 0, 1, vcc
	v_lshlrev_b32_e32 v0, 8, v0
	v_ldexp_f64 v[0:1], v[4:5], v0
	v_rsq_f64_e32 v[2:3], v[0:1]
	s_and_b64 s[4:5], vcc, exec
	s_cselect_b32 s4, 0xffffff80, 0
	v_mul_f64 v[4:5], v[0:1], v[2:3]
	v_mul_f64 v[2:3], v[2:3], 0.5
	v_fma_f64 v[6:7], -v[2:3], v[4:5], 0.5
	v_fmac_f64_e32 v[4:5], v[4:5], v[6:7]
	v_fma_f64 v[8:9], -v[4:5], v[4:5], v[0:1]
	v_fmac_f64_e32 v[2:3], v[2:3], v[6:7]
	v_fmac_f64_e32 v[4:5], v[8:9], v[2:3]
	v_fma_f64 v[6:7], -v[4:5], v[4:5], v[0:1]
	v_fmac_f64_e32 v[4:5], v[6:7], v[2:3]
	v_ldexp_f64 v[2:3], v[4:5], s4
	v_mov_b32_e32 v4, 0x260
	v_cmp_class_f64_e32 vcc, v[0:1], v4
	v_cndmask_b32_e32 v0, v2, v0, vcc
	v_mov_b32_e32 v2, 0
	v_cndmask_b32_e32 v1, v3, v1, vcc
	v_mov_b32_e32 v3, v2
	ds_write_b128 v2, v[0:3] offset:1792
.LBB65_79:
	s_or_b64 exec, exec, s[0:1]
	v_mov_b32_e32 v0, 0
	s_waitcnt lgkmcnt(0)
	ds_read_b128 v[0:3], v0 offset:1792
	v_or_b32_e32 v7, v15, v24
	v_cmp_ne_u32_e64 s[0:1], 0, v7
	v_mov_b32_e32 v4, 0x3ff00000
	v_add_u32_e32 v6, 0x700, v29
	s_waitcnt lgkmcnt(0)
	v_cmp_neq_f64_e32 vcc, 0, v[0:1]
	v_cmp_neq_f64_e64 s[4:5], 0, v[2:3]
	s_or_b64 vcc, vcc, s[4:5]
	s_or_b64 s[4:5], vcc, s[0:1]
	s_add_i32 s18, s12, s13
	v_cndmask_b32_e32 v1, v4, v1, vcc
	s_xor_b64 s[16:17], s[4:5], -1
	v_cndmask_b32_e32 v0, 0, v0, vcc
	v_cndmask_b32_e32 v3, 0, v3, vcc
	v_cndmask_b32_e32 v2, 0, v2, vcc
	s_and_saveexec_b64 s[4:5], s[16:17]
	s_cbranch_execz .LBB65_83
; %bb.80:
	v_mbcnt_lo_u32_b32 v0, exec_lo, 0
	v_mbcnt_hi_u32_b32 v0, exec_hi, v0
	v_cmp_eq_u32_e32 vcc, 0, v0
	s_and_saveexec_b64 s[16:17], vcc
	s_cbranch_execz .LBB65_82
; %bb.81:
	v_mov_b32_e32 v0, 0
	v_mov_b32_e32 v1, s18
	global_atomic_smin v0, v1, s[14:15]
.LBB65_82:
	s_or_b64 exec, exec, s[16:17]
	v_mov_b32_e32 v0, 0
	v_mov_b32_e32 v1, 0x3ff00000
	v_pk_mov_b32 v[2:3], 0, 0
.LBB65_83:
	s_or_b64 exec, exec, s[4:5]
	s_and_saveexec_b64 s[4:5], s[2:3]
	s_cbranch_execz .LBB65_85
; %bb.84:
	v_mul_f64 v[4:5], v[2:3], v[2:3]
	v_lshlrev_b32_e32 v14, 7, v24
	v_fmac_f64_e32 v[4:5], v[0:1], v[0:1]
	ds_read_b128 v[8:11], v14 offset:1792
	ds_read_b128 v[16:19], v14 offset:2688
	v_div_scale_f64 v[12:13], s[2:3], v[4:5], v[4:5], 1.0
	v_rcp_f64_e32 v[20:21], v[12:13]
	s_waitcnt lgkmcnt(0)
	v_add_f64 v[16:17], v[8:9], -v[16:17]
	v_add_f64 v[10:11], v[10:11], -v[18:19]
	v_fma_f64 v[8:9], -v[12:13], v[20:21], 1.0
	v_fmac_f64_e32 v[20:21], v[20:21], v[8:9]
	v_fma_f64 v[8:9], -v[12:13], v[20:21], 1.0
	v_fmac_f64_e32 v[20:21], v[20:21], v[8:9]
	v_div_scale_f64 v[8:9], vcc, 1.0, v[4:5], 1.0
	v_mul_f64 v[18:19], v[8:9], v[20:21]
	v_fma_f64 v[8:9], -v[12:13], v[18:19], v[8:9]
	s_nop 1
	v_div_fmas_f64 v[8:9], v[8:9], v[20:21], v[18:19]
	v_div_fixup_f64 v[4:5], v[8:9], v[4:5], 1.0
	v_mul_f64 v[8:9], v[2:3], v[10:11]
	v_mul_f64 v[2:3], v[2:3], -v[16:17]
	v_fmac_f64_e32 v[8:9], v[16:17], v[0:1]
	v_fmac_f64_e32 v[2:3], v[10:11], v[0:1]
	v_mul_f64 v[8:9], v[4:5], v[8:9]
	v_mul_f64 v[10:11], v[4:5], v[2:3]
	v_lshlrev_b32_e32 v0, 7, v15
	ds_write_b128 v14, v[8:11] offset:1792
	s_waitcnt lgkmcnt(0)
	ds_read_b128 v[0:3], v0 offset:1792
	ds_read_b128 v[16:19], v27
	s_waitcnt lgkmcnt(0)
	v_fmac_f64_e32 v[16:17], v[8:9], v[0:1]
	v_fmac_f64_e32 v[18:19], v[10:11], v[0:1]
	;; [unrolled: 1-line block ×3, first 2 shown]
	v_fma_f64 v[18:19], v[8:9], -v[2:3], v[18:19]
	ds_write_b128 v27, v[16:19]
.LBB65_85:
	s_or_b64 exec, exec, s[4:5]
	v_cmp_eq_u32_e32 vcc, 1, v24
	s_waitcnt lgkmcnt(0)
	s_and_saveexec_b64 s[2:3], vcc
	s_cbranch_execz .LBB65_93
; %bb.86:
	v_mov_b32_e32 v4, 0
	ds_read_b128 v[0:3], v4 offset:2832
	ds_read_b128 v[8:11], v4 offset:1936
	s_waitcnt lgkmcnt(0)
	v_add_f64 v[0:1], v[8:9], -v[0:1]
	v_add_f64 v[4:5], v[10:11], -v[2:3]
	v_xor_b32_e32 v2, 0x80000000, v1
	v_cmp_gt_f64_e32 vcc, 0, v[0:1]
	v_cndmask_b32_e32 v1, v1, v2, vcc
	v_cndmask_b32_e32 v0, v0, v0, vcc
	v_xor_b32_e32 v2, 0x80000000, v5
	v_cmp_gt_f64_e32 vcc, 0, v[4:5]
	v_cndmask_b32_e32 v3, v5, v2, vcc
	v_cndmask_b32_e32 v2, v4, v4, vcc
	v_cmp_gt_f64_e32 vcc, v[0:1], v[2:3]
	s_cbranch_vccnz .LBB65_89
; %bb.87:
	v_cmp_eq_f64_e32 vcc, 0, v[4:5]
	s_mov_b64 s[4:5], 0
	v_pk_mov_b32 v[4:5], 0, 0
	s_cbranch_vccnz .LBB65_90
; %bb.88:
	v_div_scale_f64 v[4:5], s[16:17], v[2:3], v[2:3], v[0:1]
	v_rcp_f64_e32 v[8:9], v[4:5]
	v_div_scale_f64 v[10:11], vcc, v[0:1], v[2:3], v[0:1]
	s_mov_b32 s16, 0
	v_fma_f64 v[12:13], -v[4:5], v[8:9], 1.0
	v_fmac_f64_e32 v[8:9], v[8:9], v[12:13]
	v_fma_f64 v[12:13], -v[4:5], v[8:9], 1.0
	v_fmac_f64_e32 v[8:9], v[8:9], v[12:13]
	v_mul_f64 v[12:13], v[10:11], v[8:9]
	v_fma_f64 v[4:5], -v[4:5], v[12:13], v[10:11]
	v_div_fmas_f64 v[4:5], v[4:5], v[8:9], v[12:13]
	v_div_fixup_f64 v[4:5], v[4:5], v[2:3], v[0:1]
	v_fma_f64 v[4:5], v[4:5], v[4:5], 1.0
	s_brev_b32 s17, 8
	v_cmp_gt_f64_e32 vcc, s[16:17], v[4:5]
	v_cndmask_b32_e64 v8, 0, 1, vcc
	v_lshlrev_b32_e32 v8, 8, v8
	v_ldexp_f64 v[4:5], v[4:5], v8
	v_rsq_f64_e32 v[8:9], v[4:5]
	s_and_b64 s[16:17], vcc, exec
	s_cselect_b32 s16, 0xffffff80, 0
	v_mul_f64 v[10:11], v[4:5], v[8:9]
	v_mul_f64 v[8:9], v[8:9], 0.5
	v_fma_f64 v[12:13], -v[8:9], v[10:11], 0.5
	v_fmac_f64_e32 v[10:11], v[10:11], v[12:13]
	v_fma_f64 v[16:17], -v[10:11], v[10:11], v[4:5]
	v_fmac_f64_e32 v[8:9], v[8:9], v[12:13]
	v_fmac_f64_e32 v[10:11], v[16:17], v[8:9]
	v_fma_f64 v[12:13], -v[10:11], v[10:11], v[4:5]
	v_fmac_f64_e32 v[10:11], v[12:13], v[8:9]
	v_ldexp_f64 v[8:9], v[10:11], s16
	v_mov_b32_e32 v10, 0x260
	v_cmp_class_f64_e32 vcc, v[4:5], v10
	v_cndmask_b32_e32 v5, v9, v5, vcc
	v_cndmask_b32_e32 v4, v8, v4, vcc
	v_mul_f64 v[4:5], v[2:3], v[4:5]
	s_branch .LBB65_90
.LBB65_89:
	s_mov_b64 s[4:5], -1
                                        ; implicit-def: $vgpr4_vgpr5
.LBB65_90:
	s_andn2_b64 vcc, exec, s[4:5]
	s_cbranch_vccnz .LBB65_92
; %bb.91:
	v_div_scale_f64 v[4:5], s[4:5], v[0:1], v[0:1], v[2:3]
	v_rcp_f64_e32 v[8:9], v[4:5]
	v_div_scale_f64 v[10:11], vcc, v[2:3], v[0:1], v[2:3]
	s_mov_b32 s4, 0
	v_fma_f64 v[12:13], -v[4:5], v[8:9], 1.0
	v_fmac_f64_e32 v[8:9], v[8:9], v[12:13]
	v_fma_f64 v[12:13], -v[4:5], v[8:9], 1.0
	v_fmac_f64_e32 v[8:9], v[8:9], v[12:13]
	v_mul_f64 v[12:13], v[10:11], v[8:9]
	v_fma_f64 v[4:5], -v[4:5], v[12:13], v[10:11]
	v_div_fmas_f64 v[4:5], v[4:5], v[8:9], v[12:13]
	v_div_fixup_f64 v[2:3], v[4:5], v[0:1], v[2:3]
	v_fma_f64 v[2:3], v[2:3], v[2:3], 1.0
	s_brev_b32 s5, 8
	v_cmp_gt_f64_e32 vcc, s[4:5], v[2:3]
	v_cndmask_b32_e64 v4, 0, 1, vcc
	v_lshlrev_b32_e32 v4, 8, v4
	v_ldexp_f64 v[2:3], v[2:3], v4
	v_rsq_f64_e32 v[4:5], v[2:3]
	s_and_b64 s[4:5], vcc, exec
	s_cselect_b32 s4, 0xffffff80, 0
	v_mul_f64 v[8:9], v[2:3], v[4:5]
	v_mul_f64 v[4:5], v[4:5], 0.5
	v_fma_f64 v[10:11], -v[4:5], v[8:9], 0.5
	v_fmac_f64_e32 v[8:9], v[8:9], v[10:11]
	v_fma_f64 v[12:13], -v[8:9], v[8:9], v[2:3]
	v_fmac_f64_e32 v[4:5], v[4:5], v[10:11]
	v_fmac_f64_e32 v[8:9], v[12:13], v[4:5]
	v_fma_f64 v[10:11], -v[8:9], v[8:9], v[2:3]
	v_fmac_f64_e32 v[8:9], v[10:11], v[4:5]
	v_ldexp_f64 v[4:5], v[8:9], s4
	v_mov_b32_e32 v8, 0x260
	v_cmp_class_f64_e32 vcc, v[2:3], v8
	v_cndmask_b32_e32 v3, v5, v3, vcc
	v_cndmask_b32_e32 v2, v4, v2, vcc
	v_mul_f64 v[4:5], v[0:1], v[2:3]
.LBB65_92:
	s_mov_b32 s4, 0
	s_brev_b32 s5, 8
	v_cmp_gt_f64_e32 vcc, s[4:5], v[4:5]
	v_cndmask_b32_e64 v0, 0, 1, vcc
	v_lshlrev_b32_e32 v0, 8, v0
	v_ldexp_f64 v[0:1], v[4:5], v0
	v_rsq_f64_e32 v[2:3], v[0:1]
	s_and_b64 s[4:5], vcc, exec
	s_cselect_b32 s4, 0xffffff80, 0
	v_mul_f64 v[4:5], v[0:1], v[2:3]
	v_mul_f64 v[2:3], v[2:3], 0.5
	v_fma_f64 v[8:9], -v[2:3], v[4:5], 0.5
	v_fmac_f64_e32 v[4:5], v[4:5], v[8:9]
	v_fma_f64 v[10:11], -v[4:5], v[4:5], v[0:1]
	v_fmac_f64_e32 v[2:3], v[2:3], v[8:9]
	v_fmac_f64_e32 v[4:5], v[10:11], v[2:3]
	v_fma_f64 v[8:9], -v[4:5], v[4:5], v[0:1]
	v_fmac_f64_e32 v[4:5], v[8:9], v[2:3]
	v_ldexp_f64 v[2:3], v[4:5], s4
	v_mov_b32_e32 v4, 0x260
	v_cmp_class_f64_e32 vcc, v[0:1], v4
	v_cndmask_b32_e32 v0, v2, v0, vcc
	v_mov_b32_e32 v2, 0
	v_cndmask_b32_e32 v1, v3, v1, vcc
	v_mov_b32_e32 v3, v2
	ds_write_b128 v2, v[0:3] offset:1936
.LBB65_93:
	s_or_b64 exec, exec, s[2:3]
	v_mov_b32_e32 v0, 0
	s_waitcnt lgkmcnt(0)
	ds_read_b128 v[0:3], v0 offset:1936
	v_mov_b32_e32 v4, 0x3ff00000
	s_waitcnt lgkmcnt(0)
	v_cmp_neq_f64_e32 vcc, 0, v[0:1]
	v_cmp_neq_f64_e64 s[2:3], 0, v[2:3]
	s_or_b64 vcc, vcc, s[2:3]
	s_or_b64 s[2:3], vcc, s[0:1]
	v_cndmask_b32_e32 v1, v4, v1, vcc
	s_xor_b64 s[4:5], s[2:3], -1
	v_cndmask_b32_e32 v0, 0, v0, vcc
	v_cndmask_b32_e32 v3, 0, v3, vcc
	;; [unrolled: 1-line block ×3, first 2 shown]
	s_and_saveexec_b64 s[2:3], s[4:5]
	s_cbranch_execz .LBB65_97
; %bb.94:
	v_mbcnt_lo_u32_b32 v0, exec_lo, 0
	v_mbcnt_hi_u32_b32 v0, exec_hi, v0
	v_cmp_eq_u32_e32 vcc, 0, v0
	s_and_saveexec_b64 s[4:5], vcc
	s_cbranch_execz .LBB65_96
; %bb.95:
	v_mov_b32_e32 v0, 0
	v_mov_b32_e32 v1, s18
	global_atomic_smin v0, v1, s[14:15]
.LBB65_96:
	s_or_b64 exec, exec, s[4:5]
	v_mov_b32_e32 v0, 0
	v_mov_b32_e32 v1, 0x3ff00000
	v_pk_mov_b32 v[2:3], 0, 0
.LBB65_97:
	s_or_b64 exec, exec, s[2:3]
	v_cmp_lt_u32_e32 vcc, 1, v24
	s_and_saveexec_b64 s[2:3], vcc
	s_cbranch_execz .LBB65_99
; %bb.98:
	v_mul_f64 v[4:5], v[2:3], v[2:3]
	v_lshlrev_b32_e32 v14, 7, v24
	v_fmac_f64_e32 v[4:5], v[0:1], v[0:1]
	ds_read_b128 v[8:11], v14 offset:1808
	ds_read_b128 v[16:19], v14 offset:2704
	v_div_scale_f64 v[12:13], s[4:5], v[4:5], v[4:5], 1.0
	v_rcp_f64_e32 v[20:21], v[12:13]
	s_waitcnt lgkmcnt(0)
	v_add_f64 v[16:17], v[8:9], -v[16:17]
	v_add_f64 v[10:11], v[10:11], -v[18:19]
	v_fma_f64 v[8:9], -v[12:13], v[20:21], 1.0
	v_fmac_f64_e32 v[20:21], v[20:21], v[8:9]
	v_fma_f64 v[8:9], -v[12:13], v[20:21], 1.0
	v_fmac_f64_e32 v[20:21], v[20:21], v[8:9]
	v_div_scale_f64 v[8:9], vcc, 1.0, v[4:5], 1.0
	v_mul_f64 v[18:19], v[8:9], v[20:21]
	v_fma_f64 v[8:9], -v[12:13], v[18:19], v[8:9]
	s_nop 1
	v_div_fmas_f64 v[8:9], v[8:9], v[20:21], v[18:19]
	v_div_fixup_f64 v[4:5], v[8:9], v[4:5], 1.0
	v_mul_f64 v[8:9], v[2:3], v[10:11]
	v_mul_f64 v[2:3], v[2:3], -v[16:17]
	v_fmac_f64_e32 v[8:9], v[16:17], v[0:1]
	v_fmac_f64_e32 v[2:3], v[10:11], v[0:1]
	v_mul_f64 v[8:9], v[4:5], v[8:9]
	v_mul_f64 v[10:11], v[4:5], v[2:3]
	v_lshlrev_b32_e32 v0, 7, v15
	ds_write_b128 v14, v[8:11] offset:1808
	s_waitcnt lgkmcnt(0)
	ds_read_b128 v[0:3], v0 offset:1808
	ds_read_b128 v[16:19], v27
	s_waitcnt lgkmcnt(0)
	v_fmac_f64_e32 v[16:17], v[8:9], v[0:1]
	v_fmac_f64_e32 v[18:19], v[10:11], v[0:1]
	v_fmac_f64_e32 v[16:17], v[10:11], v[2:3]
	v_fma_f64 v[18:19], v[8:9], -v[2:3], v[18:19]
	ds_write_b128 v27, v[16:19]
.LBB65_99:
	s_or_b64 exec, exec, s[2:3]
	v_cmp_eq_u32_e32 vcc, 2, v24
	s_waitcnt lgkmcnt(0)
	s_and_saveexec_b64 s[2:3], vcc
	s_cbranch_execz .LBB65_107
; %bb.100:
	v_mov_b32_e32 v4, 0
	ds_read_b128 v[0:3], v4 offset:2976
	ds_read_b128 v[8:11], v4 offset:2080
	s_waitcnt lgkmcnt(0)
	v_add_f64 v[0:1], v[8:9], -v[0:1]
	v_add_f64 v[4:5], v[10:11], -v[2:3]
	v_xor_b32_e32 v2, 0x80000000, v1
	v_cmp_gt_f64_e32 vcc, 0, v[0:1]
	v_cndmask_b32_e32 v1, v1, v2, vcc
	v_cndmask_b32_e32 v0, v0, v0, vcc
	v_xor_b32_e32 v2, 0x80000000, v5
	v_cmp_gt_f64_e32 vcc, 0, v[4:5]
	v_cndmask_b32_e32 v3, v5, v2, vcc
	v_cndmask_b32_e32 v2, v4, v4, vcc
	v_cmp_gt_f64_e32 vcc, v[0:1], v[2:3]
	s_cbranch_vccnz .LBB65_103
; %bb.101:
	v_cmp_eq_f64_e32 vcc, 0, v[4:5]
	s_mov_b64 s[4:5], 0
	v_pk_mov_b32 v[4:5], 0, 0
	s_cbranch_vccnz .LBB65_104
; %bb.102:
	v_div_scale_f64 v[4:5], s[16:17], v[2:3], v[2:3], v[0:1]
	v_rcp_f64_e32 v[8:9], v[4:5]
	v_div_scale_f64 v[10:11], vcc, v[0:1], v[2:3], v[0:1]
	s_mov_b32 s16, 0
	v_fma_f64 v[12:13], -v[4:5], v[8:9], 1.0
	v_fmac_f64_e32 v[8:9], v[8:9], v[12:13]
	v_fma_f64 v[12:13], -v[4:5], v[8:9], 1.0
	v_fmac_f64_e32 v[8:9], v[8:9], v[12:13]
	v_mul_f64 v[12:13], v[10:11], v[8:9]
	v_fma_f64 v[4:5], -v[4:5], v[12:13], v[10:11]
	v_div_fmas_f64 v[4:5], v[4:5], v[8:9], v[12:13]
	v_div_fixup_f64 v[4:5], v[4:5], v[2:3], v[0:1]
	v_fma_f64 v[4:5], v[4:5], v[4:5], 1.0
	s_brev_b32 s17, 8
	v_cmp_gt_f64_e32 vcc, s[16:17], v[4:5]
	v_cndmask_b32_e64 v8, 0, 1, vcc
	v_lshlrev_b32_e32 v8, 8, v8
	v_ldexp_f64 v[4:5], v[4:5], v8
	v_rsq_f64_e32 v[8:9], v[4:5]
	s_and_b64 s[16:17], vcc, exec
	s_cselect_b32 s16, 0xffffff80, 0
	v_mul_f64 v[10:11], v[4:5], v[8:9]
	v_mul_f64 v[8:9], v[8:9], 0.5
	v_fma_f64 v[12:13], -v[8:9], v[10:11], 0.5
	v_fmac_f64_e32 v[10:11], v[10:11], v[12:13]
	v_fma_f64 v[16:17], -v[10:11], v[10:11], v[4:5]
	v_fmac_f64_e32 v[8:9], v[8:9], v[12:13]
	v_fmac_f64_e32 v[10:11], v[16:17], v[8:9]
	v_fma_f64 v[12:13], -v[10:11], v[10:11], v[4:5]
	v_fmac_f64_e32 v[10:11], v[12:13], v[8:9]
	v_ldexp_f64 v[8:9], v[10:11], s16
	v_mov_b32_e32 v10, 0x260
	v_cmp_class_f64_e32 vcc, v[4:5], v10
	v_cndmask_b32_e32 v5, v9, v5, vcc
	v_cndmask_b32_e32 v4, v8, v4, vcc
	v_mul_f64 v[4:5], v[2:3], v[4:5]
	s_branch .LBB65_104
.LBB65_103:
	s_mov_b64 s[4:5], -1
                                        ; implicit-def: $vgpr4_vgpr5
.LBB65_104:
	s_andn2_b64 vcc, exec, s[4:5]
	s_cbranch_vccnz .LBB65_106
; %bb.105:
	v_div_scale_f64 v[4:5], s[4:5], v[0:1], v[0:1], v[2:3]
	v_rcp_f64_e32 v[8:9], v[4:5]
	v_div_scale_f64 v[10:11], vcc, v[2:3], v[0:1], v[2:3]
	s_mov_b32 s4, 0
	v_fma_f64 v[12:13], -v[4:5], v[8:9], 1.0
	v_fmac_f64_e32 v[8:9], v[8:9], v[12:13]
	v_fma_f64 v[12:13], -v[4:5], v[8:9], 1.0
	v_fmac_f64_e32 v[8:9], v[8:9], v[12:13]
	v_mul_f64 v[12:13], v[10:11], v[8:9]
	v_fma_f64 v[4:5], -v[4:5], v[12:13], v[10:11]
	v_div_fmas_f64 v[4:5], v[4:5], v[8:9], v[12:13]
	v_div_fixup_f64 v[2:3], v[4:5], v[0:1], v[2:3]
	v_fma_f64 v[2:3], v[2:3], v[2:3], 1.0
	s_brev_b32 s5, 8
	v_cmp_gt_f64_e32 vcc, s[4:5], v[2:3]
	v_cndmask_b32_e64 v4, 0, 1, vcc
	v_lshlrev_b32_e32 v4, 8, v4
	v_ldexp_f64 v[2:3], v[2:3], v4
	v_rsq_f64_e32 v[4:5], v[2:3]
	s_and_b64 s[4:5], vcc, exec
	s_cselect_b32 s4, 0xffffff80, 0
	v_mul_f64 v[8:9], v[2:3], v[4:5]
	v_mul_f64 v[4:5], v[4:5], 0.5
	v_fma_f64 v[10:11], -v[4:5], v[8:9], 0.5
	v_fmac_f64_e32 v[8:9], v[8:9], v[10:11]
	v_fma_f64 v[12:13], -v[8:9], v[8:9], v[2:3]
	v_fmac_f64_e32 v[4:5], v[4:5], v[10:11]
	v_fmac_f64_e32 v[8:9], v[12:13], v[4:5]
	v_fma_f64 v[10:11], -v[8:9], v[8:9], v[2:3]
	v_fmac_f64_e32 v[8:9], v[10:11], v[4:5]
	v_ldexp_f64 v[4:5], v[8:9], s4
	v_mov_b32_e32 v8, 0x260
	v_cmp_class_f64_e32 vcc, v[2:3], v8
	v_cndmask_b32_e32 v3, v5, v3, vcc
	v_cndmask_b32_e32 v2, v4, v2, vcc
	v_mul_f64 v[4:5], v[0:1], v[2:3]
.LBB65_106:
	s_mov_b32 s4, 0
	s_brev_b32 s5, 8
	v_cmp_gt_f64_e32 vcc, s[4:5], v[4:5]
	v_cndmask_b32_e64 v0, 0, 1, vcc
	v_lshlrev_b32_e32 v0, 8, v0
	v_ldexp_f64 v[0:1], v[4:5], v0
	v_rsq_f64_e32 v[2:3], v[0:1]
	s_and_b64 s[4:5], vcc, exec
	s_cselect_b32 s4, 0xffffff80, 0
	v_mul_f64 v[4:5], v[0:1], v[2:3]
	v_mul_f64 v[2:3], v[2:3], 0.5
	v_fma_f64 v[8:9], -v[2:3], v[4:5], 0.5
	v_fmac_f64_e32 v[4:5], v[4:5], v[8:9]
	v_fma_f64 v[10:11], -v[4:5], v[4:5], v[0:1]
	v_fmac_f64_e32 v[2:3], v[2:3], v[8:9]
	v_fmac_f64_e32 v[4:5], v[10:11], v[2:3]
	v_fma_f64 v[8:9], -v[4:5], v[4:5], v[0:1]
	v_fmac_f64_e32 v[4:5], v[8:9], v[2:3]
	v_ldexp_f64 v[2:3], v[4:5], s4
	v_mov_b32_e32 v4, 0x260
	v_cmp_class_f64_e32 vcc, v[0:1], v4
	v_cndmask_b32_e32 v0, v2, v0, vcc
	v_mov_b32_e32 v2, 0
	v_cndmask_b32_e32 v1, v3, v1, vcc
	v_mov_b32_e32 v3, v2
	ds_write_b128 v2, v[0:3] offset:2080
.LBB65_107:
	s_or_b64 exec, exec, s[2:3]
	v_mov_b32_e32 v0, 0
	s_waitcnt lgkmcnt(0)
	ds_read_b128 v[0:3], v0 offset:2080
	v_mov_b32_e32 v4, 0x3ff00000
	s_waitcnt lgkmcnt(0)
	v_cmp_neq_f64_e32 vcc, 0, v[0:1]
	v_cmp_neq_f64_e64 s[2:3], 0, v[2:3]
	s_or_b64 vcc, vcc, s[2:3]
	s_or_b64 s[2:3], vcc, s[0:1]
	v_cndmask_b32_e32 v1, v4, v1, vcc
	s_xor_b64 s[4:5], s[2:3], -1
	v_cndmask_b32_e32 v0, 0, v0, vcc
	v_cndmask_b32_e32 v3, 0, v3, vcc
	;; [unrolled: 1-line block ×3, first 2 shown]
	s_and_saveexec_b64 s[2:3], s[4:5]
	s_cbranch_execz .LBB65_111
; %bb.108:
	v_mbcnt_lo_u32_b32 v0, exec_lo, 0
	v_mbcnt_hi_u32_b32 v0, exec_hi, v0
	v_cmp_eq_u32_e32 vcc, 0, v0
	s_and_saveexec_b64 s[4:5], vcc
	s_cbranch_execz .LBB65_110
; %bb.109:
	v_mov_b32_e32 v0, 0
	v_mov_b32_e32 v1, s18
	global_atomic_smin v0, v1, s[14:15]
.LBB65_110:
	s_or_b64 exec, exec, s[4:5]
	v_mov_b32_e32 v0, 0
	v_mov_b32_e32 v1, 0x3ff00000
	v_pk_mov_b32 v[2:3], 0, 0
.LBB65_111:
	s_or_b64 exec, exec, s[2:3]
	v_cmp_lt_u32_e32 vcc, 2, v24
	s_and_saveexec_b64 s[2:3], vcc
	s_cbranch_execz .LBB65_113
; %bb.112:
	v_mul_f64 v[4:5], v[2:3], v[2:3]
	v_lshlrev_b32_e32 v14, 7, v24
	v_fmac_f64_e32 v[4:5], v[0:1], v[0:1]
	ds_read_b128 v[8:11], v14 offset:1824
	ds_read_b128 v[16:19], v14 offset:2720
	v_div_scale_f64 v[12:13], s[4:5], v[4:5], v[4:5], 1.0
	v_rcp_f64_e32 v[20:21], v[12:13]
	s_waitcnt lgkmcnt(0)
	v_add_f64 v[16:17], v[8:9], -v[16:17]
	v_add_f64 v[10:11], v[10:11], -v[18:19]
	v_fma_f64 v[8:9], -v[12:13], v[20:21], 1.0
	v_fmac_f64_e32 v[20:21], v[20:21], v[8:9]
	v_fma_f64 v[8:9], -v[12:13], v[20:21], 1.0
	v_fmac_f64_e32 v[20:21], v[20:21], v[8:9]
	v_div_scale_f64 v[8:9], vcc, 1.0, v[4:5], 1.0
	v_mul_f64 v[18:19], v[8:9], v[20:21]
	v_fma_f64 v[8:9], -v[12:13], v[18:19], v[8:9]
	s_nop 1
	v_div_fmas_f64 v[8:9], v[8:9], v[20:21], v[18:19]
	v_div_fixup_f64 v[4:5], v[8:9], v[4:5], 1.0
	v_mul_f64 v[8:9], v[2:3], v[10:11]
	v_mul_f64 v[2:3], v[2:3], -v[16:17]
	v_fmac_f64_e32 v[8:9], v[16:17], v[0:1]
	v_fmac_f64_e32 v[2:3], v[10:11], v[0:1]
	v_mul_f64 v[8:9], v[4:5], v[8:9]
	v_mul_f64 v[10:11], v[4:5], v[2:3]
	v_lshlrev_b32_e32 v0, 7, v15
	ds_write_b128 v14, v[8:11] offset:1824
	s_waitcnt lgkmcnt(0)
	ds_read_b128 v[0:3], v0 offset:1824
	ds_read_b128 v[16:19], v27
	s_waitcnt lgkmcnt(0)
	v_fmac_f64_e32 v[16:17], v[8:9], v[0:1]
	v_fmac_f64_e32 v[18:19], v[10:11], v[0:1]
	;; [unrolled: 1-line block ×3, first 2 shown]
	v_fma_f64 v[18:19], v[8:9], -v[2:3], v[18:19]
	ds_write_b128 v27, v[16:19]
.LBB65_113:
	s_or_b64 exec, exec, s[2:3]
	v_cmp_eq_u32_e32 vcc, 3, v24
	s_waitcnt lgkmcnt(0)
	s_and_saveexec_b64 s[2:3], vcc
	s_cbranch_execz .LBB65_121
; %bb.114:
	v_mov_b32_e32 v4, 0
	ds_read_b128 v[0:3], v4 offset:3120
	ds_read_b128 v[8:11], v4 offset:2224
	s_waitcnt lgkmcnt(0)
	v_add_f64 v[0:1], v[8:9], -v[0:1]
	v_add_f64 v[4:5], v[10:11], -v[2:3]
	v_xor_b32_e32 v2, 0x80000000, v1
	v_cmp_gt_f64_e32 vcc, 0, v[0:1]
	v_cndmask_b32_e32 v1, v1, v2, vcc
	v_cndmask_b32_e32 v0, v0, v0, vcc
	v_xor_b32_e32 v2, 0x80000000, v5
	v_cmp_gt_f64_e32 vcc, 0, v[4:5]
	v_cndmask_b32_e32 v3, v5, v2, vcc
	v_cndmask_b32_e32 v2, v4, v4, vcc
	v_cmp_gt_f64_e32 vcc, v[0:1], v[2:3]
	s_cbranch_vccnz .LBB65_117
; %bb.115:
	v_cmp_eq_f64_e32 vcc, 0, v[4:5]
	s_mov_b64 s[4:5], 0
	v_pk_mov_b32 v[4:5], 0, 0
	s_cbranch_vccnz .LBB65_118
; %bb.116:
	v_div_scale_f64 v[4:5], s[16:17], v[2:3], v[2:3], v[0:1]
	v_rcp_f64_e32 v[8:9], v[4:5]
	v_div_scale_f64 v[10:11], vcc, v[0:1], v[2:3], v[0:1]
	s_mov_b32 s16, 0
	v_fma_f64 v[12:13], -v[4:5], v[8:9], 1.0
	v_fmac_f64_e32 v[8:9], v[8:9], v[12:13]
	v_fma_f64 v[12:13], -v[4:5], v[8:9], 1.0
	v_fmac_f64_e32 v[8:9], v[8:9], v[12:13]
	v_mul_f64 v[12:13], v[10:11], v[8:9]
	v_fma_f64 v[4:5], -v[4:5], v[12:13], v[10:11]
	v_div_fmas_f64 v[4:5], v[4:5], v[8:9], v[12:13]
	v_div_fixup_f64 v[4:5], v[4:5], v[2:3], v[0:1]
	v_fma_f64 v[4:5], v[4:5], v[4:5], 1.0
	s_brev_b32 s17, 8
	v_cmp_gt_f64_e32 vcc, s[16:17], v[4:5]
	v_cndmask_b32_e64 v8, 0, 1, vcc
	v_lshlrev_b32_e32 v8, 8, v8
	v_ldexp_f64 v[4:5], v[4:5], v8
	v_rsq_f64_e32 v[8:9], v[4:5]
	s_and_b64 s[16:17], vcc, exec
	s_cselect_b32 s16, 0xffffff80, 0
	v_mul_f64 v[10:11], v[4:5], v[8:9]
	v_mul_f64 v[8:9], v[8:9], 0.5
	v_fma_f64 v[12:13], -v[8:9], v[10:11], 0.5
	v_fmac_f64_e32 v[10:11], v[10:11], v[12:13]
	v_fma_f64 v[16:17], -v[10:11], v[10:11], v[4:5]
	v_fmac_f64_e32 v[8:9], v[8:9], v[12:13]
	v_fmac_f64_e32 v[10:11], v[16:17], v[8:9]
	v_fma_f64 v[12:13], -v[10:11], v[10:11], v[4:5]
	v_fmac_f64_e32 v[10:11], v[12:13], v[8:9]
	v_ldexp_f64 v[8:9], v[10:11], s16
	v_mov_b32_e32 v10, 0x260
	v_cmp_class_f64_e32 vcc, v[4:5], v10
	v_cndmask_b32_e32 v5, v9, v5, vcc
	v_cndmask_b32_e32 v4, v8, v4, vcc
	v_mul_f64 v[4:5], v[2:3], v[4:5]
	s_branch .LBB65_118
.LBB65_117:
	s_mov_b64 s[4:5], -1
                                        ; implicit-def: $vgpr4_vgpr5
.LBB65_118:
	s_andn2_b64 vcc, exec, s[4:5]
	s_cbranch_vccnz .LBB65_120
; %bb.119:
	v_div_scale_f64 v[4:5], s[4:5], v[0:1], v[0:1], v[2:3]
	v_rcp_f64_e32 v[8:9], v[4:5]
	v_div_scale_f64 v[10:11], vcc, v[2:3], v[0:1], v[2:3]
	s_mov_b32 s4, 0
	v_fma_f64 v[12:13], -v[4:5], v[8:9], 1.0
	v_fmac_f64_e32 v[8:9], v[8:9], v[12:13]
	v_fma_f64 v[12:13], -v[4:5], v[8:9], 1.0
	v_fmac_f64_e32 v[8:9], v[8:9], v[12:13]
	v_mul_f64 v[12:13], v[10:11], v[8:9]
	v_fma_f64 v[4:5], -v[4:5], v[12:13], v[10:11]
	v_div_fmas_f64 v[4:5], v[4:5], v[8:9], v[12:13]
	v_div_fixup_f64 v[2:3], v[4:5], v[0:1], v[2:3]
	v_fma_f64 v[2:3], v[2:3], v[2:3], 1.0
	s_brev_b32 s5, 8
	v_cmp_gt_f64_e32 vcc, s[4:5], v[2:3]
	v_cndmask_b32_e64 v4, 0, 1, vcc
	v_lshlrev_b32_e32 v4, 8, v4
	v_ldexp_f64 v[2:3], v[2:3], v4
	v_rsq_f64_e32 v[4:5], v[2:3]
	s_and_b64 s[4:5], vcc, exec
	s_cselect_b32 s4, 0xffffff80, 0
	v_mul_f64 v[8:9], v[2:3], v[4:5]
	v_mul_f64 v[4:5], v[4:5], 0.5
	v_fma_f64 v[10:11], -v[4:5], v[8:9], 0.5
	v_fmac_f64_e32 v[8:9], v[8:9], v[10:11]
	v_fma_f64 v[12:13], -v[8:9], v[8:9], v[2:3]
	v_fmac_f64_e32 v[4:5], v[4:5], v[10:11]
	v_fmac_f64_e32 v[8:9], v[12:13], v[4:5]
	v_fma_f64 v[10:11], -v[8:9], v[8:9], v[2:3]
	v_fmac_f64_e32 v[8:9], v[10:11], v[4:5]
	v_ldexp_f64 v[4:5], v[8:9], s4
	v_mov_b32_e32 v8, 0x260
	v_cmp_class_f64_e32 vcc, v[2:3], v8
	v_cndmask_b32_e32 v3, v5, v3, vcc
	v_cndmask_b32_e32 v2, v4, v2, vcc
	v_mul_f64 v[4:5], v[0:1], v[2:3]
.LBB65_120:
	s_mov_b32 s4, 0
	s_brev_b32 s5, 8
	v_cmp_gt_f64_e32 vcc, s[4:5], v[4:5]
	v_cndmask_b32_e64 v0, 0, 1, vcc
	v_lshlrev_b32_e32 v0, 8, v0
	v_ldexp_f64 v[0:1], v[4:5], v0
	v_rsq_f64_e32 v[2:3], v[0:1]
	s_and_b64 s[4:5], vcc, exec
	s_cselect_b32 s4, 0xffffff80, 0
	v_mul_f64 v[4:5], v[0:1], v[2:3]
	v_mul_f64 v[2:3], v[2:3], 0.5
	v_fma_f64 v[8:9], -v[2:3], v[4:5], 0.5
	v_fmac_f64_e32 v[4:5], v[4:5], v[8:9]
	v_fma_f64 v[10:11], -v[4:5], v[4:5], v[0:1]
	v_fmac_f64_e32 v[2:3], v[2:3], v[8:9]
	v_fmac_f64_e32 v[4:5], v[10:11], v[2:3]
	v_fma_f64 v[8:9], -v[4:5], v[4:5], v[0:1]
	v_fmac_f64_e32 v[4:5], v[8:9], v[2:3]
	v_ldexp_f64 v[2:3], v[4:5], s4
	v_mov_b32_e32 v4, 0x260
	v_cmp_class_f64_e32 vcc, v[0:1], v4
	v_cndmask_b32_e32 v0, v2, v0, vcc
	v_mov_b32_e32 v2, 0
	v_cndmask_b32_e32 v1, v3, v1, vcc
	v_mov_b32_e32 v3, v2
	ds_write_b128 v2, v[0:3] offset:2224
.LBB65_121:
	s_or_b64 exec, exec, s[2:3]
	v_mov_b32_e32 v0, 0
	s_waitcnt lgkmcnt(0)
	ds_read_b128 v[0:3], v0 offset:2224
	v_mov_b32_e32 v4, 0x3ff00000
	s_waitcnt lgkmcnt(0)
	v_cmp_neq_f64_e32 vcc, 0, v[0:1]
	v_cmp_neq_f64_e64 s[2:3], 0, v[2:3]
	s_or_b64 vcc, vcc, s[2:3]
	s_or_b64 s[2:3], vcc, s[0:1]
	v_cndmask_b32_e32 v1, v4, v1, vcc
	s_xor_b64 s[4:5], s[2:3], -1
	v_cndmask_b32_e32 v0, 0, v0, vcc
	v_cndmask_b32_e32 v3, 0, v3, vcc
	;; [unrolled: 1-line block ×3, first 2 shown]
	s_and_saveexec_b64 s[2:3], s[4:5]
	s_cbranch_execz .LBB65_125
; %bb.122:
	v_mbcnt_lo_u32_b32 v0, exec_lo, 0
	v_mbcnt_hi_u32_b32 v0, exec_hi, v0
	v_cmp_eq_u32_e32 vcc, 0, v0
	s_and_saveexec_b64 s[4:5], vcc
	s_cbranch_execz .LBB65_124
; %bb.123:
	v_mov_b32_e32 v0, 0
	v_mov_b32_e32 v1, s18
	global_atomic_smin v0, v1, s[14:15]
.LBB65_124:
	s_or_b64 exec, exec, s[4:5]
	v_mov_b32_e32 v0, 0
	v_mov_b32_e32 v1, 0x3ff00000
	v_pk_mov_b32 v[2:3], 0, 0
.LBB65_125:
	s_or_b64 exec, exec, s[2:3]
	v_cmp_lt_u32_e32 vcc, 3, v24
	s_and_saveexec_b64 s[2:3], vcc
	s_cbranch_execz .LBB65_127
; %bb.126:
	v_mul_f64 v[4:5], v[2:3], v[2:3]
	v_lshlrev_b32_e32 v14, 7, v24
	v_fmac_f64_e32 v[4:5], v[0:1], v[0:1]
	ds_read_b128 v[8:11], v14 offset:1840
	ds_read_b128 v[16:19], v14 offset:2736
	v_div_scale_f64 v[12:13], s[4:5], v[4:5], v[4:5], 1.0
	v_rcp_f64_e32 v[20:21], v[12:13]
	s_waitcnt lgkmcnt(0)
	v_add_f64 v[16:17], v[8:9], -v[16:17]
	v_add_f64 v[10:11], v[10:11], -v[18:19]
	v_fma_f64 v[8:9], -v[12:13], v[20:21], 1.0
	v_fmac_f64_e32 v[20:21], v[20:21], v[8:9]
	v_fma_f64 v[8:9], -v[12:13], v[20:21], 1.0
	v_fmac_f64_e32 v[20:21], v[20:21], v[8:9]
	v_div_scale_f64 v[8:9], vcc, 1.0, v[4:5], 1.0
	v_mul_f64 v[18:19], v[8:9], v[20:21]
	v_fma_f64 v[8:9], -v[12:13], v[18:19], v[8:9]
	s_nop 1
	v_div_fmas_f64 v[8:9], v[8:9], v[20:21], v[18:19]
	v_div_fixup_f64 v[4:5], v[8:9], v[4:5], 1.0
	v_mul_f64 v[8:9], v[2:3], v[10:11]
	v_mul_f64 v[2:3], v[2:3], -v[16:17]
	v_fmac_f64_e32 v[8:9], v[16:17], v[0:1]
	v_fmac_f64_e32 v[2:3], v[10:11], v[0:1]
	v_mul_f64 v[8:9], v[4:5], v[8:9]
	v_mul_f64 v[10:11], v[4:5], v[2:3]
	v_lshlrev_b32_e32 v0, 7, v15
	ds_write_b128 v14, v[8:11] offset:1840
	s_waitcnt lgkmcnt(0)
	ds_read_b128 v[0:3], v0 offset:1840
	ds_read_b128 v[16:19], v27
	s_waitcnt lgkmcnt(0)
	v_fmac_f64_e32 v[16:17], v[8:9], v[0:1]
	v_fmac_f64_e32 v[18:19], v[10:11], v[0:1]
	;; [unrolled: 1-line block ×3, first 2 shown]
	v_fma_f64 v[18:19], v[8:9], -v[2:3], v[18:19]
	ds_write_b128 v27, v[16:19]
.LBB65_127:
	s_or_b64 exec, exec, s[2:3]
	v_cmp_eq_u32_e32 vcc, 4, v24
	s_waitcnt lgkmcnt(0)
	s_and_saveexec_b64 s[2:3], vcc
	s_cbranch_execz .LBB65_135
; %bb.128:
	v_mov_b32_e32 v4, 0
	ds_read_b128 v[0:3], v4 offset:3264
	ds_read_b128 v[8:11], v4 offset:2368
	s_waitcnt lgkmcnt(0)
	v_add_f64 v[0:1], v[8:9], -v[0:1]
	v_add_f64 v[4:5], v[10:11], -v[2:3]
	v_xor_b32_e32 v2, 0x80000000, v1
	v_cmp_gt_f64_e32 vcc, 0, v[0:1]
	v_cndmask_b32_e32 v1, v1, v2, vcc
	v_cndmask_b32_e32 v0, v0, v0, vcc
	v_xor_b32_e32 v2, 0x80000000, v5
	v_cmp_gt_f64_e32 vcc, 0, v[4:5]
	v_cndmask_b32_e32 v3, v5, v2, vcc
	v_cndmask_b32_e32 v2, v4, v4, vcc
	v_cmp_gt_f64_e32 vcc, v[0:1], v[2:3]
	s_cbranch_vccnz .LBB65_131
; %bb.129:
	v_cmp_eq_f64_e32 vcc, 0, v[4:5]
	s_mov_b64 s[4:5], 0
	v_pk_mov_b32 v[4:5], 0, 0
	s_cbranch_vccnz .LBB65_132
; %bb.130:
	v_div_scale_f64 v[4:5], s[16:17], v[2:3], v[2:3], v[0:1]
	v_rcp_f64_e32 v[8:9], v[4:5]
	v_div_scale_f64 v[10:11], vcc, v[0:1], v[2:3], v[0:1]
	s_mov_b32 s16, 0
	v_fma_f64 v[12:13], -v[4:5], v[8:9], 1.0
	v_fmac_f64_e32 v[8:9], v[8:9], v[12:13]
	v_fma_f64 v[12:13], -v[4:5], v[8:9], 1.0
	v_fmac_f64_e32 v[8:9], v[8:9], v[12:13]
	v_mul_f64 v[12:13], v[10:11], v[8:9]
	v_fma_f64 v[4:5], -v[4:5], v[12:13], v[10:11]
	v_div_fmas_f64 v[4:5], v[4:5], v[8:9], v[12:13]
	v_div_fixup_f64 v[4:5], v[4:5], v[2:3], v[0:1]
	v_fma_f64 v[4:5], v[4:5], v[4:5], 1.0
	s_brev_b32 s17, 8
	v_cmp_gt_f64_e32 vcc, s[16:17], v[4:5]
	v_cndmask_b32_e64 v8, 0, 1, vcc
	v_lshlrev_b32_e32 v8, 8, v8
	v_ldexp_f64 v[4:5], v[4:5], v8
	v_rsq_f64_e32 v[8:9], v[4:5]
	s_and_b64 s[16:17], vcc, exec
	s_cselect_b32 s16, 0xffffff80, 0
	v_mul_f64 v[10:11], v[4:5], v[8:9]
	v_mul_f64 v[8:9], v[8:9], 0.5
	v_fma_f64 v[12:13], -v[8:9], v[10:11], 0.5
	v_fmac_f64_e32 v[10:11], v[10:11], v[12:13]
	v_fma_f64 v[16:17], -v[10:11], v[10:11], v[4:5]
	v_fmac_f64_e32 v[8:9], v[8:9], v[12:13]
	v_fmac_f64_e32 v[10:11], v[16:17], v[8:9]
	v_fma_f64 v[12:13], -v[10:11], v[10:11], v[4:5]
	v_fmac_f64_e32 v[10:11], v[12:13], v[8:9]
	v_ldexp_f64 v[8:9], v[10:11], s16
	v_mov_b32_e32 v10, 0x260
	v_cmp_class_f64_e32 vcc, v[4:5], v10
	v_cndmask_b32_e32 v5, v9, v5, vcc
	v_cndmask_b32_e32 v4, v8, v4, vcc
	v_mul_f64 v[4:5], v[2:3], v[4:5]
	s_branch .LBB65_132
.LBB65_131:
	s_mov_b64 s[4:5], -1
                                        ; implicit-def: $vgpr4_vgpr5
.LBB65_132:
	s_andn2_b64 vcc, exec, s[4:5]
	s_cbranch_vccnz .LBB65_134
; %bb.133:
	v_div_scale_f64 v[4:5], s[4:5], v[0:1], v[0:1], v[2:3]
	v_rcp_f64_e32 v[8:9], v[4:5]
	v_div_scale_f64 v[10:11], vcc, v[2:3], v[0:1], v[2:3]
	s_mov_b32 s4, 0
	v_fma_f64 v[12:13], -v[4:5], v[8:9], 1.0
	v_fmac_f64_e32 v[8:9], v[8:9], v[12:13]
	v_fma_f64 v[12:13], -v[4:5], v[8:9], 1.0
	v_fmac_f64_e32 v[8:9], v[8:9], v[12:13]
	v_mul_f64 v[12:13], v[10:11], v[8:9]
	v_fma_f64 v[4:5], -v[4:5], v[12:13], v[10:11]
	v_div_fmas_f64 v[4:5], v[4:5], v[8:9], v[12:13]
	v_div_fixup_f64 v[2:3], v[4:5], v[0:1], v[2:3]
	v_fma_f64 v[2:3], v[2:3], v[2:3], 1.0
	s_brev_b32 s5, 8
	v_cmp_gt_f64_e32 vcc, s[4:5], v[2:3]
	v_cndmask_b32_e64 v4, 0, 1, vcc
	v_lshlrev_b32_e32 v4, 8, v4
	v_ldexp_f64 v[2:3], v[2:3], v4
	v_rsq_f64_e32 v[4:5], v[2:3]
	s_and_b64 s[4:5], vcc, exec
	s_cselect_b32 s4, 0xffffff80, 0
	v_mul_f64 v[8:9], v[2:3], v[4:5]
	v_mul_f64 v[4:5], v[4:5], 0.5
	v_fma_f64 v[10:11], -v[4:5], v[8:9], 0.5
	v_fmac_f64_e32 v[8:9], v[8:9], v[10:11]
	v_fma_f64 v[12:13], -v[8:9], v[8:9], v[2:3]
	v_fmac_f64_e32 v[4:5], v[4:5], v[10:11]
	v_fmac_f64_e32 v[8:9], v[12:13], v[4:5]
	v_fma_f64 v[10:11], -v[8:9], v[8:9], v[2:3]
	v_fmac_f64_e32 v[8:9], v[10:11], v[4:5]
	v_ldexp_f64 v[4:5], v[8:9], s4
	v_mov_b32_e32 v8, 0x260
	v_cmp_class_f64_e32 vcc, v[2:3], v8
	v_cndmask_b32_e32 v3, v5, v3, vcc
	v_cndmask_b32_e32 v2, v4, v2, vcc
	v_mul_f64 v[4:5], v[0:1], v[2:3]
.LBB65_134:
	s_mov_b32 s4, 0
	s_brev_b32 s5, 8
	v_cmp_gt_f64_e32 vcc, s[4:5], v[4:5]
	v_cndmask_b32_e64 v0, 0, 1, vcc
	v_lshlrev_b32_e32 v0, 8, v0
	v_ldexp_f64 v[0:1], v[4:5], v0
	v_rsq_f64_e32 v[2:3], v[0:1]
	s_and_b64 s[4:5], vcc, exec
	s_cselect_b32 s4, 0xffffff80, 0
	v_mul_f64 v[4:5], v[0:1], v[2:3]
	v_mul_f64 v[2:3], v[2:3], 0.5
	v_fma_f64 v[8:9], -v[2:3], v[4:5], 0.5
	v_fmac_f64_e32 v[4:5], v[4:5], v[8:9]
	v_fma_f64 v[10:11], -v[4:5], v[4:5], v[0:1]
	v_fmac_f64_e32 v[2:3], v[2:3], v[8:9]
	v_fmac_f64_e32 v[4:5], v[10:11], v[2:3]
	v_fma_f64 v[8:9], -v[4:5], v[4:5], v[0:1]
	v_fmac_f64_e32 v[4:5], v[8:9], v[2:3]
	v_ldexp_f64 v[2:3], v[4:5], s4
	v_mov_b32_e32 v4, 0x260
	v_cmp_class_f64_e32 vcc, v[0:1], v4
	v_cndmask_b32_e32 v0, v2, v0, vcc
	v_mov_b32_e32 v2, 0
	v_cndmask_b32_e32 v1, v3, v1, vcc
	v_mov_b32_e32 v3, v2
	ds_write_b128 v2, v[0:3] offset:2368
.LBB65_135:
	s_or_b64 exec, exec, s[2:3]
	v_mov_b32_e32 v0, 0
	s_waitcnt lgkmcnt(0)
	ds_read_b128 v[0:3], v0 offset:2368
	v_mov_b32_e32 v4, 0x3ff00000
	s_waitcnt lgkmcnt(0)
	v_cmp_neq_f64_e32 vcc, 0, v[0:1]
	v_cmp_neq_f64_e64 s[2:3], 0, v[2:3]
	s_or_b64 vcc, vcc, s[2:3]
	s_or_b64 s[2:3], vcc, s[0:1]
	v_cndmask_b32_e32 v1, v4, v1, vcc
	s_xor_b64 s[4:5], s[2:3], -1
	v_cndmask_b32_e32 v0, 0, v0, vcc
	v_cndmask_b32_e32 v3, 0, v3, vcc
	;; [unrolled: 1-line block ×3, first 2 shown]
	s_and_saveexec_b64 s[2:3], s[4:5]
	s_cbranch_execz .LBB65_139
; %bb.136:
	v_mbcnt_lo_u32_b32 v0, exec_lo, 0
	v_mbcnt_hi_u32_b32 v0, exec_hi, v0
	v_cmp_eq_u32_e32 vcc, 0, v0
	s_and_saveexec_b64 s[4:5], vcc
	s_cbranch_execz .LBB65_138
; %bb.137:
	v_mov_b32_e32 v0, 0
	v_mov_b32_e32 v1, s18
	global_atomic_smin v0, v1, s[14:15]
.LBB65_138:
	s_or_b64 exec, exec, s[4:5]
	v_mov_b32_e32 v0, 0
	v_mov_b32_e32 v1, 0x3ff00000
	v_pk_mov_b32 v[2:3], 0, 0
.LBB65_139:
	s_or_b64 exec, exec, s[2:3]
	v_cmp_lt_u32_e32 vcc, 4, v24
	s_and_saveexec_b64 s[2:3], vcc
	s_cbranch_execz .LBB65_141
; %bb.140:
	v_mul_f64 v[4:5], v[2:3], v[2:3]
	v_lshlrev_b32_e32 v14, 7, v24
	v_fmac_f64_e32 v[4:5], v[0:1], v[0:1]
	ds_read_b128 v[8:11], v14 offset:1856
	ds_read_b128 v[16:19], v14 offset:2752
	v_div_scale_f64 v[12:13], s[4:5], v[4:5], v[4:5], 1.0
	v_rcp_f64_e32 v[20:21], v[12:13]
	s_waitcnt lgkmcnt(0)
	v_add_f64 v[16:17], v[8:9], -v[16:17]
	v_add_f64 v[10:11], v[10:11], -v[18:19]
	v_fma_f64 v[8:9], -v[12:13], v[20:21], 1.0
	v_fmac_f64_e32 v[20:21], v[20:21], v[8:9]
	v_fma_f64 v[8:9], -v[12:13], v[20:21], 1.0
	v_fmac_f64_e32 v[20:21], v[20:21], v[8:9]
	v_div_scale_f64 v[8:9], vcc, 1.0, v[4:5], 1.0
	v_mul_f64 v[18:19], v[8:9], v[20:21]
	v_fma_f64 v[8:9], -v[12:13], v[18:19], v[8:9]
	s_nop 1
	v_div_fmas_f64 v[8:9], v[8:9], v[20:21], v[18:19]
	v_div_fixup_f64 v[4:5], v[8:9], v[4:5], 1.0
	v_mul_f64 v[8:9], v[2:3], v[10:11]
	v_mul_f64 v[2:3], v[2:3], -v[16:17]
	v_fmac_f64_e32 v[8:9], v[16:17], v[0:1]
	v_fmac_f64_e32 v[2:3], v[10:11], v[0:1]
	v_mul_f64 v[8:9], v[4:5], v[8:9]
	v_mul_f64 v[10:11], v[4:5], v[2:3]
	v_lshlrev_b32_e32 v0, 7, v15
	ds_write_b128 v14, v[8:11] offset:1856
	s_waitcnt lgkmcnt(0)
	ds_read_b128 v[0:3], v0 offset:1856
	ds_read_b128 v[16:19], v27
	s_waitcnt lgkmcnt(0)
	v_fmac_f64_e32 v[16:17], v[8:9], v[0:1]
	v_fmac_f64_e32 v[18:19], v[10:11], v[0:1]
	;; [unrolled: 1-line block ×3, first 2 shown]
	v_fma_f64 v[18:19], v[8:9], -v[2:3], v[18:19]
	ds_write_b128 v27, v[16:19]
.LBB65_141:
	s_or_b64 exec, exec, s[2:3]
	v_cmp_eq_u32_e32 vcc, 5, v24
	s_waitcnt lgkmcnt(0)
	s_and_saveexec_b64 s[2:3], vcc
	s_cbranch_execz .LBB65_149
; %bb.142:
	v_mov_b32_e32 v4, 0
	ds_read_b128 v[0:3], v4 offset:3408
	ds_read_b128 v[8:11], v4 offset:2512
	s_waitcnt lgkmcnt(0)
	v_add_f64 v[0:1], v[8:9], -v[0:1]
	v_add_f64 v[4:5], v[10:11], -v[2:3]
	v_xor_b32_e32 v2, 0x80000000, v1
	v_cmp_gt_f64_e32 vcc, 0, v[0:1]
	v_cndmask_b32_e32 v1, v1, v2, vcc
	v_cndmask_b32_e32 v0, v0, v0, vcc
	v_xor_b32_e32 v2, 0x80000000, v5
	v_cmp_gt_f64_e32 vcc, 0, v[4:5]
	v_cndmask_b32_e32 v3, v5, v2, vcc
	v_cndmask_b32_e32 v2, v4, v4, vcc
	v_cmp_gt_f64_e32 vcc, v[0:1], v[2:3]
	s_cbranch_vccnz .LBB65_145
; %bb.143:
	v_cmp_eq_f64_e32 vcc, 0, v[4:5]
	s_mov_b64 s[4:5], 0
	v_pk_mov_b32 v[4:5], 0, 0
	s_cbranch_vccnz .LBB65_146
; %bb.144:
	v_div_scale_f64 v[4:5], s[16:17], v[2:3], v[2:3], v[0:1]
	v_rcp_f64_e32 v[8:9], v[4:5]
	v_div_scale_f64 v[10:11], vcc, v[0:1], v[2:3], v[0:1]
	s_mov_b32 s16, 0
	v_fma_f64 v[12:13], -v[4:5], v[8:9], 1.0
	v_fmac_f64_e32 v[8:9], v[8:9], v[12:13]
	v_fma_f64 v[12:13], -v[4:5], v[8:9], 1.0
	v_fmac_f64_e32 v[8:9], v[8:9], v[12:13]
	v_mul_f64 v[12:13], v[10:11], v[8:9]
	v_fma_f64 v[4:5], -v[4:5], v[12:13], v[10:11]
	v_div_fmas_f64 v[4:5], v[4:5], v[8:9], v[12:13]
	v_div_fixup_f64 v[4:5], v[4:5], v[2:3], v[0:1]
	v_fma_f64 v[4:5], v[4:5], v[4:5], 1.0
	s_brev_b32 s17, 8
	v_cmp_gt_f64_e32 vcc, s[16:17], v[4:5]
	v_cndmask_b32_e64 v8, 0, 1, vcc
	v_lshlrev_b32_e32 v8, 8, v8
	v_ldexp_f64 v[4:5], v[4:5], v8
	v_rsq_f64_e32 v[8:9], v[4:5]
	s_and_b64 s[16:17], vcc, exec
	s_cselect_b32 s16, 0xffffff80, 0
	v_mul_f64 v[10:11], v[4:5], v[8:9]
	v_mul_f64 v[8:9], v[8:9], 0.5
	v_fma_f64 v[12:13], -v[8:9], v[10:11], 0.5
	v_fmac_f64_e32 v[10:11], v[10:11], v[12:13]
	v_fma_f64 v[16:17], -v[10:11], v[10:11], v[4:5]
	v_fmac_f64_e32 v[8:9], v[8:9], v[12:13]
	v_fmac_f64_e32 v[10:11], v[16:17], v[8:9]
	v_fma_f64 v[12:13], -v[10:11], v[10:11], v[4:5]
	v_fmac_f64_e32 v[10:11], v[12:13], v[8:9]
	v_ldexp_f64 v[8:9], v[10:11], s16
	v_mov_b32_e32 v10, 0x260
	v_cmp_class_f64_e32 vcc, v[4:5], v10
	v_cndmask_b32_e32 v5, v9, v5, vcc
	v_cndmask_b32_e32 v4, v8, v4, vcc
	v_mul_f64 v[4:5], v[2:3], v[4:5]
	s_branch .LBB65_146
.LBB65_145:
	s_mov_b64 s[4:5], -1
                                        ; implicit-def: $vgpr4_vgpr5
.LBB65_146:
	s_andn2_b64 vcc, exec, s[4:5]
	s_cbranch_vccnz .LBB65_148
; %bb.147:
	v_div_scale_f64 v[4:5], s[4:5], v[0:1], v[0:1], v[2:3]
	v_rcp_f64_e32 v[8:9], v[4:5]
	v_div_scale_f64 v[10:11], vcc, v[2:3], v[0:1], v[2:3]
	s_mov_b32 s4, 0
	v_fma_f64 v[12:13], -v[4:5], v[8:9], 1.0
	v_fmac_f64_e32 v[8:9], v[8:9], v[12:13]
	v_fma_f64 v[12:13], -v[4:5], v[8:9], 1.0
	v_fmac_f64_e32 v[8:9], v[8:9], v[12:13]
	v_mul_f64 v[12:13], v[10:11], v[8:9]
	v_fma_f64 v[4:5], -v[4:5], v[12:13], v[10:11]
	v_div_fmas_f64 v[4:5], v[4:5], v[8:9], v[12:13]
	v_div_fixup_f64 v[2:3], v[4:5], v[0:1], v[2:3]
	v_fma_f64 v[2:3], v[2:3], v[2:3], 1.0
	s_brev_b32 s5, 8
	v_cmp_gt_f64_e32 vcc, s[4:5], v[2:3]
	v_cndmask_b32_e64 v4, 0, 1, vcc
	v_lshlrev_b32_e32 v4, 8, v4
	v_ldexp_f64 v[2:3], v[2:3], v4
	v_rsq_f64_e32 v[4:5], v[2:3]
	s_and_b64 s[4:5], vcc, exec
	s_cselect_b32 s4, 0xffffff80, 0
	v_mul_f64 v[8:9], v[2:3], v[4:5]
	v_mul_f64 v[4:5], v[4:5], 0.5
	v_fma_f64 v[10:11], -v[4:5], v[8:9], 0.5
	v_fmac_f64_e32 v[8:9], v[8:9], v[10:11]
	v_fma_f64 v[12:13], -v[8:9], v[8:9], v[2:3]
	v_fmac_f64_e32 v[4:5], v[4:5], v[10:11]
	v_fmac_f64_e32 v[8:9], v[12:13], v[4:5]
	v_fma_f64 v[10:11], -v[8:9], v[8:9], v[2:3]
	v_fmac_f64_e32 v[8:9], v[10:11], v[4:5]
	v_ldexp_f64 v[4:5], v[8:9], s4
	v_mov_b32_e32 v8, 0x260
	v_cmp_class_f64_e32 vcc, v[2:3], v8
	v_cndmask_b32_e32 v3, v5, v3, vcc
	v_cndmask_b32_e32 v2, v4, v2, vcc
	v_mul_f64 v[4:5], v[0:1], v[2:3]
.LBB65_148:
	s_mov_b32 s4, 0
	s_brev_b32 s5, 8
	v_cmp_gt_f64_e32 vcc, s[4:5], v[4:5]
	v_cndmask_b32_e64 v0, 0, 1, vcc
	v_lshlrev_b32_e32 v0, 8, v0
	v_ldexp_f64 v[0:1], v[4:5], v0
	v_rsq_f64_e32 v[2:3], v[0:1]
	s_and_b64 s[4:5], vcc, exec
	s_cselect_b32 s4, 0xffffff80, 0
	v_mul_f64 v[4:5], v[0:1], v[2:3]
	v_mul_f64 v[2:3], v[2:3], 0.5
	v_fma_f64 v[8:9], -v[2:3], v[4:5], 0.5
	v_fmac_f64_e32 v[4:5], v[4:5], v[8:9]
	v_fma_f64 v[10:11], -v[4:5], v[4:5], v[0:1]
	v_fmac_f64_e32 v[2:3], v[2:3], v[8:9]
	v_fmac_f64_e32 v[4:5], v[10:11], v[2:3]
	v_fma_f64 v[8:9], -v[4:5], v[4:5], v[0:1]
	v_fmac_f64_e32 v[4:5], v[8:9], v[2:3]
	v_ldexp_f64 v[2:3], v[4:5], s4
	v_mov_b32_e32 v4, 0x260
	v_cmp_class_f64_e32 vcc, v[0:1], v4
	v_cndmask_b32_e32 v0, v2, v0, vcc
	v_mov_b32_e32 v2, 0
	v_cndmask_b32_e32 v1, v3, v1, vcc
	v_mov_b32_e32 v3, v2
	ds_write_b128 v2, v[0:3] offset:2512
.LBB65_149:
	s_or_b64 exec, exec, s[2:3]
	v_mov_b32_e32 v0, 0
	s_waitcnt lgkmcnt(0)
	ds_read_b128 v[0:3], v0 offset:2512
	v_mov_b32_e32 v4, 0x3ff00000
	s_waitcnt lgkmcnt(0)
	v_cmp_neq_f64_e32 vcc, 0, v[0:1]
	v_cmp_neq_f64_e64 s[2:3], 0, v[2:3]
	s_or_b64 vcc, vcc, s[2:3]
	s_or_b64 s[2:3], vcc, s[0:1]
	v_cndmask_b32_e32 v1, v4, v1, vcc
	s_xor_b64 s[4:5], s[2:3], -1
	v_cndmask_b32_e32 v0, 0, v0, vcc
	v_cndmask_b32_e32 v3, 0, v3, vcc
	v_cndmask_b32_e32 v2, 0, v2, vcc
	s_and_saveexec_b64 s[2:3], s[4:5]
	s_cbranch_execz .LBB65_153
; %bb.150:
	v_mbcnt_lo_u32_b32 v0, exec_lo, 0
	v_mbcnt_hi_u32_b32 v0, exec_hi, v0
	v_cmp_eq_u32_e32 vcc, 0, v0
	s_and_saveexec_b64 s[4:5], vcc
	s_cbranch_execz .LBB65_152
; %bb.151:
	v_mov_b32_e32 v0, 0
	v_mov_b32_e32 v1, s18
	global_atomic_smin v0, v1, s[14:15]
.LBB65_152:
	s_or_b64 exec, exec, s[4:5]
	v_mov_b32_e32 v0, 0
	v_mov_b32_e32 v1, 0x3ff00000
	v_pk_mov_b32 v[2:3], 0, 0
.LBB65_153:
	s_or_b64 exec, exec, s[2:3]
	v_cmp_lt_u32_e32 vcc, 5, v24
	s_and_saveexec_b64 s[2:3], vcc
	s_cbranch_execz .LBB65_155
; %bb.154:
	v_mul_f64 v[4:5], v[2:3], v[2:3]
	v_lshlrev_b32_e32 v14, 7, v24
	v_fmac_f64_e32 v[4:5], v[0:1], v[0:1]
	ds_read_b128 v[8:11], v14 offset:1872
	ds_read_b128 v[16:19], v14 offset:2768
	v_div_scale_f64 v[12:13], s[4:5], v[4:5], v[4:5], 1.0
	v_rcp_f64_e32 v[20:21], v[12:13]
	s_waitcnt lgkmcnt(0)
	v_add_f64 v[16:17], v[8:9], -v[16:17]
	v_add_f64 v[10:11], v[10:11], -v[18:19]
	v_fma_f64 v[8:9], -v[12:13], v[20:21], 1.0
	v_fmac_f64_e32 v[20:21], v[20:21], v[8:9]
	v_fma_f64 v[8:9], -v[12:13], v[20:21], 1.0
	v_fmac_f64_e32 v[20:21], v[20:21], v[8:9]
	v_div_scale_f64 v[8:9], vcc, 1.0, v[4:5], 1.0
	v_mul_f64 v[18:19], v[8:9], v[20:21]
	v_fma_f64 v[8:9], -v[12:13], v[18:19], v[8:9]
	s_nop 1
	v_div_fmas_f64 v[8:9], v[8:9], v[20:21], v[18:19]
	v_div_fixup_f64 v[4:5], v[8:9], v[4:5], 1.0
	v_mul_f64 v[8:9], v[2:3], v[10:11]
	v_mul_f64 v[2:3], v[2:3], -v[16:17]
	v_fmac_f64_e32 v[8:9], v[16:17], v[0:1]
	v_fmac_f64_e32 v[2:3], v[10:11], v[0:1]
	v_mul_f64 v[8:9], v[4:5], v[8:9]
	v_mul_f64 v[10:11], v[4:5], v[2:3]
	v_lshlrev_b32_e32 v0, 7, v15
	ds_write_b128 v14, v[8:11] offset:1872
	s_waitcnt lgkmcnt(0)
	ds_read_b128 v[0:3], v0 offset:1872
	ds_read_b128 v[16:19], v27
	s_waitcnt lgkmcnt(0)
	v_fmac_f64_e32 v[16:17], v[8:9], v[0:1]
	v_fmac_f64_e32 v[18:19], v[10:11], v[0:1]
	;; [unrolled: 1-line block ×3, first 2 shown]
	v_fma_f64 v[18:19], v[8:9], -v[2:3], v[18:19]
	ds_write_b128 v27, v[16:19]
.LBB65_155:
	s_or_b64 exec, exec, s[2:3]
	v_cmp_eq_u32_e32 vcc, 6, v24
	s_waitcnt lgkmcnt(0)
	s_and_saveexec_b64 s[2:3], vcc
	s_cbranch_execz .LBB65_163
; %bb.156:
	v_mov_b32_e32 v4, 0
	ds_read_b128 v[0:3], v4 offset:3552
	ds_read_b128 v[8:11], v4 offset:2656
	s_waitcnt lgkmcnt(0)
	v_add_f64 v[0:1], v[8:9], -v[0:1]
	v_add_f64 v[4:5], v[10:11], -v[2:3]
	v_xor_b32_e32 v2, 0x80000000, v1
	v_cmp_gt_f64_e32 vcc, 0, v[0:1]
	v_cndmask_b32_e32 v1, v1, v2, vcc
	v_cndmask_b32_e32 v0, v0, v0, vcc
	v_xor_b32_e32 v2, 0x80000000, v5
	v_cmp_gt_f64_e32 vcc, 0, v[4:5]
	v_cndmask_b32_e32 v3, v5, v2, vcc
	v_cndmask_b32_e32 v2, v4, v4, vcc
	v_cmp_gt_f64_e32 vcc, v[0:1], v[2:3]
	s_cbranch_vccnz .LBB65_159
; %bb.157:
	v_cmp_eq_f64_e32 vcc, 0, v[4:5]
	s_mov_b64 s[4:5], 0
	v_pk_mov_b32 v[4:5], 0, 0
	s_cbranch_vccnz .LBB65_160
; %bb.158:
	v_div_scale_f64 v[4:5], s[16:17], v[2:3], v[2:3], v[0:1]
	v_rcp_f64_e32 v[8:9], v[4:5]
	v_div_scale_f64 v[10:11], vcc, v[0:1], v[2:3], v[0:1]
	s_mov_b32 s16, 0
	v_fma_f64 v[12:13], -v[4:5], v[8:9], 1.0
	v_fmac_f64_e32 v[8:9], v[8:9], v[12:13]
	v_fma_f64 v[12:13], -v[4:5], v[8:9], 1.0
	v_fmac_f64_e32 v[8:9], v[8:9], v[12:13]
	v_mul_f64 v[12:13], v[10:11], v[8:9]
	v_fma_f64 v[4:5], -v[4:5], v[12:13], v[10:11]
	v_div_fmas_f64 v[4:5], v[4:5], v[8:9], v[12:13]
	v_div_fixup_f64 v[4:5], v[4:5], v[2:3], v[0:1]
	v_fma_f64 v[4:5], v[4:5], v[4:5], 1.0
	s_brev_b32 s17, 8
	v_cmp_gt_f64_e32 vcc, s[16:17], v[4:5]
	v_cndmask_b32_e64 v8, 0, 1, vcc
	v_lshlrev_b32_e32 v8, 8, v8
	v_ldexp_f64 v[4:5], v[4:5], v8
	v_rsq_f64_e32 v[8:9], v[4:5]
	s_and_b64 s[16:17], vcc, exec
	s_cselect_b32 s16, 0xffffff80, 0
	v_mul_f64 v[10:11], v[4:5], v[8:9]
	v_mul_f64 v[8:9], v[8:9], 0.5
	v_fma_f64 v[12:13], -v[8:9], v[10:11], 0.5
	v_fmac_f64_e32 v[10:11], v[10:11], v[12:13]
	v_fma_f64 v[16:17], -v[10:11], v[10:11], v[4:5]
	v_fmac_f64_e32 v[8:9], v[8:9], v[12:13]
	v_fmac_f64_e32 v[10:11], v[16:17], v[8:9]
	v_fma_f64 v[12:13], -v[10:11], v[10:11], v[4:5]
	v_fmac_f64_e32 v[10:11], v[12:13], v[8:9]
	v_ldexp_f64 v[8:9], v[10:11], s16
	v_mov_b32_e32 v10, 0x260
	v_cmp_class_f64_e32 vcc, v[4:5], v10
	v_cndmask_b32_e32 v5, v9, v5, vcc
	v_cndmask_b32_e32 v4, v8, v4, vcc
	v_mul_f64 v[4:5], v[2:3], v[4:5]
	s_branch .LBB65_160
.LBB65_159:
	s_mov_b64 s[4:5], -1
                                        ; implicit-def: $vgpr4_vgpr5
.LBB65_160:
	s_andn2_b64 vcc, exec, s[4:5]
	s_cbranch_vccnz .LBB65_162
; %bb.161:
	v_div_scale_f64 v[4:5], s[4:5], v[0:1], v[0:1], v[2:3]
	v_rcp_f64_e32 v[8:9], v[4:5]
	v_div_scale_f64 v[10:11], vcc, v[2:3], v[0:1], v[2:3]
	s_mov_b32 s4, 0
	v_fma_f64 v[12:13], -v[4:5], v[8:9], 1.0
	v_fmac_f64_e32 v[8:9], v[8:9], v[12:13]
	v_fma_f64 v[12:13], -v[4:5], v[8:9], 1.0
	v_fmac_f64_e32 v[8:9], v[8:9], v[12:13]
	v_mul_f64 v[12:13], v[10:11], v[8:9]
	v_fma_f64 v[4:5], -v[4:5], v[12:13], v[10:11]
	v_div_fmas_f64 v[4:5], v[4:5], v[8:9], v[12:13]
	v_div_fixup_f64 v[2:3], v[4:5], v[0:1], v[2:3]
	v_fma_f64 v[2:3], v[2:3], v[2:3], 1.0
	s_brev_b32 s5, 8
	v_cmp_gt_f64_e32 vcc, s[4:5], v[2:3]
	v_cndmask_b32_e64 v4, 0, 1, vcc
	v_lshlrev_b32_e32 v4, 8, v4
	v_ldexp_f64 v[2:3], v[2:3], v4
	v_rsq_f64_e32 v[4:5], v[2:3]
	s_and_b64 s[4:5], vcc, exec
	s_cselect_b32 s4, 0xffffff80, 0
	v_mul_f64 v[8:9], v[2:3], v[4:5]
	v_mul_f64 v[4:5], v[4:5], 0.5
	v_fma_f64 v[10:11], -v[4:5], v[8:9], 0.5
	v_fmac_f64_e32 v[8:9], v[8:9], v[10:11]
	v_fma_f64 v[12:13], -v[8:9], v[8:9], v[2:3]
	v_fmac_f64_e32 v[4:5], v[4:5], v[10:11]
	v_fmac_f64_e32 v[8:9], v[12:13], v[4:5]
	v_fma_f64 v[10:11], -v[8:9], v[8:9], v[2:3]
	v_fmac_f64_e32 v[8:9], v[10:11], v[4:5]
	v_ldexp_f64 v[4:5], v[8:9], s4
	v_mov_b32_e32 v8, 0x260
	v_cmp_class_f64_e32 vcc, v[2:3], v8
	v_cndmask_b32_e32 v3, v5, v3, vcc
	v_cndmask_b32_e32 v2, v4, v2, vcc
	v_mul_f64 v[4:5], v[0:1], v[2:3]
.LBB65_162:
	s_mov_b32 s4, 0
	s_brev_b32 s5, 8
	v_cmp_gt_f64_e32 vcc, s[4:5], v[4:5]
	v_cndmask_b32_e64 v0, 0, 1, vcc
	v_lshlrev_b32_e32 v0, 8, v0
	v_ldexp_f64 v[0:1], v[4:5], v0
	v_rsq_f64_e32 v[2:3], v[0:1]
	s_and_b64 s[4:5], vcc, exec
	s_cselect_b32 s4, 0xffffff80, 0
	v_mul_f64 v[4:5], v[0:1], v[2:3]
	v_mul_f64 v[2:3], v[2:3], 0.5
	v_fma_f64 v[8:9], -v[2:3], v[4:5], 0.5
	v_fmac_f64_e32 v[4:5], v[4:5], v[8:9]
	v_fma_f64 v[10:11], -v[4:5], v[4:5], v[0:1]
	v_fmac_f64_e32 v[2:3], v[2:3], v[8:9]
	v_fmac_f64_e32 v[4:5], v[10:11], v[2:3]
	v_fma_f64 v[8:9], -v[4:5], v[4:5], v[0:1]
	v_fmac_f64_e32 v[4:5], v[8:9], v[2:3]
	v_ldexp_f64 v[2:3], v[4:5], s4
	v_mov_b32_e32 v4, 0x260
	v_cmp_class_f64_e32 vcc, v[0:1], v4
	v_cndmask_b32_e32 v0, v2, v0, vcc
	v_mov_b32_e32 v2, 0
	v_cndmask_b32_e32 v1, v3, v1, vcc
	v_mov_b32_e32 v3, v2
	ds_write_b128 v2, v[0:3] offset:2656
.LBB65_163:
	s_or_b64 exec, exec, s[2:3]
	v_mov_b32_e32 v0, 0
	s_waitcnt lgkmcnt(0)
	ds_read_b128 v[0:3], v0 offset:2656
	v_mov_b32_e32 v4, 0x3ff00000
	s_waitcnt lgkmcnt(0)
	v_cmp_neq_f64_e32 vcc, 0, v[0:1]
	v_cmp_neq_f64_e64 s[2:3], 0, v[2:3]
	s_or_b64 vcc, vcc, s[2:3]
	s_or_b64 s[0:1], vcc, s[0:1]
	v_cndmask_b32_e32 v1, v4, v1, vcc
	s_xor_b64 s[2:3], s[0:1], -1
	v_cndmask_b32_e32 v0, 0, v0, vcc
	v_cndmask_b32_e32 v3, 0, v3, vcc
	;; [unrolled: 1-line block ×3, first 2 shown]
	s_and_saveexec_b64 s[0:1], s[2:3]
	s_cbranch_execnz .LBB65_176
; %bb.164:
	s_or_b64 exec, exec, s[0:1]
	v_cmp_lt_u32_e32 vcc, 6, v24
	s_and_saveexec_b64 s[0:1], vcc
	s_cbranch_execnz .LBB65_179
.LBB65_165:
	s_or_b64 exec, exec, s[0:1]
	s_andn2_b64 vcc, exec, s[8:9]
	s_cbranch_vccnz .LBB65_167
.LBB65_166:
	v_mov_b32_e32 v25, v26
.LBB65_167:
	v_add_u32_e32 v0, s30, v25
	v_ashrrev_i32_e32 v1, 31, v0
	v_lshlrev_b64 v[4:5], 4, v[0:1]
	ds_read2_b64 v[0:3], v6 offset1:1
	v_mov_b32_e32 v8, s21
	v_add_co_u32_e32 v4, vcc, s20, v4
	v_addc_co_u32_e32 v5, vcc, v8, v5, vcc
	s_waitcnt lgkmcnt(0)
	global_store_dwordx4 v[4:5], v[0:3], off
	v_cmp_eq_u32_e64 s[0:1], 0, v7
	s_branch .LBB65_173
.LBB65_168:
	v_or_b32_e32 v0, v15, v24
	v_cmp_eq_u32_e32 vcc, 0, v0
	s_and_saveexec_b64 s[2:3], vcc
	s_cbranch_execz .LBB65_172
; %bb.169:
	v_mbcnt_lo_u32_b32 v0, exec_lo, 0
	v_mbcnt_hi_u32_b32 v0, exec_hi, v0
	v_cmp_eq_u32_e32 vcc, 0, v0
	s_and_saveexec_b64 s[4:5], vcc
	s_cbranch_execz .LBB65_171
; %bb.170:
	s_add_i32 s8, s12, s13
	v_mov_b32_e32 v0, 0
	v_mov_b32_e32 v1, s8
	global_atomic_smin v0, v1, s[14:15]
.LBB65_171:
	s_or_b64 exec, exec, s[4:5]
	s_or_b64 s[0:1], s[0:1], exec
.LBB65_172:
	s_or_b64 exec, exec, s[2:3]
.LBB65_173:
	s_and_saveexec_b64 s[2:3], s[0:1]
	s_cbranch_execnz .LBB65_175
; %bb.174:
	s_endpgm
.LBB65_175:
	s_add_u32 s0, s10, s6
	s_addc_u32 s1, s11, s7
	v_mov_b32_e32 v0, 0
	v_mov_b32_e32 v1, 1
	s_waitcnt vmcnt(0)
	global_store_dword v0, v1, s[0:1]
	s_endpgm
.LBB65_176:
	v_mbcnt_lo_u32_b32 v0, exec_lo, 0
	v_mbcnt_hi_u32_b32 v0, exec_hi, v0
	v_cmp_eq_u32_e32 vcc, 0, v0
	s_and_saveexec_b64 s[2:3], vcc
	s_cbranch_execz .LBB65_178
; %bb.177:
	v_mov_b32_e32 v0, 0
	v_mov_b32_e32 v1, s18
	global_atomic_smin v0, v1, s[14:15]
.LBB65_178:
	s_or_b64 exec, exec, s[2:3]
	v_mov_b32_e32 v0, 0
	v_mov_b32_e32 v1, 0x3ff00000
	v_pk_mov_b32 v[2:3], 0, 0
	s_or_b64 exec, exec, s[0:1]
	v_cmp_lt_u32_e32 vcc, 6, v24
	s_and_saveexec_b64 s[0:1], vcc
	s_cbranch_execz .LBB65_165
.LBB65_179:
	v_mul_f64 v[4:5], v[2:3], v[2:3]
	v_lshlrev_b32_e32 v14, 7, v24
	v_fmac_f64_e32 v[4:5], v[0:1], v[0:1]
	ds_read_b128 v[8:11], v14 offset:1888
	ds_read_b128 v[16:19], v14 offset:2784
	v_div_scale_f64 v[12:13], s[2:3], v[4:5], v[4:5], 1.0
	v_rcp_f64_e32 v[20:21], v[12:13]
	s_waitcnt lgkmcnt(0)
	v_add_f64 v[16:17], v[8:9], -v[16:17]
	v_add_f64 v[10:11], v[10:11], -v[18:19]
	v_fma_f64 v[8:9], -v[12:13], v[20:21], 1.0
	v_fmac_f64_e32 v[20:21], v[20:21], v[8:9]
	v_fma_f64 v[8:9], -v[12:13], v[20:21], 1.0
	v_fmac_f64_e32 v[20:21], v[20:21], v[8:9]
	v_div_scale_f64 v[8:9], vcc, 1.0, v[4:5], 1.0
	v_mul_f64 v[18:19], v[8:9], v[20:21]
	v_fma_f64 v[8:9], -v[12:13], v[18:19], v[8:9]
	s_nop 1
	v_div_fmas_f64 v[8:9], v[8:9], v[20:21], v[18:19]
	v_div_fixup_f64 v[4:5], v[8:9], v[4:5], 1.0
	v_mul_f64 v[8:9], v[2:3], v[10:11]
	v_mul_f64 v[2:3], v[2:3], -v[16:17]
	v_fmac_f64_e32 v[8:9], v[16:17], v[0:1]
	v_fmac_f64_e32 v[2:3], v[10:11], v[0:1]
	v_mul_f64 v[8:9], v[4:5], v[8:9]
	v_mul_f64 v[10:11], v[4:5], v[2:3]
	v_lshlrev_b32_e32 v0, 7, v15
	ds_write_b128 v14, v[8:11] offset:1888
	s_waitcnt lgkmcnt(0)
	ds_read_b128 v[0:3], v0 offset:1888
	ds_read_b128 v[16:19], v27
	s_waitcnt lgkmcnt(0)
	v_fmac_f64_e32 v[16:17], v[8:9], v[0:1]
	v_fmac_f64_e32 v[18:19], v[10:11], v[0:1]
	;; [unrolled: 1-line block ×3, first 2 shown]
	v_fma_f64 v[18:19], v[8:9], -v[2:3], v[18:19]
	ds_write_b128 v27, v[16:19]
	s_or_b64 exec, exec, s[0:1]
	s_andn2_b64 vcc, exec, s[8:9]
	s_waitcnt lgkmcnt(0)
	s_cbranch_vccz .LBB65_166
	s_branch .LBB65_167
	.section	.rodata,"a",@progbits
	.p2align	6, 0x0
	.amdhsa_kernel _ZN9rocsparseL26bsric0_2_8_unrolled_kernelILi49ELi32ELi7E21rocsparse_complex_numIdEEEv20rocsparse_direction_iiPKiS5_PT2_S5_PiS5_S8_21rocsparse_index_base_
		.amdhsa_group_segment_fixed_size 3968
		.amdhsa_private_segment_fixed_size 0
		.amdhsa_kernarg_size 76
		.amdhsa_user_sgpr_count 6
		.amdhsa_user_sgpr_private_segment_buffer 1
		.amdhsa_user_sgpr_dispatch_ptr 0
		.amdhsa_user_sgpr_queue_ptr 0
		.amdhsa_user_sgpr_kernarg_segment_ptr 1
		.amdhsa_user_sgpr_dispatch_id 0
		.amdhsa_user_sgpr_flat_scratch_init 0
		.amdhsa_user_sgpr_kernarg_preload_length 0
		.amdhsa_user_sgpr_kernarg_preload_offset 0
		.amdhsa_user_sgpr_private_segment_size 0
		.amdhsa_uses_dynamic_stack 0
		.amdhsa_system_sgpr_private_segment_wavefront_offset 0
		.amdhsa_system_sgpr_workgroup_id_x 1
		.amdhsa_system_sgpr_workgroup_id_y 0
		.amdhsa_system_sgpr_workgroup_id_z 0
		.amdhsa_system_sgpr_workgroup_info 0
		.amdhsa_system_vgpr_workitem_id 1
		.amdhsa_next_free_vgpr 86
		.amdhsa_next_free_sgpr 40
		.amdhsa_accum_offset 88
		.amdhsa_reserve_vcc 1
		.amdhsa_reserve_flat_scratch 0
		.amdhsa_float_round_mode_32 0
		.amdhsa_float_round_mode_16_64 0
		.amdhsa_float_denorm_mode_32 3
		.amdhsa_float_denorm_mode_16_64 3
		.amdhsa_dx10_clamp 1
		.amdhsa_ieee_mode 1
		.amdhsa_fp16_overflow 0
		.amdhsa_tg_split 0
		.amdhsa_exception_fp_ieee_invalid_op 0
		.amdhsa_exception_fp_denorm_src 0
		.amdhsa_exception_fp_ieee_div_zero 0
		.amdhsa_exception_fp_ieee_overflow 0
		.amdhsa_exception_fp_ieee_underflow 0
		.amdhsa_exception_fp_ieee_inexact 0
		.amdhsa_exception_int_div_zero 0
	.end_amdhsa_kernel
	.section	.text._ZN9rocsparseL26bsric0_2_8_unrolled_kernelILi49ELi32ELi7E21rocsparse_complex_numIdEEEv20rocsparse_direction_iiPKiS5_PT2_S5_PiS5_S8_21rocsparse_index_base_,"axG",@progbits,_ZN9rocsparseL26bsric0_2_8_unrolled_kernelILi49ELi32ELi7E21rocsparse_complex_numIdEEEv20rocsparse_direction_iiPKiS5_PT2_S5_PiS5_S8_21rocsparse_index_base_,comdat
.Lfunc_end65:
	.size	_ZN9rocsparseL26bsric0_2_8_unrolled_kernelILi49ELi32ELi7E21rocsparse_complex_numIdEEEv20rocsparse_direction_iiPKiS5_PT2_S5_PiS5_S8_21rocsparse_index_base_, .Lfunc_end65-_ZN9rocsparseL26bsric0_2_8_unrolled_kernelILi49ELi32ELi7E21rocsparse_complex_numIdEEEv20rocsparse_direction_iiPKiS5_PT2_S5_PiS5_S8_21rocsparse_index_base_
                                        ; -- End function
	.section	.AMDGPU.csdata,"",@progbits
; Kernel info:
; codeLenInByte = 15168
; NumSgprs: 44
; NumVgprs: 86
; NumAgprs: 0
; TotalNumVgprs: 86
; ScratchSize: 0
; MemoryBound: 1
; FloatMode: 240
; IeeeMode: 1
; LDSByteSize: 3968 bytes/workgroup (compile time only)
; SGPRBlocks: 5
; VGPRBlocks: 10
; NumSGPRsForWavesPerEU: 44
; NumVGPRsForWavesPerEU: 86
; AccumOffset: 88
; Occupancy: 4
; WaveLimiterHint : 1
; COMPUTE_PGM_RSRC2:SCRATCH_EN: 0
; COMPUTE_PGM_RSRC2:USER_SGPR: 6
; COMPUTE_PGM_RSRC2:TRAP_HANDLER: 0
; COMPUTE_PGM_RSRC2:TGID_X_EN: 1
; COMPUTE_PGM_RSRC2:TGID_Y_EN: 0
; COMPUTE_PGM_RSRC2:TGID_Z_EN: 0
; COMPUTE_PGM_RSRC2:TIDIG_COMP_CNT: 1
; COMPUTE_PGM_RSRC3_GFX90A:ACCUM_OFFSET: 21
; COMPUTE_PGM_RSRC3_GFX90A:TG_SPLIT: 0
	.section	.text._ZN9rocsparseL26bsric0_2_8_unrolled_kernelILi64ELi32ELi8E21rocsparse_complex_numIdEEEv20rocsparse_direction_iiPKiS5_PT2_S5_PiS5_S8_21rocsparse_index_base_,"axG",@progbits,_ZN9rocsparseL26bsric0_2_8_unrolled_kernelILi64ELi32ELi8E21rocsparse_complex_numIdEEEv20rocsparse_direction_iiPKiS5_PT2_S5_PiS5_S8_21rocsparse_index_base_,comdat
	.globl	_ZN9rocsparseL26bsric0_2_8_unrolled_kernelILi64ELi32ELi8E21rocsparse_complex_numIdEEEv20rocsparse_direction_iiPKiS5_PT2_S5_PiS5_S8_21rocsparse_index_base_ ; -- Begin function _ZN9rocsparseL26bsric0_2_8_unrolled_kernelILi64ELi32ELi8E21rocsparse_complex_numIdEEEv20rocsparse_direction_iiPKiS5_PT2_S5_PiS5_S8_21rocsparse_index_base_
	.p2align	8
	.type	_ZN9rocsparseL26bsric0_2_8_unrolled_kernelILi64ELi32ELi8E21rocsparse_complex_numIdEEEv20rocsparse_direction_iiPKiS5_PT2_S5_PiS5_S8_21rocsparse_index_base_,@function
_ZN9rocsparseL26bsric0_2_8_unrolled_kernelILi64ELi32ELi8E21rocsparse_complex_numIdEEEv20rocsparse_direction_iiPKiS5_PT2_S5_PiS5_S8_21rocsparse_index_base_: ; @_ZN9rocsparseL26bsric0_2_8_unrolled_kernelILi64ELi32ELi8E21rocsparse_complex_numIdEEEv20rocsparse_direction_iiPKiS5_PT2_S5_PiS5_S8_21rocsparse_index_base_
; %bb.0:
	s_load_dwordx8 s[8:15], s[4:5], 0x28
	s_mov_b32 s7, 0
	s_lshl_b64 s[0:1], s[6:7], 2
	v_and_b32_e32 v28, 0x3ff, v0
	v_bfe_u32 v29, v0, 10, 10
	s_waitcnt lgkmcnt(0)
	s_add_u32 s0, s12, s0
	s_addc_u32 s1, s13, s1
	s_load_dword s12, s[0:1], 0x0
	s_waitcnt lgkmcnt(0)
	s_ashr_i32 s13, s12, 31
	s_lshl_b64 s[6:7], s[12:13], 2
	s_add_u32 s0, s8, s6
	s_addc_u32 s1, s9, s7
	s_load_dword s30, s[0:1], 0x0
	s_load_dword s13, s[4:5], 0x48
	s_waitcnt lgkmcnt(0)
	s_cmp_lg_u32 s30, -1
	s_cbranch_scc0 .LBB66_16
; %bb.1:
	s_load_dwordx4 s[16:19], s[4:5], 0x10
	v_lshlrev_b32_e32 v33, 3, v29
	v_add_u32_e32 v32, v33, v28
	s_waitcnt lgkmcnt(0)
	s_add_u32 s0, s16, s6
	s_addc_u32 s1, s17, s7
	s_load_dword s24, s[0:1], 0x0
	s_waitcnt lgkmcnt(0)
	s_sub_i32 s31, s24, s13
	v_add_u32_e32 v0, s31, v32
	v_cmp_ge_i32_e32 vcc, s30, v0
	s_and_saveexec_b64 s[0:1], vcc
	s_cbranch_execz .LBB66_14
; %bb.2:
	v_add_u32_e32 v1, s24, v32
	v_subrev_u32_e32 v1, s13, v1
	v_add_u32_e32 v1, 64, v1
	s_add_i32 s2, s30, 1
	v_max_i32_e32 v1, s2, v1
	v_not_b32_e32 v2, v28
	v_add3_u32 v1, v1, s13, v2
	v_add_u32_e32 v2, s24, v33
	v_sub_u32_e32 v1, v1, v2
	v_cmp_lt_u32_e32 vcc, 63, v1
	s_mov_b64 s[20:21], -1
	s_and_saveexec_b64 s[2:3], vcc
	s_cbranch_execz .LBB66_11
; %bb.3:
	v_lshrrev_b32_e32 v12, 6, v1
	v_add_u32_e32 v2, -1, v12
	v_add_u32_e32 v1, 64, v0
	v_lshrrev_b32_e32 v3, 1, v2
	v_add_u32_e32 v13, 1, v3
	v_cmp_lt_u32_e32 vcc, 13, v2
	v_pk_mov_b32 v[2:3], v[0:1], v[0:1] op_sel:[0,1]
	s_and_saveexec_b64 s[20:21], vcc
	s_cbranch_execz .LBB66_7
; %bb.4:
	v_and_b32_e32 v14, -8, v13
	s_mov_b64 s[22:23], 0
	v_mov_b32_e32 v15, s19
	v_pk_mov_b32 v[2:3], v[0:1], v[0:1] op_sel:[0,1]
.LBB66_5:                               ; =>This Inner Loop Header: Depth=1
	v_ashrrev_i32_e32 v19, 31, v2
	v_mov_b32_e32 v18, v2
	v_lshlrev_b64 v[18:19], 2, v[18:19]
	v_ashrrev_i32_e32 v17, 31, v3
	v_mov_b32_e32 v16, v3
	v_add_co_u32_e32 v18, vcc, s18, v18
	v_add_u32_e32 v4, 0x80, v2
	v_lshlrev_b64 v[16:17], 2, v[16:17]
	v_addc_co_u32_e32 v19, vcc, v15, v19, vcc
	v_ashrrev_i32_e32 v5, 31, v4
	v_add_co_u32_e32 v16, vcc, s18, v16
	v_add_u32_e32 v6, 0x80, v3
	v_addc_co_u32_e32 v17, vcc, v15, v17, vcc
	v_lshlrev_b64 v[44:45], 2, v[4:5]
	v_ashrrev_i32_e32 v7, 31, v6
	global_load_dword v1, v[18:19], off
	global_load_dword v5, v[16:17], off
	v_add_co_u32_e32 v16, vcc, s18, v44
	v_add_u32_e32 v8, 0x100, v2
	v_lshlrev_b64 v[46:47], 2, v[6:7]
	v_addc_co_u32_e32 v17, vcc, v15, v45, vcc
	v_ashrrev_i32_e32 v9, 31, v8
	v_add_co_u32_e32 v18, vcc, s18, v46
	v_add_u32_e32 v10, 0x100, v3
	v_lshlrev_b64 v[48:49], 2, v[8:9]
	v_addc_co_u32_e32 v19, vcc, v15, v47, vcc
	v_ashrrev_i32_e32 v11, 31, v10
	;; [unrolled: 5-line block ×12, first 2 shown]
	v_add_co_u32_e32 v64, vcc, s18, v68
	v_lshlrev_b64 v[70:71], 2, v[42:43]
	v_addc_co_u32_e32 v65, vcc, v15, v69, vcc
	v_add_co_u32_e32 v66, vcc, s18, v70
	v_addc_co_u32_e32 v67, vcc, v15, v71, vcc
	global_load_dword v7, v[18:19], off
	global_load_dword v9, v[16:17], off
	;; [unrolled: 1-line block ×14, first 2 shown]
	v_subrev_u32_e32 v17, s31, v2
	v_add_u32_e32 v14, -8, v14
	v_subrev_u32_e32 v16, s31, v3
	v_lshlrev_b32_e32 v17, 2, v17
	v_subrev_u32_e32 v4, s31, v4
	v_cmp_eq_u32_e32 vcc, 0, v14
	s_waitcnt vmcnt(14)
	v_subrev_u32_e32 v5, s13, v5
	v_subrev_u32_e32 v1, s13, v1
	v_add_u32_e32 v3, 0x400, v3
	v_add_u32_e32 v2, 0x400, v2
	v_lshlrev_b32_e32 v16, 2, v16
	v_subrev_u32_e32 v6, s31, v6
	v_subrev_u32_e32 v10, s31, v10
	;; [unrolled: 1-line block ×13, first 2 shown]
	v_lshlrev_b32_e32 v4, 2, v4
	s_or_b64 s[22:23], vcc, s[22:23]
	ds_write_b32 v17, v1 offset:4864
	ds_write_b32 v16, v5 offset:4864
	v_lshlrev_b32_e32 v6, 2, v6
	v_lshlrev_b32_e32 v8, 2, v8
	;; [unrolled: 1-line block ×13, first 2 shown]
	s_waitcnt vmcnt(13)
	v_subrev_u32_e32 v1, s13, v7
	s_waitcnt vmcnt(12)
	v_subrev_u32_e32 v5, s13, v9
	;; [unrolled: 2-line block ×14, first 2 shown]
	ds_write_b32 v4, v5 offset:4864
	ds_write_b32 v6, v1 offset:4864
	;; [unrolled: 1-line block ×14, first 2 shown]
	s_andn2_b64 exec, exec, s[22:23]
	s_cbranch_execnz .LBB66_5
; %bb.6:
	s_or_b64 exec, exec, s[22:23]
.LBB66_7:
	s_or_b64 exec, exec, s[20:21]
	v_and_b32_e32 v1, 7, v13
	v_cmp_ne_u32_e32 vcc, 0, v1
	s_and_saveexec_b64 s[20:21], vcc
	s_cbranch_execz .LBB66_10
; %bb.8:
	s_mov_b64 s[22:23], 0
	v_mov_b32_e32 v4, s19
.LBB66_9:                               ; =>This Inner Loop Header: Depth=1
	v_ashrrev_i32_e32 v9, 31, v2
	v_mov_b32_e32 v8, v2
	v_lshlrev_b64 v[8:9], 2, v[8:9]
	v_ashrrev_i32_e32 v7, 31, v3
	v_mov_b32_e32 v6, v3
	v_add_co_u32_e32 v8, vcc, s18, v8
	v_lshlrev_b64 v[6:7], 2, v[6:7]
	v_addc_co_u32_e32 v9, vcc, v4, v9, vcc
	v_add_co_u32_e32 v6, vcc, s18, v6
	v_addc_co_u32_e32 v7, vcc, v4, v7, vcc
	global_load_dword v5, v[6:7], off
	global_load_dword v10, v[8:9], off
	v_add_u32_e32 v1, -1, v1
	v_subrev_u32_e32 v7, s31, v2
	v_cmp_eq_u32_e32 vcc, 0, v1
	v_subrev_u32_e32 v6, s31, v3
	v_add_u32_e32 v3, 0x80, v3
	v_add_u32_e32 v2, 0x80, v2
	v_lshlrev_b32_e32 v7, 2, v7
	s_or_b64 s[22:23], vcc, s[22:23]
	v_lshlrev_b32_e32 v6, 2, v6
	s_waitcnt vmcnt(1)
	v_subrev_u32_e32 v5, s13, v5
	s_waitcnt vmcnt(0)
	v_subrev_u32_e32 v8, s13, v10
	ds_write_b32 v7, v8 offset:4864
	ds_write_b32 v6, v5 offset:4864
	s_andn2_b64 exec, exec, s[22:23]
	s_cbranch_execnz .LBB66_9
.LBB66_10:
	s_or_b64 exec, exec, s[20:21]
	v_add_u32_e32 v1, 1, v12
	v_and_b32_e32 v2, 0x7fffffe, v1
	v_cmp_ne_u32_e32 vcc, v1, v2
	v_lshl_add_u32 v0, v2, 6, v0
	s_orn2_b64 s[20:21], vcc, exec
.LBB66_11:
	s_or_b64 exec, exec, s[2:3]
	s_and_b64 exec, exec, s[20:21]
	s_cbranch_execz .LBB66_14
; %bb.12:
	v_add_u32_e32 v1, s13, v0
	v_subrev_u32_e32 v1, s24, v1
	v_mov_b32_e32 v2, 0x1300
	v_lshl_add_u32 v4, v1, 2, v2
	v_ashrrev_i32_e32 v1, 31, v0
	v_lshlrev_b64 v[2:3], 2, v[0:1]
	v_mov_b32_e32 v1, s19
	v_add_co_u32_e32 v2, vcc, s18, v2
	v_addc_co_u32_e32 v3, vcc, v1, v3, vcc
	s_mov_b64 s[2:3], 0
.LBB66_13:                              ; =>This Inner Loop Header: Depth=1
	global_load_dword v1, v[2:3], off
	v_add_co_u32_e32 v2, vcc, 0x100, v2
	v_add_u32_e32 v0, 64, v0
	v_addc_co_u32_e32 v3, vcc, 0, v3, vcc
	v_cmp_lt_i32_e32 vcc, s30, v0
	s_or_b64 s[2:3], vcc, s[2:3]
	s_waitcnt vmcnt(0)
	v_subrev_u32_e32 v1, s13, v1
	ds_write_b32 v4, v1
	v_add_u32_e32 v4, 0x100, v4
	s_andn2_b64 exec, exec, s[2:3]
	s_cbranch_execnz .LBB66_13
.LBB66_14:
	s_or_b64 exec, exec, s[0:1]
	s_load_dwordx2 s[20:21], s[4:5], 0x20
	v_lshlrev_b32_e32 v34, 4, v28
	s_movk_i32 s0, 0x90
	v_mov_b32_e32 v2, 0
	v_mad_u32_u24 v0, v29, s0, v34
	v_mov_b32_e32 v3, v2
	v_mov_b32_e32 v4, v2
	v_mov_b32_e32 v5, v2
	s_cmp_lt_i32 s31, s30
	ds_write_b128 v0, v[2:5] offset:3456
	s_waitcnt lgkmcnt(0)
	s_cbranch_scc1 .LBB66_17
; %bb.15:
	v_lshl_add_u32 v35, v28, 3, v29
	v_or_b32_e32 v30, v28, v29
	s_load_dword s33, s[4:5], 0x0
	v_add_u32_e32 v31, 0xd80, v0
	s_cbranch_execz .LBB66_18
	s_branch .LBB66_75
.LBB66_16:
	s_mov_b64 s[0:1], 0
	s_cbranch_execnz .LBB66_188
	s_branch .LBB66_193
.LBB66_17:
                                        ; implicit-def: $vgpr35
                                        ; implicit-def: $vgpr30
	s_load_dword s33, s[4:5], 0x0
	v_add_u32_e32 v31, 0xd80, v0
.LBB66_18:
	s_waitcnt lgkmcnt(0)
	s_cmp_eq_u32 s33, 0
	v_lshlrev_b32_e32 v36, 3, v28
	s_movk_i32 s2, 0x90
	v_mov_b32_e32 v0, 0x900
	v_mov_b32_e32 v1, 0x480
	v_add_u32_e32 v35, v36, v29
	s_cselect_b64 vcc, -1, 0
	s_cmp_lg_u32 s33, 0
	v_mad_u32_u24 v37, v29, s2, v0
	v_mad_u32_u24 v40, v29, s2, v1
	v_or_b32_e32 v30, v28, v29
	s_cselect_b64 s[4:5], -1, 0
	v_add_u32_e32 v38, v37, v34
	v_mad_u32_u24 v39, v29, s2, v34
	v_add_u32_e32 v41, v40, v34
	v_cmp_ne_u32_e64 s[0:1], 0, v30
	v_mad_u32_u24 v42, v28, s2, v0
	v_cndmask_b32_e32 v43, v35, v32, vcc
	v_mov_b32_e32 v44, 0
	v_mov_b32_e32 v45, 0x3ff00000
	s_mov_b32 s22, s31
	s_branch .LBB66_22
.LBB66_19:                              ;   in Loop: Header=BB66_22 Depth=1
	s_or_b64 exec, exec, s[24:25]
	v_mov_b32_e32 v4, 0
	v_mov_b32_e32 v5, 0x3ff00000
	v_pk_mov_b32 v[6:7], 0, 0
.LBB66_20:                              ;   in Loop: Header=BB66_22 Depth=1
	s_or_b64 exec, exec, s[2:3]
	ds_read_b128 v[8:11], v44 offset:1104
	ds_read_b128 v[12:15], v44 offset:1088
	ds_read_b128 v[16:19], v44 offset:1072
	ds_read_b128 v[22:25], v37 offset:80
	ds_read_b128 v[46:49], v37 offset:64
	ds_read_b128 v[50:53], v44 offset:1008
	ds_read_b128 v[54:57], v44 offset:1024
	ds_read_b128 v[58:61], v37
	ds_read_b128 v[62:65], v37 offset:96
	ds_read_b128 v[66:69], v40 offset:112
	;; [unrolled: 1-line block ×7, first 2 shown]
	s_waitcnt lgkmcnt(5)
	v_fmac_f64_e32 v[68:69], v[52:53], v[58:59]
	v_fma_f64 v[26:27], v[50:51], -v[60:61], v[68:69]
	v_fmac_f64_e32 v[66:67], v[50:51], v[58:59]
	s_waitcnt lgkmcnt(2)
	v_fmac_f64_e32 v[26:27], v[56:57], v[78:79]
	v_fmac_f64_e32 v[66:67], v[52:53], v[60:61]
	v_fma_f64 v[26:27], v[54:55], -v[80:81], v[26:27]
	v_fmac_f64_e32 v[66:67], v[54:55], v[78:79]
	s_waitcnt lgkmcnt(1)
	v_fmac_f64_e32 v[26:27], v[72:73], v[82:83]
	;; [unrolled: 5-line block ×3, first 2 shown]
	v_fmac_f64_e32 v[66:67], v[72:73], v[84:85]
	v_fma_f64 v[26:27], v[74:75], -v[88:89], v[26:27]
	v_fmac_f64_e32 v[66:67], v[74:75], v[86:87]
	v_fmac_f64_e32 v[26:27], v[18:19], v[46:47]
	v_fmac_f64_e32 v[66:67], v[76:77], v[88:89]
	v_fma_f64 v[26:27], v[16:17], -v[48:49], v[26:27]
	v_fmac_f64_e32 v[66:67], v[16:17], v[46:47]
	v_fmac_f64_e32 v[26:27], v[14:15], v[22:23]
	;; [unrolled: 4-line block ×3, first 2 shown]
	v_fmac_f64_e32 v[66:67], v[14:15], v[24:25]
	v_fma_f64 v[26:27], v[8:9], -v[64:65], v[26:27]
	v_fmac_f64_e32 v[66:67], v[8:9], v[62:63]
	v_mul_f64 v[8:9], v[6:7], v[6:7]
	v_fmac_f64_e32 v[8:9], v[4:5], v[4:5]
	v_div_scale_f64 v[12:13], s[2:3], v[8:9], v[8:9], 1.0
	v_rcp_f64_e32 v[14:15], v[12:13]
	v_fmac_f64_e32 v[66:67], v[10:11], v[64:65]
	v_add_f64 v[10:11], v[0:1], -v[66:67]
	v_add_f64 v[2:3], v[2:3], -v[26:27]
	v_fma_f64 v[0:1], -v[12:13], v[14:15], 1.0
	v_fmac_f64_e32 v[14:15], v[14:15], v[0:1]
	v_fma_f64 v[0:1], -v[12:13], v[14:15], 1.0
	v_fmac_f64_e32 v[14:15], v[14:15], v[0:1]
	v_div_scale_f64 v[0:1], vcc, 1.0, v[8:9], 1.0
	v_mul_f64 v[16:17], v[0:1], v[14:15]
	v_fma_f64 v[0:1], -v[12:13], v[16:17], v[0:1]
	s_add_i32 s22, s22, 1
	s_nop 0
	v_div_fmas_f64 v[0:1], v[0:1], v[14:15], v[16:17]
	v_div_fixup_f64 v[8:9], v[0:1], v[8:9], 1.0
	v_mul_f64 v[0:1], v[6:7], v[2:3]
	v_mul_f64 v[6:7], v[6:7], -v[10:11]
	v_fmac_f64_e32 v[0:1], v[10:11], v[4:5]
	v_fmac_f64_e32 v[6:7], v[2:3], v[4:5]
	v_mul_f64 v[0:1], v[8:9], v[0:1]
	v_mul_f64 v[2:3], v[8:9], v[6:7]
	ds_write_b128 v37, v[0:3] offset:112
	s_waitcnt lgkmcnt(0)
	ds_read_b128 v[4:7], v42 offset:112
	ds_read_b128 v[8:11], v31
	s_cmp_ge_i32 s22, s30
	s_cselect_b64 s[26:27], -1, 0
	s_waitcnt lgkmcnt(0)
	v_fmac_f64_e32 v[8:9], v[0:1], v[4:5]
	v_fmac_f64_e32 v[10:11], v[2:3], v[4:5]
	;; [unrolled: 1-line block ×3, first 2 shown]
	v_fma_f64 v[10:11], v[0:1], -v[6:7], v[10:11]
	ds_write_b128 v31, v[8:11]
	s_waitcnt lgkmcnt(0)
	ds_read2_b64 v[0:3], v38 offset1:1
	s_waitcnt lgkmcnt(0)
	global_store_dwordx4 v[20:21], v[0:3], off
	s_waitcnt vmcnt(0)
	buffer_wbinvl1_vol
.LBB66_21:                              ;   in Loop: Header=BB66_22 Depth=1
	s_and_b64 vcc, exec, s[26:27]
	s_cbranch_vccnz .LBB66_75
.LBB66_22:                              ; =>This Loop Header: Depth=1
                                        ;     Child Loop BB66_25 Depth 2
                                        ;     Child Loop BB66_36 Depth 2
	s_ashr_i32 s23, s22, 31
	s_lshl_b64 s[2:3], s[22:23], 2
	s_add_u32 s2, s18, s2
	s_addc_u32 s3, s19, s3
	s_load_dword s23, s[2:3], 0x0
	s_waitcnt lgkmcnt(0)
	s_sub_i32 s24, s23, s13
	s_ashr_i32 s25, s24, 31
	s_lshl_b64 s[2:3], s[24:25], 2
	s_add_u32 s26, s8, s2
	s_addc_u32 s27, s9, s3
	s_load_dword s25, s[26:27], 0x0
	s_mov_b64 s[26:27], -1
	s_waitcnt lgkmcnt(0)
	s_cmp_eq_u32 s25, -1
	s_cbranch_scc1 .LBB66_21
; %bb.23:                               ;   in Loop: Header=BB66_22 Depth=1
	v_lshl_add_u32 v0, s22, 6, v43
	v_ashrrev_i32_e32 v1, 31, v0
	v_lshlrev_b64 v[0:1], 4, v[0:1]
	v_mov_b32_e32 v2, s21
	v_add_co_u32_e32 v20, vcc, s20, v0
	v_addc_co_u32_e32 v21, vcc, v2, v1, vcc
	global_load_dwordx4 v[0:3], v[20:21], off
	s_add_u32 s26, s16, s2
	s_addc_u32 s27, s17, s3
	s_load_dword s26, s[26:27], 0x0
	ds_read_b32 v4, v44 offset:4864
	s_mov_b32 s27, 0
	s_waitcnt lgkmcnt(0)
	s_sub_i32 s26, s26, s13
	s_cmp_le_i32 s26, s25
	v_cmp_ge_i32_e32 vcc, s24, v4
	s_cselect_b64 s[28:29], -1, 0
	s_and_b64 s[28:29], s[28:29], vcc
	s_andn2_b64 vcc, exec, s[28:29]
	s_waitcnt vmcnt(0)
	ds_write2_b64 v38, v[0:1], v[2:3] offset1:1
	s_cbranch_vccnz .LBB66_35
; %bb.24:                               ;   in Loop: Header=BB66_22 Depth=1
	s_mov_b32 s34, 0
	s_mov_b32 s35, 0
.LBB66_25:                              ;   Parent Loop BB66_22 Depth=1
                                        ; =>  This Inner Loop Header: Depth=2
	s_ashr_i32 s27, s26, 31
	s_lshl_b64 s[28:29], s[26:27], 2
	s_add_u32 s28, s18, s28
	s_addc_u32 s29, s19, s29
	s_load_dword s27, s[28:29], 0x0
	s_lshl_b32 s28, s35, 2
	v_mov_b32_e32 v0, s28
	ds_read_b32 v0, v0 offset:4864
	s_mov_b64 s[28:29], -1
	s_waitcnt lgkmcnt(0)
	s_sub_i32 s39, s27, s13
                                        ; implicit-def: $sgpr27
                                        ; implicit-def: $sgpr38
                                        ; implicit-def: $sgpr37
	v_cmp_ge_i32_e32 vcc, s39, v0
	v_readfirstlane_b32 s36, v0
	s_cbranch_vccz .LBB66_31
; %bb.26:                               ;   in Loop: Header=BB66_25 Depth=2
	s_cmp_le_i32 s39, s36
                                        ; implicit-def: $sgpr27
                                        ; implicit-def: $sgpr38
                                        ; implicit-def: $sgpr37
	s_cbranch_scc0 .LBB66_28
; %bb.27:                               ;   in Loop: Header=BB66_25 Depth=2
	s_add_i32 s27, s35, s31
	s_lshl_b32 s27, s27, 6
	s_lshl_b32 s28, s34, 2
	v_mov_b32_e32 v0, s28
	v_mov_b32_e32 v1, s27
	s_lshl_b32 s27, s26, 6
	v_mov_b32_e32 v2, s27
	v_add_u32_e32 v0, 0x1000, v0
	ds_write2_b32 v0, v2, v1 offset0:128 offset1:160
	s_add_i32 s37, s35, 1
	s_add_i32 s38, s26, 1
	;; [unrolled: 1-line block ×3, first 2 shown]
	s_mov_b64 s[28:29], 0
.LBB66_28:                              ;   in Loop: Header=BB66_25 Depth=2
	s_andn2_b64 vcc, exec, s[28:29]
	s_cbranch_vccnz .LBB66_30
; %bb.29:                               ;   in Loop: Header=BB66_25 Depth=2
	s_add_i32 s37, s35, 1
	s_mov_b32 s27, s34
	s_mov_b32 s38, s26
.LBB66_30:                              ;   in Loop: Header=BB66_25 Depth=2
	s_mov_b64 s[28:29], 0
.LBB66_31:                              ;   in Loop: Header=BB66_25 Depth=2
	s_andn2_b64 vcc, exec, s[28:29]
	s_cbranch_vccnz .LBB66_33
; %bb.32:                               ;   in Loop: Header=BB66_25 Depth=2
	s_add_i32 s38, s26, 1
	s_mov_b32 s37, s35
	s_mov_b32 s27, s34
.LBB66_33:                              ;   in Loop: Header=BB66_25 Depth=2
	s_cmp_le_i32 s38, s25
	s_cselect_b64 s[28:29], -1, 0
	s_cmp_le_i32 s36, s24
	s_cselect_b64 s[34:35], -1, 0
	s_and_b64 s[28:29], s[28:29], s[34:35]
	s_and_b64 vcc, exec, s[28:29]
	s_cbranch_vccz .LBB66_35
; %bb.34:                               ;   in Loop: Header=BB66_25 Depth=2
	s_mov_b32 s34, s27
	s_mov_b32 s26, s38
	;; [unrolled: 1-line block ×3, first 2 shown]
	s_branch .LBB66_25
.LBB66_35:                              ;   in Loop: Header=BB66_22 Depth=1
	s_add_u32 s2, s10, s2
	s_addc_u32 s3, s11, s3
	s_waitcnt lgkmcnt(0)
.LBB66_36:                              ;   Parent Loop BB66_22 Depth=1
                                        ; =>  This Inner Loop Header: Depth=2
	global_load_dword v0, v44, s[2:3] glc
	s_waitcnt vmcnt(0)
	v_cmp_eq_u32_e32 vcc, 0, v0
	s_cbranch_vccnz .LBB66_36
; %bb.37:                               ;   in Loop: Header=BB66_22 Depth=1
	v_lshl_add_u32 v0, s25, 6, v43
	v_ashrrev_i32_e32 v1, 31, v0
	v_lshlrev_b64 v[0:1], 4, v[0:1]
	v_mov_b32_e32 v2, s21
	v_add_co_u32_e32 v0, vcc, s20, v0
	v_addc_co_u32_e32 v1, vcc, v2, v1, vcc
	buffer_wbinvl1_vol
	global_load_dwordx4 v[0:3], v[0:1], off
	v_pk_mov_b32 v[18:19], 0, 0
	s_cmp_lt_i32 s27, 2
	v_pk_mov_b32 v[16:17], v[18:19], v[18:19] op_sel:[0,1]
	s_waitcnt vmcnt(0)
	ds_write2_b64 v39, v[0:1], v[2:3] offset1:1
	s_waitcnt lgkmcnt(0)
	s_cbranch_scc1 .LBB66_44
; %bb.38:                               ;   in Loop: Header=BB66_22 Depth=1
	v_pk_mov_b32 v[24:25], 0, 0
	s_add_i32 s24, s27, -1
	s_movk_i32 s25, 0x1200
	v_pk_mov_b32 v[22:23], v[24:25], v[24:25] op_sel:[0,1]
	v_mov_b32_e32 v0, s25
	ds_read2_b32 v[26:27], v0 offset1:32
	s_and_b64 vcc, exec, s[4:5]
	s_cbranch_vccz .LBB66_40
.LBB66_39:                              ;   in Loop: Header=BB66_22 Depth=1
	s_waitcnt lgkmcnt(0)
	v_add_u32_e32 v16, v26, v28
	v_ashrrev_i32_e32 v17, 31, v16
	v_lshlrev_b64 v[0:1], 4, v[16:17]
	v_add_u32_e32 v18, v27, v29
	v_mov_b32_e32 v90, s21
	v_add_co_u32_e32 v8, vcc, s20, v0
	v_ashrrev_i32_e32 v19, 31, v18
	v_addc_co_u32_e32 v9, vcc, v90, v1, vcc
	v_lshlrev_b64 v[0:1], 4, v[18:19]
	v_add_co_u32_e32 v10, vcc, s20, v0
	v_addc_co_u32_e32 v11, vcc, v90, v1, vcc
	global_load_dwordx4 v[0:3], v[8:9], off
	global_load_dwordx4 v[4:7], v[10:11], off
	v_add_u32_e32 v8, 8, v16
	v_ashrrev_i32_e32 v9, 31, v8
	v_lshlrev_b64 v[8:9], 4, v[8:9]
	v_add_co_u32_e32 v46, vcc, s20, v8
	v_add_u32_e32 v8, 8, v18
	v_addc_co_u32_e32 v47, vcc, v90, v9, vcc
	v_ashrrev_i32_e32 v9, 31, v8
	v_lshlrev_b64 v[8:9], 4, v[8:9]
	v_add_co_u32_e32 v48, vcc, s20, v8
	v_addc_co_u32_e32 v49, vcc, v90, v9, vcc
	global_load_dwordx4 v[8:11], v[46:47], off
	global_load_dwordx4 v[12:15], v[48:49], off
	v_add_u32_e32 v46, 16, v16
	v_ashrrev_i32_e32 v47, 31, v46
	v_lshlrev_b64 v[46:47], 4, v[46:47]
	v_add_co_u32_e32 v54, vcc, s20, v46
	v_add_u32_e32 v46, 16, v18
	v_addc_co_u32_e32 v55, vcc, v90, v47, vcc
	v_ashrrev_i32_e32 v47, 31, v46
	;; [unrolled: 12-line block ×6, first 2 shown]
	v_lshlrev_b64 v[78:79], 4, v[78:79]
	v_add_u32_e32 v16, 56, v16
	v_add_co_u32_e32 v88, vcc, s20, v78
	v_ashrrev_i32_e32 v17, 31, v16
	v_addc_co_u32_e32 v89, vcc, v90, v79, vcc
	v_lshlrev_b64 v[16:17], 4, v[16:17]
	v_add_u32_e32 v18, 56, v18
	v_add_co_u32_e32 v16, vcc, s20, v16
	v_ashrrev_i32_e32 v19, 31, v18
	global_load_dwordx4 v[78:81], v[86:87], off
	global_load_dwordx4 v[82:85], v[88:89], off
	v_addc_co_u32_e32 v17, vcc, v90, v17, vcc
	v_lshlrev_b64 v[18:19], 4, v[18:19]
	v_add_co_u32_e32 v18, vcc, s20, v18
	v_addc_co_u32_e32 v19, vcc, v90, v19, vcc
	global_load_dwordx4 v[86:89], v[16:17], off
	global_load_dwordx4 v[90:93], v[18:19], off
	s_waitcnt vmcnt(14)
	v_fma_f64 v[16:17], v[0:1], v[4:5], v[22:23]
	v_fmac_f64_e32 v[16:17], v[2:3], v[6:7]
	v_fma_f64 v[2:3], v[2:3], v[4:5], v[24:25]
	v_fma_f64 v[0:1], v[0:1], -v[6:7], v[2:3]
	s_waitcnt vmcnt(12)
	v_fmac_f64_e32 v[16:17], v[8:9], v[12:13]
	v_fmac_f64_e32 v[0:1], v[10:11], v[12:13]
	v_fmac_f64_e32 v[16:17], v[10:11], v[14:15]
	v_fma_f64 v[0:1], v[8:9], -v[14:15], v[0:1]
	s_waitcnt vmcnt(10)
	v_fmac_f64_e32 v[16:17], v[46:47], v[50:51]
	v_fmac_f64_e32 v[0:1], v[48:49], v[50:51]
	v_fmac_f64_e32 v[16:17], v[48:49], v[52:53]
	;; [unrolled: 5-line block ×7, first 2 shown]
	v_fma_f64 v[18:19], v[86:87], -v[92:93], v[0:1]
	s_cbranch_execz .LBB66_41
	s_branch .LBB66_42
.LBB66_40:                              ;   in Loop: Header=BB66_22 Depth=1
                                        ; implicit-def: $vgpr18_vgpr19
.LBB66_41:                              ;   in Loop: Header=BB66_22 Depth=1
	s_waitcnt lgkmcnt(0)
	v_add_u32_e32 v0, v26, v36
	v_ashrrev_i32_e32 v1, 31, v0
	v_lshlrev_b64 v[0:1], 4, v[0:1]
	v_mov_b32_e32 v6, s21
	v_add_co_u32_e32 v90, vcc, s20, v0
	v_addc_co_u32_e32 v91, vcc, v6, v1, vcc
	global_load_dwordx4 v[0:3], v[90:91], off
	v_add_u32_e32 v4, v27, v33
	v_ashrrev_i32_e32 v5, 31, v4
	v_lshlrev_b64 v[4:5], 4, v[4:5]
	v_add_co_u32_e32 v26, vcc, s20, v4
	v_addc_co_u32_e32 v27, vcc, v6, v5, vcc
	global_load_dwordx4 v[4:7], v[26:27], off
	global_load_dwordx4 v[8:11], v[90:91], off offset:16
	global_load_dwordx4 v[12:15], v[26:27], off offset:16
	;; [unrolled: 1-line block ×14, first 2 shown]
	s_waitcnt vmcnt(14)
	v_fmac_f64_e32 v[22:23], v[0:1], v[4:5]
	v_fmac_f64_e32 v[24:25], v[2:3], v[4:5]
	v_fmac_f64_e32 v[22:23], v[2:3], v[6:7]
	v_fma_f64 v[0:1], v[0:1], -v[6:7], v[24:25]
	s_waitcnt vmcnt(12)
	v_fmac_f64_e32 v[22:23], v[8:9], v[12:13]
	v_fmac_f64_e32 v[0:1], v[10:11], v[12:13]
	v_fmac_f64_e32 v[22:23], v[10:11], v[14:15]
	v_fma_f64 v[0:1], v[8:9], -v[14:15], v[0:1]
	;; [unrolled: 5-line block ×8, first 2 shown]
	v_pk_mov_b32 v[16:17], v[22:23], v[22:23] op_sel:[0,1]
.LBB66_42:                              ;   in Loop: Header=BB66_22 Depth=1
	s_add_i32 s24, s24, -1
	s_add_i32 s25, s25, 4
	s_cmp_eq_u32 s24, 0
	s_cbranch_scc1 .LBB66_44
; %bb.43:                               ;   in Loop: Header=BB66_22 Depth=1
	v_pk_mov_b32 v[24:25], v[18:19], v[18:19] op_sel:[0,1]
	v_pk_mov_b32 v[22:23], v[16:17], v[16:17] op_sel:[0,1]
	v_mov_b32_e32 v0, s25
	s_waitcnt lgkmcnt(0)
	ds_read2_b32 v[26:27], v0 offset1:32
	s_and_b64 vcc, exec, s[4:5]
	s_cbranch_vccz .LBB66_40
	s_branch .LBB66_39
.LBB66_44:                              ;   in Loop: Header=BB66_22 Depth=1
	ds_write_b128 v41, v[16:19]
	s_waitcnt lgkmcnt(0)
	ds_read_b128 v[4:7], v44
	ds_read_b128 v[0:3], v37
	s_waitcnt lgkmcnt(1)
	v_cmp_neq_f64_e32 vcc, 0, v[4:5]
	v_cmp_neq_f64_e64 s[2:3], 0, v[6:7]
	s_or_b64 vcc, vcc, s[2:3]
	s_or_b64 s[2:3], vcc, s[0:1]
	v_cndmask_b32_e32 v5, v45, v5, vcc
	s_xor_b64 s[24:25], s[2:3], -1
	v_cndmask_b32_e32 v4, 0, v4, vcc
	v_cndmask_b32_e32 v7, 0, v7, vcc
	;; [unrolled: 1-line block ×3, first 2 shown]
	s_and_saveexec_b64 s[2:3], s[24:25]
	s_cbranch_execz .LBB66_48
; %bb.45:                               ;   in Loop: Header=BB66_22 Depth=1
	v_mbcnt_lo_u32_b32 v4, exec_lo, 0
	v_mbcnt_hi_u32_b32 v4, exec_hi, v4
	v_cmp_eq_u32_e32 vcc, 0, v4
	s_and_saveexec_b64 s[24:25], vcc
	s_cbranch_execz .LBB66_47
; %bb.46:                               ;   in Loop: Header=BB66_22 Depth=1
	v_mov_b32_e32 v4, s23
	global_atomic_smin v44, v4, s[14:15]
.LBB66_47:                              ;   in Loop: Header=BB66_22 Depth=1
	s_or_b64 exec, exec, s[24:25]
	v_mov_b32_e32 v4, 0
	v_mov_b32_e32 v5, 0x3ff00000
	v_pk_mov_b32 v[6:7], 0, 0
.LBB66_48:                              ;   in Loop: Header=BB66_22 Depth=1
	s_or_b64 exec, exec, s[2:3]
	v_mul_f64 v[12:13], v[6:7], v[6:7]
	v_fmac_f64_e32 v[12:13], v[4:5], v[4:5]
	ds_read_b128 v[8:11], v40
	v_div_scale_f64 v[14:15], s[2:3], v[12:13], v[12:13], 1.0
	v_rcp_f64_e32 v[16:17], v[14:15]
	s_waitcnt lgkmcnt(0)
	v_add_f64 v[8:9], v[0:1], -v[8:9]
	v_add_f64 v[2:3], v[2:3], -v[10:11]
	v_fma_f64 v[0:1], -v[14:15], v[16:17], 1.0
	v_fmac_f64_e32 v[16:17], v[16:17], v[0:1]
	v_fma_f64 v[0:1], -v[14:15], v[16:17], 1.0
	v_fmac_f64_e32 v[16:17], v[16:17], v[0:1]
	v_div_scale_f64 v[0:1], vcc, 1.0, v[12:13], 1.0
	v_mul_f64 v[10:11], v[0:1], v[16:17]
	v_fma_f64 v[0:1], -v[14:15], v[10:11], v[0:1]
	s_nop 1
	v_div_fmas_f64 v[0:1], v[0:1], v[16:17], v[10:11]
	v_div_fixup_f64 v[10:11], v[0:1], v[12:13], 1.0
	v_mul_f64 v[0:1], v[6:7], v[2:3]
	v_mul_f64 v[6:7], v[6:7], -v[8:9]
	v_fmac_f64_e32 v[0:1], v[8:9], v[4:5]
	v_fmac_f64_e32 v[6:7], v[2:3], v[4:5]
	v_mul_f64 v[0:1], v[10:11], v[0:1]
	v_mul_f64 v[2:3], v[10:11], v[6:7]
	ds_write_b128 v37, v[0:3]
	s_waitcnt lgkmcnt(0)
	ds_read_b128 v[4:7], v42
	ds_read_b128 v[8:11], v31
	s_waitcnt lgkmcnt(0)
	v_fmac_f64_e32 v[8:9], v[0:1], v[4:5]
	v_fmac_f64_e32 v[10:11], v[2:3], v[4:5]
	;; [unrolled: 1-line block ×3, first 2 shown]
	v_fma_f64 v[10:11], v[0:1], -v[6:7], v[10:11]
	ds_write_b128 v31, v[8:11]
	s_waitcnt lgkmcnt(0)
	ds_read_b128 v[4:7], v44 offset:160
	ds_read_b128 v[0:3], v37 offset:16
	s_waitcnt lgkmcnt(1)
	v_cmp_neq_f64_e32 vcc, 0, v[4:5]
	v_cmp_neq_f64_e64 s[2:3], 0, v[6:7]
	s_or_b64 vcc, vcc, s[2:3]
	s_or_b64 s[2:3], vcc, s[0:1]
	v_cndmask_b32_e32 v5, v45, v5, vcc
	s_xor_b64 s[24:25], s[2:3], -1
	v_cndmask_b32_e32 v4, 0, v4, vcc
	v_cndmask_b32_e32 v7, 0, v7, vcc
	;; [unrolled: 1-line block ×3, first 2 shown]
	s_and_saveexec_b64 s[2:3], s[24:25]
	s_cbranch_execz .LBB66_52
; %bb.49:                               ;   in Loop: Header=BB66_22 Depth=1
	v_mbcnt_lo_u32_b32 v4, exec_lo, 0
	v_mbcnt_hi_u32_b32 v4, exec_hi, v4
	v_cmp_eq_u32_e32 vcc, 0, v4
	s_and_saveexec_b64 s[24:25], vcc
	s_cbranch_execz .LBB66_51
; %bb.50:                               ;   in Loop: Header=BB66_22 Depth=1
	v_mov_b32_e32 v4, s23
	global_atomic_smin v44, v4, s[14:15]
.LBB66_51:                              ;   in Loop: Header=BB66_22 Depth=1
	s_or_b64 exec, exec, s[24:25]
	v_mov_b32_e32 v4, 0
	v_mov_b32_e32 v5, 0x3ff00000
	v_pk_mov_b32 v[6:7], 0, 0
.LBB66_52:                              ;   in Loop: Header=BB66_22 Depth=1
	s_or_b64 exec, exec, s[2:3]
	ds_read_b128 v[8:11], v44 offset:144
	ds_read_b128 v[12:15], v37
	ds_read_b128 v[16:19], v40 offset:16
	v_mul_f64 v[22:23], v[6:7], v[6:7]
	v_fmac_f64_e32 v[22:23], v[4:5], v[4:5]
	s_waitcnt lgkmcnt(0)
	v_fmac_f64_e32 v[18:19], v[10:11], v[12:13]
	v_fmac_f64_e32 v[16:17], v[8:9], v[12:13]
	v_div_scale_f64 v[12:13], s[2:3], v[22:23], v[22:23], 1.0
	v_fma_f64 v[8:9], v[8:9], -v[14:15], v[18:19]
	v_rcp_f64_e32 v[18:19], v[12:13]
	v_fmac_f64_e32 v[16:17], v[10:11], v[14:15]
	v_add_f64 v[10:11], v[0:1], -v[16:17]
	v_add_f64 v[2:3], v[2:3], -v[8:9]
	v_fma_f64 v[0:1], -v[12:13], v[18:19], 1.0
	v_fmac_f64_e32 v[18:19], v[18:19], v[0:1]
	v_fma_f64 v[0:1], -v[12:13], v[18:19], 1.0
	v_fmac_f64_e32 v[18:19], v[18:19], v[0:1]
	v_div_scale_f64 v[0:1], vcc, 1.0, v[22:23], 1.0
	v_mul_f64 v[8:9], v[0:1], v[18:19]
	v_fma_f64 v[0:1], -v[12:13], v[8:9], v[0:1]
	s_nop 1
	v_div_fmas_f64 v[0:1], v[0:1], v[18:19], v[8:9]
	v_div_fixup_f64 v[8:9], v[0:1], v[22:23], 1.0
	v_mul_f64 v[0:1], v[6:7], v[2:3]
	v_mul_f64 v[6:7], v[6:7], -v[10:11]
	v_fmac_f64_e32 v[0:1], v[10:11], v[4:5]
	v_fmac_f64_e32 v[6:7], v[2:3], v[4:5]
	v_mul_f64 v[0:1], v[8:9], v[0:1]
	v_mul_f64 v[2:3], v[8:9], v[6:7]
	ds_write_b128 v37, v[0:3] offset:16
	s_waitcnt lgkmcnt(0)
	ds_read_b128 v[4:7], v42 offset:16
	ds_read_b128 v[8:11], v31
	s_waitcnt lgkmcnt(0)
	v_fmac_f64_e32 v[8:9], v[0:1], v[4:5]
	v_fmac_f64_e32 v[10:11], v[2:3], v[4:5]
	;; [unrolled: 1-line block ×3, first 2 shown]
	v_fma_f64 v[10:11], v[0:1], -v[6:7], v[10:11]
	ds_write_b128 v31, v[8:11]
	s_waitcnt lgkmcnt(0)
	ds_read_b128 v[4:7], v44 offset:320
	ds_read_b128 v[0:3], v37 offset:32
	s_waitcnt lgkmcnt(1)
	v_cmp_neq_f64_e32 vcc, 0, v[4:5]
	v_cmp_neq_f64_e64 s[2:3], 0, v[6:7]
	s_or_b64 vcc, vcc, s[2:3]
	s_or_b64 s[2:3], vcc, s[0:1]
	v_cndmask_b32_e32 v5, v45, v5, vcc
	s_xor_b64 s[24:25], s[2:3], -1
	v_cndmask_b32_e32 v4, 0, v4, vcc
	v_cndmask_b32_e32 v7, 0, v7, vcc
	;; [unrolled: 1-line block ×3, first 2 shown]
	s_and_saveexec_b64 s[2:3], s[24:25]
	s_cbranch_execz .LBB66_56
; %bb.53:                               ;   in Loop: Header=BB66_22 Depth=1
	v_mbcnt_lo_u32_b32 v4, exec_lo, 0
	v_mbcnt_hi_u32_b32 v4, exec_hi, v4
	v_cmp_eq_u32_e32 vcc, 0, v4
	s_and_saveexec_b64 s[24:25], vcc
	s_cbranch_execz .LBB66_55
; %bb.54:                               ;   in Loop: Header=BB66_22 Depth=1
	v_mov_b32_e32 v4, s23
	global_atomic_smin v44, v4, s[14:15]
.LBB66_55:                              ;   in Loop: Header=BB66_22 Depth=1
	s_or_b64 exec, exec, s[24:25]
	v_mov_b32_e32 v4, 0
	v_mov_b32_e32 v5, 0x3ff00000
	v_pk_mov_b32 v[6:7], 0, 0
.LBB66_56:                              ;   in Loop: Header=BB66_22 Depth=1
	s_or_b64 exec, exec, s[2:3]
	ds_read_b128 v[8:11], v44 offset:288
	ds_read_b128 v[12:15], v40 offset:32
	ds_read_b128 v[16:19], v37
	ds_read_b128 v[22:25], v44 offset:304
	ds_read_b128 v[46:49], v37 offset:16
	s_waitcnt lgkmcnt(2)
	v_fmac_f64_e32 v[14:15], v[10:11], v[16:17]
	v_fma_f64 v[14:15], v[8:9], -v[18:19], v[14:15]
	v_fmac_f64_e32 v[12:13], v[8:9], v[16:17]
	v_mul_f64 v[8:9], v[6:7], v[6:7]
	v_fmac_f64_e32 v[8:9], v[4:5], v[4:5]
	v_fmac_f64_e32 v[12:13], v[10:11], v[18:19]
	v_div_scale_f64 v[10:11], s[2:3], v[8:9], v[8:9], 1.0
	v_rcp_f64_e32 v[16:17], v[10:11]
	s_waitcnt lgkmcnt(0)
	v_fmac_f64_e32 v[12:13], v[22:23], v[46:47]
	v_fmac_f64_e32 v[12:13], v[24:25], v[48:49]
	v_add_f64 v[12:13], v[0:1], -v[12:13]
	v_fma_f64 v[0:1], -v[10:11], v[16:17], 1.0
	v_fmac_f64_e32 v[16:17], v[16:17], v[0:1]
	v_fmac_f64_e32 v[14:15], v[24:25], v[46:47]
	v_fma_f64 v[0:1], -v[10:11], v[16:17], 1.0
	v_fma_f64 v[14:15], v[22:23], -v[48:49], v[14:15]
	v_fmac_f64_e32 v[16:17], v[16:17], v[0:1]
	v_div_scale_f64 v[0:1], vcc, 1.0, v[8:9], 1.0
	v_add_f64 v[2:3], v[2:3], -v[14:15]
	v_mul_f64 v[14:15], v[0:1], v[16:17]
	v_fma_f64 v[0:1], -v[10:11], v[14:15], v[0:1]
	s_nop 0
	v_div_fmas_f64 v[0:1], v[0:1], v[16:17], v[14:15]
	v_div_fixup_f64 v[8:9], v[0:1], v[8:9], 1.0
	v_mul_f64 v[0:1], v[6:7], v[2:3]
	v_mul_f64 v[6:7], v[6:7], -v[12:13]
	v_fmac_f64_e32 v[0:1], v[12:13], v[4:5]
	v_fmac_f64_e32 v[6:7], v[2:3], v[4:5]
	v_mul_f64 v[0:1], v[8:9], v[0:1]
	v_mul_f64 v[2:3], v[8:9], v[6:7]
	ds_write_b128 v37, v[0:3] offset:32
	s_waitcnt lgkmcnt(0)
	ds_read_b128 v[4:7], v42 offset:32
	ds_read_b128 v[8:11], v31
	s_waitcnt lgkmcnt(0)
	v_fmac_f64_e32 v[8:9], v[0:1], v[4:5]
	v_fmac_f64_e32 v[10:11], v[2:3], v[4:5]
	;; [unrolled: 1-line block ×3, first 2 shown]
	v_fma_f64 v[10:11], v[0:1], -v[6:7], v[10:11]
	ds_write_b128 v31, v[8:11]
	s_waitcnt lgkmcnt(0)
	ds_read_b128 v[4:7], v44 offset:480
	ds_read_b128 v[0:3], v37 offset:48
	s_waitcnt lgkmcnt(1)
	v_cmp_neq_f64_e32 vcc, 0, v[4:5]
	v_cmp_neq_f64_e64 s[2:3], 0, v[6:7]
	s_or_b64 vcc, vcc, s[2:3]
	s_or_b64 s[2:3], vcc, s[0:1]
	v_cndmask_b32_e32 v5, v45, v5, vcc
	s_xor_b64 s[24:25], s[2:3], -1
	v_cndmask_b32_e32 v4, 0, v4, vcc
	v_cndmask_b32_e32 v7, 0, v7, vcc
	;; [unrolled: 1-line block ×3, first 2 shown]
	s_and_saveexec_b64 s[2:3], s[24:25]
	s_cbranch_execz .LBB66_60
; %bb.57:                               ;   in Loop: Header=BB66_22 Depth=1
	v_mbcnt_lo_u32_b32 v4, exec_lo, 0
	v_mbcnt_hi_u32_b32 v4, exec_hi, v4
	v_cmp_eq_u32_e32 vcc, 0, v4
	s_and_saveexec_b64 s[24:25], vcc
	s_cbranch_execz .LBB66_59
; %bb.58:                               ;   in Loop: Header=BB66_22 Depth=1
	v_mov_b32_e32 v4, s23
	global_atomic_smin v44, v4, s[14:15]
.LBB66_59:                              ;   in Loop: Header=BB66_22 Depth=1
	s_or_b64 exec, exec, s[24:25]
	v_mov_b32_e32 v4, 0
	v_mov_b32_e32 v5, 0x3ff00000
	v_pk_mov_b32 v[6:7], 0, 0
.LBB66_60:                              ;   in Loop: Header=BB66_22 Depth=1
	s_or_b64 exec, exec, s[2:3]
	ds_read_b128 v[8:11], v37
	ds_read_b128 v[12:15], v40 offset:48
	ds_read_b128 v[16:19], v44 offset:432
	;; [unrolled: 1-line block ×6, first 2 shown]
	s_waitcnt lgkmcnt(4)
	v_fmac_f64_e32 v[14:15], v[18:19], v[8:9]
	v_fmac_f64_e32 v[12:13], v[16:17], v[8:9]
	v_mul_f64 v[8:9], v[6:7], v[6:7]
	v_fmac_f64_e32 v[8:9], v[4:5], v[4:5]
	v_fma_f64 v[14:15], v[16:17], -v[10:11], v[14:15]
	v_fmac_f64_e32 v[12:13], v[18:19], v[10:11]
	v_div_scale_f64 v[10:11], s[2:3], v[8:9], v[8:9], 1.0
	s_waitcnt lgkmcnt(2)
	v_fmac_f64_e32 v[12:13], v[22:23], v[46:47]
	v_rcp_f64_e32 v[16:17], v[10:11]
	v_fmac_f64_e32 v[12:13], v[24:25], v[48:49]
	s_waitcnt lgkmcnt(0)
	v_fmac_f64_e32 v[12:13], v[54:55], v[50:51]
	v_fmac_f64_e32 v[12:13], v[56:57], v[52:53]
	v_fmac_f64_e32 v[14:15], v[24:25], v[46:47]
	v_add_f64 v[12:13], v[0:1], -v[12:13]
	v_fma_f64 v[0:1], -v[10:11], v[16:17], 1.0
	v_fma_f64 v[14:15], v[22:23], -v[48:49], v[14:15]
	v_fmac_f64_e32 v[16:17], v[16:17], v[0:1]
	v_fmac_f64_e32 v[14:15], v[56:57], v[50:51]
	v_fma_f64 v[0:1], -v[10:11], v[16:17], 1.0
	v_fma_f64 v[14:15], v[54:55], -v[52:53], v[14:15]
	v_fmac_f64_e32 v[16:17], v[16:17], v[0:1]
	v_div_scale_f64 v[0:1], vcc, 1.0, v[8:9], 1.0
	v_add_f64 v[2:3], v[2:3], -v[14:15]
	v_mul_f64 v[14:15], v[0:1], v[16:17]
	v_fma_f64 v[0:1], -v[10:11], v[14:15], v[0:1]
	s_nop 0
	v_div_fmas_f64 v[0:1], v[0:1], v[16:17], v[14:15]
	v_div_fixup_f64 v[8:9], v[0:1], v[8:9], 1.0
	v_mul_f64 v[0:1], v[6:7], v[2:3]
	v_mul_f64 v[6:7], v[6:7], -v[12:13]
	v_fmac_f64_e32 v[0:1], v[12:13], v[4:5]
	v_fmac_f64_e32 v[6:7], v[2:3], v[4:5]
	v_mul_f64 v[0:1], v[8:9], v[0:1]
	v_mul_f64 v[2:3], v[8:9], v[6:7]
	ds_write_b128 v37, v[0:3] offset:48
	s_waitcnt lgkmcnt(0)
	ds_read_b128 v[4:7], v42 offset:48
	ds_read_b128 v[8:11], v31
	s_waitcnt lgkmcnt(0)
	v_fmac_f64_e32 v[8:9], v[0:1], v[4:5]
	v_fmac_f64_e32 v[10:11], v[2:3], v[4:5]
	;; [unrolled: 1-line block ×3, first 2 shown]
	v_fma_f64 v[10:11], v[0:1], -v[6:7], v[10:11]
	ds_write_b128 v31, v[8:11]
	s_waitcnt lgkmcnt(0)
	ds_read_b128 v[4:7], v44 offset:640
	ds_read_b128 v[0:3], v37 offset:64
	s_waitcnt lgkmcnt(1)
	v_cmp_neq_f64_e32 vcc, 0, v[4:5]
	v_cmp_neq_f64_e64 s[2:3], 0, v[6:7]
	s_or_b64 vcc, vcc, s[2:3]
	s_or_b64 s[2:3], vcc, s[0:1]
	v_cndmask_b32_e32 v5, v45, v5, vcc
	s_xor_b64 s[24:25], s[2:3], -1
	v_cndmask_b32_e32 v4, 0, v4, vcc
	v_cndmask_b32_e32 v7, 0, v7, vcc
	;; [unrolled: 1-line block ×3, first 2 shown]
	s_and_saveexec_b64 s[2:3], s[24:25]
	s_cbranch_execz .LBB66_64
; %bb.61:                               ;   in Loop: Header=BB66_22 Depth=1
	v_mbcnt_lo_u32_b32 v4, exec_lo, 0
	v_mbcnt_hi_u32_b32 v4, exec_hi, v4
	v_cmp_eq_u32_e32 vcc, 0, v4
	s_and_saveexec_b64 s[24:25], vcc
	s_cbranch_execz .LBB66_63
; %bb.62:                               ;   in Loop: Header=BB66_22 Depth=1
	v_mov_b32_e32 v4, s23
	global_atomic_smin v44, v4, s[14:15]
.LBB66_63:                              ;   in Loop: Header=BB66_22 Depth=1
	s_or_b64 exec, exec, s[24:25]
	v_mov_b32_e32 v4, 0
	v_mov_b32_e32 v5, 0x3ff00000
	v_pk_mov_b32 v[6:7], 0, 0
.LBB66_64:                              ;   in Loop: Header=BB66_22 Depth=1
	s_or_b64 exec, exec, s[2:3]
	ds_read_b128 v[8:11], v44 offset:592
	ds_read_b128 v[12:15], v44 offset:608
	ds_read_b128 v[16:19], v44 offset:576
	ds_read_b128 v[22:25], v40 offset:64
	ds_read_b128 v[46:49], v37
	ds_read_b128 v[50:53], v44 offset:624
	ds_read_b128 v[54:57], v37 offset:16
	;; [unrolled: 1-line block ×4, first 2 shown]
	s_waitcnt lgkmcnt(4)
	v_fmac_f64_e32 v[24:25], v[18:19], v[46:47]
	v_fma_f64 v[24:25], v[16:17], -v[48:49], v[24:25]
	v_fmac_f64_e32 v[22:23], v[16:17], v[46:47]
	s_waitcnt lgkmcnt(2)
	v_fmac_f64_e32 v[24:25], v[10:11], v[54:55]
	v_fmac_f64_e32 v[22:23], v[18:19], v[48:49]
	v_fma_f64 v[24:25], v[8:9], -v[56:57], v[24:25]
	v_fmac_f64_e32 v[22:23], v[8:9], v[54:55]
	v_mul_f64 v[8:9], v[6:7], v[6:7]
	v_fmac_f64_e32 v[8:9], v[4:5], v[4:5]
	s_waitcnt lgkmcnt(1)
	v_fmac_f64_e32 v[24:25], v[14:15], v[58:59]
	v_fmac_f64_e32 v[22:23], v[10:11], v[56:57]
	v_div_scale_f64 v[10:11], s[2:3], v[8:9], v[8:9], 1.0
	v_fma_f64 v[24:25], v[12:13], -v[60:61], v[24:25]
	v_fmac_f64_e32 v[22:23], v[12:13], v[58:59]
	v_rcp_f64_e32 v[12:13], v[10:11]
	v_fmac_f64_e32 v[22:23], v[14:15], v[60:61]
	s_waitcnt lgkmcnt(0)
	v_fmac_f64_e32 v[22:23], v[50:51], v[62:63]
	v_fmac_f64_e32 v[22:23], v[52:53], v[64:65]
	v_add_f64 v[14:15], v[0:1], -v[22:23]
	v_fma_f64 v[0:1], -v[10:11], v[12:13], 1.0
	v_fmac_f64_e32 v[12:13], v[12:13], v[0:1]
	v_fma_f64 v[0:1], -v[10:11], v[12:13], 1.0
	v_fmac_f64_e32 v[12:13], v[12:13], v[0:1]
	v_div_scale_f64 v[0:1], vcc, 1.0, v[8:9], 1.0
	v_fmac_f64_e32 v[24:25], v[52:53], v[62:63]
	v_mul_f64 v[16:17], v[0:1], v[12:13]
	v_fma_f64 v[24:25], v[50:51], -v[64:65], v[24:25]
	v_fma_f64 v[0:1], -v[10:11], v[16:17], v[0:1]
	v_add_f64 v[2:3], v[2:3], -v[24:25]
	v_div_fmas_f64 v[0:1], v[0:1], v[12:13], v[16:17]
	v_div_fixup_f64 v[8:9], v[0:1], v[8:9], 1.0
	v_mul_f64 v[0:1], v[6:7], v[2:3]
	v_mul_f64 v[6:7], v[6:7], -v[14:15]
	v_fmac_f64_e32 v[0:1], v[14:15], v[4:5]
	v_fmac_f64_e32 v[6:7], v[2:3], v[4:5]
	v_mul_f64 v[0:1], v[8:9], v[0:1]
	v_mul_f64 v[2:3], v[8:9], v[6:7]
	ds_write_b128 v37, v[0:3] offset:64
	s_waitcnt lgkmcnt(0)
	ds_read_b128 v[4:7], v42 offset:64
	ds_read_b128 v[8:11], v31
	s_waitcnt lgkmcnt(0)
	v_fmac_f64_e32 v[8:9], v[0:1], v[4:5]
	v_fmac_f64_e32 v[10:11], v[2:3], v[4:5]
	;; [unrolled: 1-line block ×3, first 2 shown]
	v_fma_f64 v[10:11], v[0:1], -v[6:7], v[10:11]
	ds_write_b128 v31, v[8:11]
	s_waitcnt lgkmcnt(0)
	ds_read_b128 v[4:7], v44 offset:800
	ds_read_b128 v[0:3], v37 offset:80
	s_waitcnt lgkmcnt(1)
	v_cmp_neq_f64_e32 vcc, 0, v[4:5]
	v_cmp_neq_f64_e64 s[2:3], 0, v[6:7]
	s_or_b64 vcc, vcc, s[2:3]
	s_or_b64 s[2:3], vcc, s[0:1]
	v_cndmask_b32_e32 v5, v45, v5, vcc
	s_xor_b64 s[24:25], s[2:3], -1
	v_cndmask_b32_e32 v4, 0, v4, vcc
	v_cndmask_b32_e32 v7, 0, v7, vcc
	;; [unrolled: 1-line block ×3, first 2 shown]
	s_and_saveexec_b64 s[2:3], s[24:25]
	s_cbranch_execz .LBB66_68
; %bb.65:                               ;   in Loop: Header=BB66_22 Depth=1
	v_mbcnt_lo_u32_b32 v4, exec_lo, 0
	v_mbcnt_hi_u32_b32 v4, exec_hi, v4
	v_cmp_eq_u32_e32 vcc, 0, v4
	s_and_saveexec_b64 s[24:25], vcc
	s_cbranch_execz .LBB66_67
; %bb.66:                               ;   in Loop: Header=BB66_22 Depth=1
	v_mov_b32_e32 v4, s23
	global_atomic_smin v44, v4, s[14:15]
.LBB66_67:                              ;   in Loop: Header=BB66_22 Depth=1
	s_or_b64 exec, exec, s[24:25]
	v_mov_b32_e32 v4, 0
	v_mov_b32_e32 v5, 0x3ff00000
	v_pk_mov_b32 v[6:7], 0, 0
.LBB66_68:                              ;   in Loop: Header=BB66_22 Depth=1
	s_or_b64 exec, exec, s[2:3]
	ds_read_b128 v[8:11], v44 offset:784
	ds_read_b128 v[12:15], v44 offset:720
	;; [unrolled: 1-line block ×3, first 2 shown]
	ds_read_b128 v[22:25], v37
	ds_read_b128 v[46:49], v37 offset:64
	ds_read_b128 v[50:53], v40 offset:80
	ds_read_b128 v[54:57], v44 offset:752
	ds_read_b128 v[58:61], v44 offset:768
	ds_read_b128 v[62:65], v37 offset:16
	ds_read_b128 v[66:69], v37 offset:32
	ds_read_b128 v[70:73], v37 offset:48
	s_waitcnt lgkmcnt(5)
	v_fmac_f64_e32 v[52:53], v[14:15], v[22:23]
	v_fma_f64 v[26:27], v[12:13], -v[24:25], v[52:53]
	v_fmac_f64_e32 v[50:51], v[12:13], v[22:23]
	s_waitcnt lgkmcnt(2)
	v_fmac_f64_e32 v[26:27], v[18:19], v[62:63]
	v_fmac_f64_e32 v[50:51], v[14:15], v[24:25]
	v_fma_f64 v[26:27], v[16:17], -v[64:65], v[26:27]
	v_fmac_f64_e32 v[50:51], v[16:17], v[62:63]
	s_waitcnt lgkmcnt(1)
	v_fmac_f64_e32 v[26:27], v[56:57], v[66:67]
	;; [unrolled: 5-line block ×3, first 2 shown]
	v_fmac_f64_e32 v[50:51], v[56:57], v[68:69]
	v_fma_f64 v[26:27], v[58:59], -v[72:73], v[26:27]
	v_fmac_f64_e32 v[50:51], v[58:59], v[70:71]
	v_fmac_f64_e32 v[26:27], v[10:11], v[46:47]
	;; [unrolled: 1-line block ×3, first 2 shown]
	v_fma_f64 v[26:27], v[8:9], -v[48:49], v[26:27]
	v_fmac_f64_e32 v[50:51], v[8:9], v[46:47]
	v_mul_f64 v[8:9], v[6:7], v[6:7]
	v_fmac_f64_e32 v[8:9], v[4:5], v[4:5]
	v_div_scale_f64 v[12:13], s[2:3], v[8:9], v[8:9], 1.0
	v_rcp_f64_e32 v[14:15], v[12:13]
	v_fmac_f64_e32 v[50:51], v[10:11], v[48:49]
	v_add_f64 v[10:11], v[0:1], -v[50:51]
	v_add_f64 v[2:3], v[2:3], -v[26:27]
	v_fma_f64 v[0:1], -v[12:13], v[14:15], 1.0
	v_fmac_f64_e32 v[14:15], v[14:15], v[0:1]
	v_fma_f64 v[0:1], -v[12:13], v[14:15], 1.0
	v_fmac_f64_e32 v[14:15], v[14:15], v[0:1]
	v_div_scale_f64 v[0:1], vcc, 1.0, v[8:9], 1.0
	v_mul_f64 v[16:17], v[0:1], v[14:15]
	v_fma_f64 v[0:1], -v[12:13], v[16:17], v[0:1]
	s_nop 1
	v_div_fmas_f64 v[0:1], v[0:1], v[14:15], v[16:17]
	v_div_fixup_f64 v[8:9], v[0:1], v[8:9], 1.0
	v_mul_f64 v[0:1], v[6:7], v[2:3]
	v_mul_f64 v[6:7], v[6:7], -v[10:11]
	v_fmac_f64_e32 v[0:1], v[10:11], v[4:5]
	v_fmac_f64_e32 v[6:7], v[2:3], v[4:5]
	v_mul_f64 v[0:1], v[8:9], v[0:1]
	v_mul_f64 v[2:3], v[8:9], v[6:7]
	ds_write_b128 v37, v[0:3] offset:80
	s_waitcnt lgkmcnt(0)
	ds_read_b128 v[4:7], v42 offset:80
	ds_read_b128 v[8:11], v31
	s_waitcnt lgkmcnt(0)
	v_fmac_f64_e32 v[8:9], v[0:1], v[4:5]
	v_fmac_f64_e32 v[10:11], v[2:3], v[4:5]
	;; [unrolled: 1-line block ×3, first 2 shown]
	v_fma_f64 v[10:11], v[0:1], -v[6:7], v[10:11]
	ds_write_b128 v31, v[8:11]
	s_waitcnt lgkmcnt(0)
	ds_read_b128 v[4:7], v44 offset:960
	ds_read_b128 v[0:3], v37 offset:96
	s_waitcnt lgkmcnt(1)
	v_cmp_neq_f64_e32 vcc, 0, v[4:5]
	v_cmp_neq_f64_e64 s[2:3], 0, v[6:7]
	s_or_b64 vcc, vcc, s[2:3]
	s_or_b64 s[2:3], vcc, s[0:1]
	v_cndmask_b32_e32 v5, v45, v5, vcc
	s_xor_b64 s[24:25], s[2:3], -1
	v_cndmask_b32_e32 v4, 0, v4, vcc
	v_cndmask_b32_e32 v7, 0, v7, vcc
	;; [unrolled: 1-line block ×3, first 2 shown]
	s_and_saveexec_b64 s[2:3], s[24:25]
	s_cbranch_execz .LBB66_72
; %bb.69:                               ;   in Loop: Header=BB66_22 Depth=1
	v_mbcnt_lo_u32_b32 v4, exec_lo, 0
	v_mbcnt_hi_u32_b32 v4, exec_hi, v4
	v_cmp_eq_u32_e32 vcc, 0, v4
	s_and_saveexec_b64 s[24:25], vcc
	s_cbranch_execz .LBB66_71
; %bb.70:                               ;   in Loop: Header=BB66_22 Depth=1
	v_mov_b32_e32 v4, s23
	global_atomic_smin v44, v4, s[14:15]
.LBB66_71:                              ;   in Loop: Header=BB66_22 Depth=1
	s_or_b64 exec, exec, s[24:25]
	v_mov_b32_e32 v4, 0
	v_mov_b32_e32 v5, 0x3ff00000
	v_pk_mov_b32 v[6:7], 0, 0
.LBB66_72:                              ;   in Loop: Header=BB66_22 Depth=1
	s_or_b64 exec, exec, s[2:3]
	ds_read_b128 v[8:11], v44 offset:944
	ds_read_b128 v[12:15], v37 offset:80
	;; [unrolled: 1-line block ×5, first 2 shown]
	ds_read_b128 v[50:53], v37
	ds_read_b128 v[54:57], v44 offset:864
	ds_read_b128 v[58:61], v40 offset:96
	;; [unrolled: 1-line block ×7, first 2 shown]
	s_waitcnt lgkmcnt(5)
	v_fmac_f64_e32 v[60:61], v[56:57], v[50:51]
	v_fma_f64 v[26:27], v[54:55], -v[52:53], v[60:61]
	v_fmac_f64_e32 v[58:59], v[54:55], v[50:51]
	s_waitcnt lgkmcnt(2)
	v_fmac_f64_e32 v[26:27], v[24:25], v[70:71]
	v_fmac_f64_e32 v[58:59], v[56:57], v[52:53]
	v_fma_f64 v[26:27], v[22:23], -v[72:73], v[26:27]
	v_fmac_f64_e32 v[58:59], v[22:23], v[70:71]
	s_waitcnt lgkmcnt(1)
	v_fmac_f64_e32 v[26:27], v[48:49], v[74:75]
	;; [unrolled: 5-line block ×3, first 2 shown]
	v_fmac_f64_e32 v[58:59], v[48:49], v[76:77]
	v_fma_f64 v[26:27], v[66:67], -v[80:81], v[26:27]
	v_fmac_f64_e32 v[58:59], v[66:67], v[78:79]
	v_fmac_f64_e32 v[26:27], v[64:65], v[16:17]
	;; [unrolled: 1-line block ×3, first 2 shown]
	v_fma_f64 v[26:27], v[62:63], -v[18:19], v[26:27]
	v_fmac_f64_e32 v[58:59], v[62:63], v[16:17]
	v_fmac_f64_e32 v[26:27], v[10:11], v[12:13]
	;; [unrolled: 1-line block ×3, first 2 shown]
	v_fma_f64 v[26:27], v[8:9], -v[14:15], v[26:27]
	v_fmac_f64_e32 v[58:59], v[8:9], v[12:13]
	v_mul_f64 v[8:9], v[6:7], v[6:7]
	v_fmac_f64_e32 v[8:9], v[4:5], v[4:5]
	v_div_scale_f64 v[12:13], s[2:3], v[8:9], v[8:9], 1.0
	v_rcp_f64_e32 v[16:17], v[12:13]
	v_fmac_f64_e32 v[58:59], v[10:11], v[14:15]
	v_add_f64 v[10:11], v[0:1], -v[58:59]
	v_add_f64 v[2:3], v[2:3], -v[26:27]
	v_fma_f64 v[0:1], -v[12:13], v[16:17], 1.0
	v_fmac_f64_e32 v[16:17], v[16:17], v[0:1]
	v_fma_f64 v[0:1], -v[12:13], v[16:17], 1.0
	v_fmac_f64_e32 v[16:17], v[16:17], v[0:1]
	v_div_scale_f64 v[0:1], vcc, 1.0, v[8:9], 1.0
	v_mul_f64 v[14:15], v[0:1], v[16:17]
	v_fma_f64 v[0:1], -v[12:13], v[14:15], v[0:1]
	s_nop 1
	v_div_fmas_f64 v[0:1], v[0:1], v[16:17], v[14:15]
	v_div_fixup_f64 v[8:9], v[0:1], v[8:9], 1.0
	v_mul_f64 v[0:1], v[6:7], v[2:3]
	v_mul_f64 v[6:7], v[6:7], -v[10:11]
	v_fmac_f64_e32 v[0:1], v[10:11], v[4:5]
	v_fmac_f64_e32 v[6:7], v[2:3], v[4:5]
	v_mul_f64 v[0:1], v[8:9], v[0:1]
	v_mul_f64 v[2:3], v[8:9], v[6:7]
	ds_write_b128 v37, v[0:3] offset:96
	s_waitcnt lgkmcnt(0)
	ds_read_b128 v[4:7], v42 offset:96
	ds_read_b128 v[8:11], v31
	s_waitcnt lgkmcnt(0)
	v_fmac_f64_e32 v[8:9], v[0:1], v[4:5]
	v_fmac_f64_e32 v[10:11], v[2:3], v[4:5]
	;; [unrolled: 1-line block ×3, first 2 shown]
	v_fma_f64 v[10:11], v[0:1], -v[6:7], v[10:11]
	ds_write_b128 v31, v[8:11]
	s_waitcnt lgkmcnt(0)
	ds_read_b128 v[4:7], v44 offset:1120
	ds_read_b128 v[0:3], v37 offset:112
	s_waitcnt lgkmcnt(1)
	v_cmp_neq_f64_e32 vcc, 0, v[4:5]
	v_cmp_neq_f64_e64 s[2:3], 0, v[6:7]
	s_or_b64 vcc, vcc, s[2:3]
	s_or_b64 s[2:3], vcc, s[0:1]
	v_cndmask_b32_e32 v5, v45, v5, vcc
	s_xor_b64 s[24:25], s[2:3], -1
	v_cndmask_b32_e32 v4, 0, v4, vcc
	v_cndmask_b32_e32 v7, 0, v7, vcc
	;; [unrolled: 1-line block ×3, first 2 shown]
	s_and_saveexec_b64 s[2:3], s[24:25]
	s_cbranch_execz .LBB66_20
; %bb.73:                               ;   in Loop: Header=BB66_22 Depth=1
	v_mbcnt_lo_u32_b32 v4, exec_lo, 0
	v_mbcnt_hi_u32_b32 v4, exec_hi, v4
	v_cmp_eq_u32_e32 vcc, 0, v4
	s_and_saveexec_b64 s[24:25], vcc
	s_cbranch_execz .LBB66_19
; %bb.74:                               ;   in Loop: Header=BB66_22 Depth=1
	v_mov_b32_e32 v4, s23
	global_atomic_smin v44, v4, s[14:15]
	s_branch .LBB66_19
.LBB66_75:
	s_waitcnt lgkmcnt(0)
	s_cmp_eq_u32 s33, 0
	s_cselect_b64 vcc, -1, 0
	v_cndmask_b32_e32 v0, v35, v32, vcc
	v_lshl_add_u32 v0, s30, 6, v0
	v_ashrrev_i32_e32 v1, 31, v0
	v_lshlrev_b64 v[0:1], 4, v[0:1]
	v_mov_b32_e32 v2, s21
	v_add_co_u32_e32 v0, vcc, s20, v0
	v_addc_co_u32_e32 v1, vcc, v2, v1, vcc
	global_load_dwordx4 v[2:5], v[0:1], off
	v_mul_u32_u24_e32 v6, 0x90, v29
	s_movk_i32 s0, 0x900
	v_cmp_ne_u32_e64 s[2:3], 0, v29
	v_add3_u32 v8, v6, v34, s0
	v_cmp_eq_u32_e32 vcc, 0, v29
	s_waitcnt vmcnt(0)
	ds_write2_b64 v8, v[2:3], v[4:5] offset1:1
	s_waitcnt lgkmcnt(0)
	s_and_saveexec_b64 s[0:1], vcc
	s_cbranch_execz .LBB66_83
; %bb.76:
	v_mov_b32_e32 v6, 0
	ds_read_b128 v[2:5], v6 offset:3456
	ds_read_b128 v[10:13], v6 offset:2304
	s_waitcnt lgkmcnt(0)
	v_add_f64 v[2:3], v[10:11], -v[2:3]
	v_add_f64 v[6:7], v[12:13], -v[4:5]
	v_xor_b32_e32 v4, 0x80000000, v3
	v_cmp_gt_f64_e32 vcc, 0, v[2:3]
	v_cndmask_b32_e32 v3, v3, v4, vcc
	v_cndmask_b32_e32 v2, v2, v2, vcc
	v_xor_b32_e32 v4, 0x80000000, v7
	v_cmp_gt_f64_e32 vcc, 0, v[6:7]
	v_cndmask_b32_e32 v5, v7, v4, vcc
	v_cndmask_b32_e32 v4, v6, v6, vcc
	v_cmp_ngt_f64_e32 vcc, v[2:3], v[4:5]
	s_cbranch_vccz .LBB66_79
; %bb.77:
	v_cmp_eq_f64_e32 vcc, 0, v[6:7]
	s_mov_b64 s[4:5], 0
	v_pk_mov_b32 v[6:7], 0, 0
	s_cbranch_vccnz .LBB66_80
; %bb.78:
	v_div_scale_f64 v[6:7], s[8:9], v[4:5], v[4:5], v[2:3]
	v_rcp_f64_e32 v[10:11], v[6:7]
	v_div_scale_f64 v[12:13], vcc, v[2:3], v[4:5], v[2:3]
	s_mov_b32 s8, 0
	v_fma_f64 v[14:15], -v[6:7], v[10:11], 1.0
	v_fmac_f64_e32 v[10:11], v[10:11], v[14:15]
	v_fma_f64 v[14:15], -v[6:7], v[10:11], 1.0
	v_fmac_f64_e32 v[10:11], v[10:11], v[14:15]
	v_mul_f64 v[14:15], v[12:13], v[10:11]
	v_fma_f64 v[6:7], -v[6:7], v[14:15], v[12:13]
	v_div_fmas_f64 v[6:7], v[6:7], v[10:11], v[14:15]
	v_div_fixup_f64 v[6:7], v[6:7], v[4:5], v[2:3]
	v_fma_f64 v[6:7], v[6:7], v[6:7], 1.0
	s_brev_b32 s9, 8
	v_cmp_gt_f64_e32 vcc, s[8:9], v[6:7]
	v_cndmask_b32_e64 v9, 0, 1, vcc
	v_lshlrev_b32_e32 v9, 8, v9
	v_ldexp_f64 v[6:7], v[6:7], v9
	v_rsq_f64_e32 v[10:11], v[6:7]
	s_and_b64 s[8:9], vcc, exec
	s_cselect_b32 s8, 0xffffff80, 0
	v_mov_b32_e32 v9, 0x260
	v_mul_f64 v[12:13], v[6:7], v[10:11]
	v_mul_f64 v[10:11], v[10:11], 0.5
	v_fma_f64 v[14:15], -v[10:11], v[12:13], 0.5
	v_fmac_f64_e32 v[12:13], v[12:13], v[14:15]
	v_fma_f64 v[16:17], -v[12:13], v[12:13], v[6:7]
	v_fmac_f64_e32 v[10:11], v[10:11], v[14:15]
	v_fmac_f64_e32 v[12:13], v[16:17], v[10:11]
	v_fma_f64 v[14:15], -v[12:13], v[12:13], v[6:7]
	v_fmac_f64_e32 v[12:13], v[14:15], v[10:11]
	v_ldexp_f64 v[10:11], v[12:13], s8
	v_cmp_class_f64_e32 vcc, v[6:7], v9
	v_cndmask_b32_e32 v7, v11, v7, vcc
	v_cndmask_b32_e32 v6, v10, v6, vcc
	v_mul_f64 v[6:7], v[4:5], v[6:7]
	s_branch .LBB66_80
.LBB66_79:
	s_mov_b64 s[4:5], -1
                                        ; implicit-def: $vgpr6_vgpr7
.LBB66_80:
	s_andn2_b64 vcc, exec, s[4:5]
	s_cbranch_vccnz .LBB66_82
; %bb.81:
	v_div_scale_f64 v[6:7], s[4:5], v[2:3], v[2:3], v[4:5]
	v_rcp_f64_e32 v[10:11], v[6:7]
	v_div_scale_f64 v[12:13], vcc, v[4:5], v[2:3], v[4:5]
	s_mov_b32 s4, 0
	v_fma_f64 v[14:15], -v[6:7], v[10:11], 1.0
	v_fmac_f64_e32 v[10:11], v[10:11], v[14:15]
	v_fma_f64 v[14:15], -v[6:7], v[10:11], 1.0
	v_fmac_f64_e32 v[10:11], v[10:11], v[14:15]
	v_mul_f64 v[14:15], v[12:13], v[10:11]
	v_fma_f64 v[6:7], -v[6:7], v[14:15], v[12:13]
	v_div_fmas_f64 v[6:7], v[6:7], v[10:11], v[14:15]
	v_div_fixup_f64 v[4:5], v[6:7], v[2:3], v[4:5]
	v_fma_f64 v[4:5], v[4:5], v[4:5], 1.0
	s_brev_b32 s5, 8
	v_cmp_gt_f64_e32 vcc, s[4:5], v[4:5]
	v_cndmask_b32_e64 v6, 0, 1, vcc
	v_lshlrev_b32_e32 v6, 8, v6
	v_ldexp_f64 v[4:5], v[4:5], v6
	v_rsq_f64_e32 v[6:7], v[4:5]
	s_and_b64 s[4:5], vcc, exec
	s_cselect_b32 s4, 0xffffff80, 0
	v_mov_b32_e32 v9, 0x260
	v_mul_f64 v[10:11], v[4:5], v[6:7]
	v_mul_f64 v[6:7], v[6:7], 0.5
	v_fma_f64 v[12:13], -v[6:7], v[10:11], 0.5
	v_fmac_f64_e32 v[10:11], v[10:11], v[12:13]
	v_fma_f64 v[14:15], -v[10:11], v[10:11], v[4:5]
	v_fmac_f64_e32 v[6:7], v[6:7], v[12:13]
	v_fmac_f64_e32 v[10:11], v[14:15], v[6:7]
	v_fma_f64 v[12:13], -v[10:11], v[10:11], v[4:5]
	v_fmac_f64_e32 v[10:11], v[12:13], v[6:7]
	v_ldexp_f64 v[6:7], v[10:11], s4
	v_cmp_class_f64_e32 vcc, v[4:5], v9
	v_cndmask_b32_e32 v5, v7, v5, vcc
	v_cndmask_b32_e32 v4, v6, v4, vcc
	v_mul_f64 v[6:7], v[2:3], v[4:5]
.LBB66_82:
	s_mov_b32 s4, 0
	s_brev_b32 s5, 8
	v_cmp_gt_f64_e32 vcc, s[4:5], v[6:7]
	v_cndmask_b32_e64 v2, 0, 1, vcc
	v_lshlrev_b32_e32 v2, 8, v2
	v_ldexp_f64 v[2:3], v[6:7], v2
	v_rsq_f64_e32 v[4:5], v[2:3]
	s_and_b64 s[4:5], vcc, exec
	s_cselect_b32 s4, 0xffffff80, 0
	v_mul_f64 v[6:7], v[2:3], v[4:5]
	v_mul_f64 v[4:5], v[4:5], 0.5
	v_fma_f64 v[10:11], -v[4:5], v[6:7], 0.5
	v_fmac_f64_e32 v[6:7], v[6:7], v[10:11]
	v_fma_f64 v[12:13], -v[6:7], v[6:7], v[2:3]
	v_fmac_f64_e32 v[4:5], v[4:5], v[10:11]
	v_fmac_f64_e32 v[6:7], v[12:13], v[4:5]
	v_fma_f64 v[10:11], -v[6:7], v[6:7], v[2:3]
	v_fmac_f64_e32 v[6:7], v[10:11], v[4:5]
	v_ldexp_f64 v[4:5], v[6:7], s4
	v_mov_b32_e32 v6, 0x260
	v_cmp_class_f64_e32 vcc, v[2:3], v6
	v_cndmask_b32_e32 v2, v4, v2, vcc
	v_mov_b32_e32 v4, 0
	v_cndmask_b32_e32 v3, v5, v3, vcc
	v_mov_b32_e32 v5, v4
	ds_write_b128 v4, v[2:5] offset:2304
.LBB66_83:
	s_or_b64 exec, exec, s[0:1]
	v_mov_b32_e32 v2, 0
	s_waitcnt lgkmcnt(0)
	ds_read_b128 v[2:5], v2 offset:2304
	v_cmp_ne_u32_e64 s[0:1], 0, v30
	v_mov_b32_e32 v6, 0x3ff00000
	s_add_i32 s16, s12, s13
	s_waitcnt lgkmcnt(0)
	v_cmp_neq_f64_e32 vcc, 0, v[2:3]
	v_cmp_neq_f64_e64 s[4:5], 0, v[4:5]
	s_or_b64 vcc, vcc, s[4:5]
	s_or_b64 s[4:5], vcc, s[0:1]
	v_cndmask_b32_e32 v3, v6, v3, vcc
	s_xor_b64 s[8:9], s[4:5], -1
	v_cndmask_b32_e32 v2, 0, v2, vcc
	v_cndmask_b32_e32 v5, 0, v5, vcc
	;; [unrolled: 1-line block ×3, first 2 shown]
	s_and_saveexec_b64 s[4:5], s[8:9]
	s_cbranch_execz .LBB66_87
; %bb.84:
	v_mbcnt_lo_u32_b32 v2, exec_lo, 0
	v_mbcnt_hi_u32_b32 v2, exec_hi, v2
	v_cmp_eq_u32_e32 vcc, 0, v2
	s_and_saveexec_b64 s[8:9], vcc
	s_cbranch_execz .LBB66_86
; %bb.85:
	v_mov_b32_e32 v2, 0
	v_mov_b32_e32 v3, s16
	global_atomic_smin v2, v3, s[14:15]
.LBB66_86:
	s_or_b64 exec, exec, s[8:9]
	v_mov_b32_e32 v2, 0
	v_mov_b32_e32 v3, 0x3ff00000
	v_pk_mov_b32 v[4:5], 0, 0
.LBB66_87:
	s_or_b64 exec, exec, s[4:5]
	s_and_saveexec_b64 s[4:5], s[2:3]
	s_cbranch_execz .LBB66_89
; %bb.88:
	v_mul_f64 v[6:7], v[4:5], v[4:5]
	v_mul_u32_u24_e32 v9, 0x90, v29
	v_fmac_f64_e32 v[6:7], v[2:3], v[2:3]
	ds_read_b128 v[10:13], v9 offset:2304
	ds_read_b128 v[14:17], v9 offset:3456
	v_div_scale_f64 v[18:19], s[2:3], v[6:7], v[6:7], 1.0
	v_rcp_f64_e32 v[20:21], v[18:19]
	s_waitcnt lgkmcnt(0)
	v_add_f64 v[14:15], v[10:11], -v[14:15]
	v_add_f64 v[12:13], v[12:13], -v[16:17]
	v_fma_f64 v[10:11], -v[18:19], v[20:21], 1.0
	v_fmac_f64_e32 v[20:21], v[20:21], v[10:11]
	v_fma_f64 v[10:11], -v[18:19], v[20:21], 1.0
	v_fmac_f64_e32 v[20:21], v[20:21], v[10:11]
	v_div_scale_f64 v[10:11], vcc, 1.0, v[6:7], 1.0
	v_mul_f64 v[16:17], v[10:11], v[20:21]
	v_fma_f64 v[10:11], -v[18:19], v[16:17], v[10:11]
	s_nop 1
	v_div_fmas_f64 v[10:11], v[10:11], v[20:21], v[16:17]
	v_div_fixup_f64 v[6:7], v[10:11], v[6:7], 1.0
	v_mul_f64 v[10:11], v[4:5], v[12:13]
	v_mul_f64 v[4:5], v[4:5], -v[14:15]
	v_fmac_f64_e32 v[10:11], v[14:15], v[2:3]
	v_fmac_f64_e32 v[4:5], v[12:13], v[2:3]
	v_mul_f64 v[10:11], v[6:7], v[10:11]
	v_mul_f64 v[12:13], v[6:7], v[4:5]
	v_mul_u32_u24_e32 v2, 0x90, v28
	ds_write_b128 v9, v[10:13] offset:2304
	s_waitcnt lgkmcnt(0)
	ds_read_b128 v[2:5], v2 offset:2304
	ds_read_b128 v[14:17], v31
	s_waitcnt lgkmcnt(0)
	v_fmac_f64_e32 v[14:15], v[10:11], v[2:3]
	v_fmac_f64_e32 v[16:17], v[12:13], v[2:3]
	;; [unrolled: 1-line block ×3, first 2 shown]
	v_fma_f64 v[16:17], v[10:11], -v[4:5], v[16:17]
	ds_write_b128 v31, v[14:17]
.LBB66_89:
	s_or_b64 exec, exec, s[4:5]
	v_cmp_eq_u32_e32 vcc, 1, v29
	s_waitcnt lgkmcnt(0)
	s_and_saveexec_b64 s[2:3], vcc
	s_cbranch_execz .LBB66_97
; %bb.90:
	v_mov_b32_e32 v6, 0
	ds_read_b128 v[2:5], v6 offset:3616
	ds_read_b128 v[10:13], v6 offset:2464
	s_waitcnt lgkmcnt(0)
	v_add_f64 v[2:3], v[10:11], -v[2:3]
	v_add_f64 v[6:7], v[12:13], -v[4:5]
	v_xor_b32_e32 v4, 0x80000000, v3
	v_cmp_gt_f64_e32 vcc, 0, v[2:3]
	v_cndmask_b32_e32 v3, v3, v4, vcc
	v_cndmask_b32_e32 v2, v2, v2, vcc
	v_xor_b32_e32 v4, 0x80000000, v7
	v_cmp_gt_f64_e32 vcc, 0, v[6:7]
	v_cndmask_b32_e32 v5, v7, v4, vcc
	v_cndmask_b32_e32 v4, v6, v6, vcc
	v_cmp_gt_f64_e32 vcc, v[2:3], v[4:5]
	s_cbranch_vccnz .LBB66_93
; %bb.91:
	v_cmp_eq_f64_e32 vcc, 0, v[6:7]
	s_mov_b64 s[4:5], 0
	v_pk_mov_b32 v[6:7], 0, 0
	s_cbranch_vccnz .LBB66_94
; %bb.92:
	v_div_scale_f64 v[6:7], s[8:9], v[4:5], v[4:5], v[2:3]
	v_rcp_f64_e32 v[10:11], v[6:7]
	v_div_scale_f64 v[12:13], vcc, v[2:3], v[4:5], v[2:3]
	s_mov_b32 s8, 0
	v_fma_f64 v[14:15], -v[6:7], v[10:11], 1.0
	v_fmac_f64_e32 v[10:11], v[10:11], v[14:15]
	v_fma_f64 v[14:15], -v[6:7], v[10:11], 1.0
	v_fmac_f64_e32 v[10:11], v[10:11], v[14:15]
	v_mul_f64 v[14:15], v[12:13], v[10:11]
	v_fma_f64 v[6:7], -v[6:7], v[14:15], v[12:13]
	v_div_fmas_f64 v[6:7], v[6:7], v[10:11], v[14:15]
	v_div_fixup_f64 v[6:7], v[6:7], v[4:5], v[2:3]
	v_fma_f64 v[6:7], v[6:7], v[6:7], 1.0
	s_brev_b32 s9, 8
	v_cmp_gt_f64_e32 vcc, s[8:9], v[6:7]
	v_cndmask_b32_e64 v9, 0, 1, vcc
	v_lshlrev_b32_e32 v9, 8, v9
	v_ldexp_f64 v[6:7], v[6:7], v9
	v_rsq_f64_e32 v[10:11], v[6:7]
	s_and_b64 s[8:9], vcc, exec
	s_cselect_b32 s8, 0xffffff80, 0
	v_mov_b32_e32 v9, 0x260
	v_mul_f64 v[12:13], v[6:7], v[10:11]
	v_mul_f64 v[10:11], v[10:11], 0.5
	v_fma_f64 v[14:15], -v[10:11], v[12:13], 0.5
	v_fmac_f64_e32 v[12:13], v[12:13], v[14:15]
	v_fma_f64 v[16:17], -v[12:13], v[12:13], v[6:7]
	v_fmac_f64_e32 v[10:11], v[10:11], v[14:15]
	v_fmac_f64_e32 v[12:13], v[16:17], v[10:11]
	v_fma_f64 v[14:15], -v[12:13], v[12:13], v[6:7]
	v_fmac_f64_e32 v[12:13], v[14:15], v[10:11]
	v_ldexp_f64 v[10:11], v[12:13], s8
	v_cmp_class_f64_e32 vcc, v[6:7], v9
	v_cndmask_b32_e32 v7, v11, v7, vcc
	v_cndmask_b32_e32 v6, v10, v6, vcc
	v_mul_f64 v[6:7], v[4:5], v[6:7]
	s_branch .LBB66_94
.LBB66_93:
	s_mov_b64 s[4:5], -1
                                        ; implicit-def: $vgpr6_vgpr7
.LBB66_94:
	s_andn2_b64 vcc, exec, s[4:5]
	s_cbranch_vccnz .LBB66_96
; %bb.95:
	v_div_scale_f64 v[6:7], s[4:5], v[2:3], v[2:3], v[4:5]
	v_rcp_f64_e32 v[10:11], v[6:7]
	v_div_scale_f64 v[12:13], vcc, v[4:5], v[2:3], v[4:5]
	s_mov_b32 s4, 0
	v_fma_f64 v[14:15], -v[6:7], v[10:11], 1.0
	v_fmac_f64_e32 v[10:11], v[10:11], v[14:15]
	v_fma_f64 v[14:15], -v[6:7], v[10:11], 1.0
	v_fmac_f64_e32 v[10:11], v[10:11], v[14:15]
	v_mul_f64 v[14:15], v[12:13], v[10:11]
	v_fma_f64 v[6:7], -v[6:7], v[14:15], v[12:13]
	v_div_fmas_f64 v[6:7], v[6:7], v[10:11], v[14:15]
	v_div_fixup_f64 v[4:5], v[6:7], v[2:3], v[4:5]
	v_fma_f64 v[4:5], v[4:5], v[4:5], 1.0
	s_brev_b32 s5, 8
	v_cmp_gt_f64_e32 vcc, s[4:5], v[4:5]
	v_cndmask_b32_e64 v6, 0, 1, vcc
	v_lshlrev_b32_e32 v6, 8, v6
	v_ldexp_f64 v[4:5], v[4:5], v6
	v_rsq_f64_e32 v[6:7], v[4:5]
	s_and_b64 s[4:5], vcc, exec
	s_cselect_b32 s4, 0xffffff80, 0
	v_mov_b32_e32 v9, 0x260
	v_mul_f64 v[10:11], v[4:5], v[6:7]
	v_mul_f64 v[6:7], v[6:7], 0.5
	v_fma_f64 v[12:13], -v[6:7], v[10:11], 0.5
	v_fmac_f64_e32 v[10:11], v[10:11], v[12:13]
	v_fma_f64 v[14:15], -v[10:11], v[10:11], v[4:5]
	v_fmac_f64_e32 v[6:7], v[6:7], v[12:13]
	v_fmac_f64_e32 v[10:11], v[14:15], v[6:7]
	v_fma_f64 v[12:13], -v[10:11], v[10:11], v[4:5]
	v_fmac_f64_e32 v[10:11], v[12:13], v[6:7]
	v_ldexp_f64 v[6:7], v[10:11], s4
	v_cmp_class_f64_e32 vcc, v[4:5], v9
	v_cndmask_b32_e32 v5, v7, v5, vcc
	v_cndmask_b32_e32 v4, v6, v4, vcc
	v_mul_f64 v[6:7], v[2:3], v[4:5]
.LBB66_96:
	s_mov_b32 s4, 0
	s_brev_b32 s5, 8
	v_cmp_gt_f64_e32 vcc, s[4:5], v[6:7]
	v_cndmask_b32_e64 v2, 0, 1, vcc
	v_lshlrev_b32_e32 v2, 8, v2
	v_ldexp_f64 v[2:3], v[6:7], v2
	v_rsq_f64_e32 v[4:5], v[2:3]
	s_and_b64 s[4:5], vcc, exec
	s_cselect_b32 s4, 0xffffff80, 0
	v_mul_f64 v[6:7], v[2:3], v[4:5]
	v_mul_f64 v[4:5], v[4:5], 0.5
	v_fma_f64 v[10:11], -v[4:5], v[6:7], 0.5
	v_fmac_f64_e32 v[6:7], v[6:7], v[10:11]
	v_fma_f64 v[12:13], -v[6:7], v[6:7], v[2:3]
	v_fmac_f64_e32 v[4:5], v[4:5], v[10:11]
	v_fmac_f64_e32 v[6:7], v[12:13], v[4:5]
	v_fma_f64 v[10:11], -v[6:7], v[6:7], v[2:3]
	v_fmac_f64_e32 v[6:7], v[10:11], v[4:5]
	v_ldexp_f64 v[4:5], v[6:7], s4
	v_mov_b32_e32 v6, 0x260
	v_cmp_class_f64_e32 vcc, v[2:3], v6
	v_cndmask_b32_e32 v2, v4, v2, vcc
	v_mov_b32_e32 v4, 0
	v_cndmask_b32_e32 v3, v5, v3, vcc
	v_mov_b32_e32 v5, v4
	ds_write_b128 v4, v[2:5] offset:2464
.LBB66_97:
	s_or_b64 exec, exec, s[2:3]
	v_mov_b32_e32 v2, 0
	s_waitcnt lgkmcnt(0)
	ds_read_b128 v[2:5], v2 offset:2464
	v_mov_b32_e32 v6, 0x3ff00000
	s_waitcnt lgkmcnt(0)
	v_cmp_neq_f64_e32 vcc, 0, v[2:3]
	v_cmp_neq_f64_e64 s[2:3], 0, v[4:5]
	s_or_b64 vcc, vcc, s[2:3]
	s_or_b64 s[2:3], vcc, s[0:1]
	v_cndmask_b32_e32 v3, v6, v3, vcc
	s_xor_b64 s[4:5], s[2:3], -1
	v_cndmask_b32_e32 v2, 0, v2, vcc
	v_cndmask_b32_e32 v5, 0, v5, vcc
	;; [unrolled: 1-line block ×3, first 2 shown]
	s_and_saveexec_b64 s[2:3], s[4:5]
	s_cbranch_execz .LBB66_101
; %bb.98:
	v_mbcnt_lo_u32_b32 v2, exec_lo, 0
	v_mbcnt_hi_u32_b32 v2, exec_hi, v2
	v_cmp_eq_u32_e32 vcc, 0, v2
	s_and_saveexec_b64 s[4:5], vcc
	s_cbranch_execz .LBB66_100
; %bb.99:
	v_mov_b32_e32 v2, 0
	v_mov_b32_e32 v3, s16
	global_atomic_smin v2, v3, s[14:15]
.LBB66_100:
	s_or_b64 exec, exec, s[4:5]
	v_mov_b32_e32 v2, 0
	v_mov_b32_e32 v3, 0x3ff00000
	v_pk_mov_b32 v[4:5], 0, 0
.LBB66_101:
	s_or_b64 exec, exec, s[2:3]
	v_cmp_lt_u32_e32 vcc, 1, v29
	s_and_saveexec_b64 s[2:3], vcc
	s_cbranch_execz .LBB66_103
; %bb.102:
	v_mul_f64 v[6:7], v[4:5], v[4:5]
	v_mul_u32_u24_e32 v9, 0x90, v29
	v_fmac_f64_e32 v[6:7], v[2:3], v[2:3]
	ds_read_b128 v[10:13], v9 offset:2320
	ds_read_b128 v[14:17], v9 offset:3472
	v_div_scale_f64 v[18:19], s[4:5], v[6:7], v[6:7], 1.0
	v_rcp_f64_e32 v[20:21], v[18:19]
	s_waitcnt lgkmcnt(0)
	v_add_f64 v[14:15], v[10:11], -v[14:15]
	v_add_f64 v[12:13], v[12:13], -v[16:17]
	v_fma_f64 v[10:11], -v[18:19], v[20:21], 1.0
	v_fmac_f64_e32 v[20:21], v[20:21], v[10:11]
	v_fma_f64 v[10:11], -v[18:19], v[20:21], 1.0
	v_fmac_f64_e32 v[20:21], v[20:21], v[10:11]
	v_div_scale_f64 v[10:11], vcc, 1.0, v[6:7], 1.0
	v_mul_f64 v[16:17], v[10:11], v[20:21]
	v_fma_f64 v[10:11], -v[18:19], v[16:17], v[10:11]
	s_nop 1
	v_div_fmas_f64 v[10:11], v[10:11], v[20:21], v[16:17]
	v_div_fixup_f64 v[6:7], v[10:11], v[6:7], 1.0
	v_mul_f64 v[10:11], v[4:5], v[12:13]
	v_mul_f64 v[4:5], v[4:5], -v[14:15]
	v_fmac_f64_e32 v[10:11], v[14:15], v[2:3]
	v_fmac_f64_e32 v[4:5], v[12:13], v[2:3]
	v_mul_f64 v[10:11], v[6:7], v[10:11]
	v_mul_f64 v[12:13], v[6:7], v[4:5]
	v_mul_u32_u24_e32 v2, 0x90, v28
	ds_write_b128 v9, v[10:13] offset:2320
	s_waitcnt lgkmcnt(0)
	ds_read_b128 v[2:5], v2 offset:2320
	ds_read_b128 v[14:17], v31
	s_waitcnt lgkmcnt(0)
	v_fmac_f64_e32 v[14:15], v[10:11], v[2:3]
	v_fmac_f64_e32 v[16:17], v[12:13], v[2:3]
	;; [unrolled: 1-line block ×3, first 2 shown]
	v_fma_f64 v[16:17], v[10:11], -v[4:5], v[16:17]
	ds_write_b128 v31, v[14:17]
.LBB66_103:
	s_or_b64 exec, exec, s[2:3]
	v_cmp_eq_u32_e32 vcc, 2, v29
	s_waitcnt lgkmcnt(0)
	s_and_saveexec_b64 s[2:3], vcc
	s_cbranch_execz .LBB66_111
; %bb.104:
	v_mov_b32_e32 v6, 0
	ds_read_b128 v[2:5], v6 offset:3776
	ds_read_b128 v[10:13], v6 offset:2624
	s_waitcnt lgkmcnt(0)
	v_add_f64 v[2:3], v[10:11], -v[2:3]
	v_add_f64 v[6:7], v[12:13], -v[4:5]
	v_xor_b32_e32 v4, 0x80000000, v3
	v_cmp_gt_f64_e32 vcc, 0, v[2:3]
	v_cndmask_b32_e32 v3, v3, v4, vcc
	v_cndmask_b32_e32 v2, v2, v2, vcc
	v_xor_b32_e32 v4, 0x80000000, v7
	v_cmp_gt_f64_e32 vcc, 0, v[6:7]
	v_cndmask_b32_e32 v5, v7, v4, vcc
	v_cndmask_b32_e32 v4, v6, v6, vcc
	v_cmp_gt_f64_e32 vcc, v[2:3], v[4:5]
	s_cbranch_vccnz .LBB66_107
; %bb.105:
	v_cmp_eq_f64_e32 vcc, 0, v[6:7]
	s_mov_b64 s[4:5], 0
	v_pk_mov_b32 v[6:7], 0, 0
	s_cbranch_vccnz .LBB66_108
; %bb.106:
	v_div_scale_f64 v[6:7], s[8:9], v[4:5], v[4:5], v[2:3]
	v_rcp_f64_e32 v[10:11], v[6:7]
	v_div_scale_f64 v[12:13], vcc, v[2:3], v[4:5], v[2:3]
	s_mov_b32 s8, 0
	v_fma_f64 v[14:15], -v[6:7], v[10:11], 1.0
	v_fmac_f64_e32 v[10:11], v[10:11], v[14:15]
	v_fma_f64 v[14:15], -v[6:7], v[10:11], 1.0
	v_fmac_f64_e32 v[10:11], v[10:11], v[14:15]
	v_mul_f64 v[14:15], v[12:13], v[10:11]
	v_fma_f64 v[6:7], -v[6:7], v[14:15], v[12:13]
	v_div_fmas_f64 v[6:7], v[6:7], v[10:11], v[14:15]
	v_div_fixup_f64 v[6:7], v[6:7], v[4:5], v[2:3]
	v_fma_f64 v[6:7], v[6:7], v[6:7], 1.0
	s_brev_b32 s9, 8
	v_cmp_gt_f64_e32 vcc, s[8:9], v[6:7]
	v_cndmask_b32_e64 v9, 0, 1, vcc
	v_lshlrev_b32_e32 v9, 8, v9
	v_ldexp_f64 v[6:7], v[6:7], v9
	v_rsq_f64_e32 v[10:11], v[6:7]
	s_and_b64 s[8:9], vcc, exec
	s_cselect_b32 s8, 0xffffff80, 0
	v_mov_b32_e32 v9, 0x260
	v_mul_f64 v[12:13], v[6:7], v[10:11]
	v_mul_f64 v[10:11], v[10:11], 0.5
	v_fma_f64 v[14:15], -v[10:11], v[12:13], 0.5
	v_fmac_f64_e32 v[12:13], v[12:13], v[14:15]
	v_fma_f64 v[16:17], -v[12:13], v[12:13], v[6:7]
	v_fmac_f64_e32 v[10:11], v[10:11], v[14:15]
	v_fmac_f64_e32 v[12:13], v[16:17], v[10:11]
	v_fma_f64 v[14:15], -v[12:13], v[12:13], v[6:7]
	v_fmac_f64_e32 v[12:13], v[14:15], v[10:11]
	v_ldexp_f64 v[10:11], v[12:13], s8
	v_cmp_class_f64_e32 vcc, v[6:7], v9
	v_cndmask_b32_e32 v7, v11, v7, vcc
	v_cndmask_b32_e32 v6, v10, v6, vcc
	v_mul_f64 v[6:7], v[4:5], v[6:7]
	s_branch .LBB66_108
.LBB66_107:
	s_mov_b64 s[4:5], -1
                                        ; implicit-def: $vgpr6_vgpr7
.LBB66_108:
	s_andn2_b64 vcc, exec, s[4:5]
	s_cbranch_vccnz .LBB66_110
; %bb.109:
	v_div_scale_f64 v[6:7], s[4:5], v[2:3], v[2:3], v[4:5]
	v_rcp_f64_e32 v[10:11], v[6:7]
	v_div_scale_f64 v[12:13], vcc, v[4:5], v[2:3], v[4:5]
	s_mov_b32 s4, 0
	v_fma_f64 v[14:15], -v[6:7], v[10:11], 1.0
	v_fmac_f64_e32 v[10:11], v[10:11], v[14:15]
	v_fma_f64 v[14:15], -v[6:7], v[10:11], 1.0
	v_fmac_f64_e32 v[10:11], v[10:11], v[14:15]
	v_mul_f64 v[14:15], v[12:13], v[10:11]
	v_fma_f64 v[6:7], -v[6:7], v[14:15], v[12:13]
	v_div_fmas_f64 v[6:7], v[6:7], v[10:11], v[14:15]
	v_div_fixup_f64 v[4:5], v[6:7], v[2:3], v[4:5]
	v_fma_f64 v[4:5], v[4:5], v[4:5], 1.0
	s_brev_b32 s5, 8
	v_cmp_gt_f64_e32 vcc, s[4:5], v[4:5]
	v_cndmask_b32_e64 v6, 0, 1, vcc
	v_lshlrev_b32_e32 v6, 8, v6
	v_ldexp_f64 v[4:5], v[4:5], v6
	v_rsq_f64_e32 v[6:7], v[4:5]
	s_and_b64 s[4:5], vcc, exec
	s_cselect_b32 s4, 0xffffff80, 0
	v_mov_b32_e32 v9, 0x260
	v_mul_f64 v[10:11], v[4:5], v[6:7]
	v_mul_f64 v[6:7], v[6:7], 0.5
	v_fma_f64 v[12:13], -v[6:7], v[10:11], 0.5
	v_fmac_f64_e32 v[10:11], v[10:11], v[12:13]
	v_fma_f64 v[14:15], -v[10:11], v[10:11], v[4:5]
	v_fmac_f64_e32 v[6:7], v[6:7], v[12:13]
	v_fmac_f64_e32 v[10:11], v[14:15], v[6:7]
	v_fma_f64 v[12:13], -v[10:11], v[10:11], v[4:5]
	v_fmac_f64_e32 v[10:11], v[12:13], v[6:7]
	v_ldexp_f64 v[6:7], v[10:11], s4
	v_cmp_class_f64_e32 vcc, v[4:5], v9
	v_cndmask_b32_e32 v5, v7, v5, vcc
	v_cndmask_b32_e32 v4, v6, v4, vcc
	v_mul_f64 v[6:7], v[2:3], v[4:5]
.LBB66_110:
	s_mov_b32 s4, 0
	s_brev_b32 s5, 8
	v_cmp_gt_f64_e32 vcc, s[4:5], v[6:7]
	v_cndmask_b32_e64 v2, 0, 1, vcc
	v_lshlrev_b32_e32 v2, 8, v2
	v_ldexp_f64 v[2:3], v[6:7], v2
	v_rsq_f64_e32 v[4:5], v[2:3]
	s_and_b64 s[4:5], vcc, exec
	s_cselect_b32 s4, 0xffffff80, 0
	v_mul_f64 v[6:7], v[2:3], v[4:5]
	v_mul_f64 v[4:5], v[4:5], 0.5
	v_fma_f64 v[10:11], -v[4:5], v[6:7], 0.5
	v_fmac_f64_e32 v[6:7], v[6:7], v[10:11]
	v_fma_f64 v[12:13], -v[6:7], v[6:7], v[2:3]
	v_fmac_f64_e32 v[4:5], v[4:5], v[10:11]
	v_fmac_f64_e32 v[6:7], v[12:13], v[4:5]
	v_fma_f64 v[10:11], -v[6:7], v[6:7], v[2:3]
	v_fmac_f64_e32 v[6:7], v[10:11], v[4:5]
	v_ldexp_f64 v[4:5], v[6:7], s4
	v_mov_b32_e32 v6, 0x260
	v_cmp_class_f64_e32 vcc, v[2:3], v6
	v_cndmask_b32_e32 v2, v4, v2, vcc
	v_mov_b32_e32 v4, 0
	v_cndmask_b32_e32 v3, v5, v3, vcc
	v_mov_b32_e32 v5, v4
	ds_write_b128 v4, v[2:5] offset:2624
.LBB66_111:
	s_or_b64 exec, exec, s[2:3]
	v_mov_b32_e32 v2, 0
	s_waitcnt lgkmcnt(0)
	ds_read_b128 v[2:5], v2 offset:2624
	v_mov_b32_e32 v6, 0x3ff00000
	s_waitcnt lgkmcnt(0)
	v_cmp_neq_f64_e32 vcc, 0, v[2:3]
	v_cmp_neq_f64_e64 s[2:3], 0, v[4:5]
	s_or_b64 vcc, vcc, s[2:3]
	s_or_b64 s[2:3], vcc, s[0:1]
	v_cndmask_b32_e32 v3, v6, v3, vcc
	s_xor_b64 s[4:5], s[2:3], -1
	v_cndmask_b32_e32 v2, 0, v2, vcc
	v_cndmask_b32_e32 v5, 0, v5, vcc
	;; [unrolled: 1-line block ×3, first 2 shown]
	s_and_saveexec_b64 s[2:3], s[4:5]
	s_cbranch_execz .LBB66_115
; %bb.112:
	v_mbcnt_lo_u32_b32 v2, exec_lo, 0
	v_mbcnt_hi_u32_b32 v2, exec_hi, v2
	v_cmp_eq_u32_e32 vcc, 0, v2
	s_and_saveexec_b64 s[4:5], vcc
	s_cbranch_execz .LBB66_114
; %bb.113:
	v_mov_b32_e32 v2, 0
	v_mov_b32_e32 v3, s16
	global_atomic_smin v2, v3, s[14:15]
.LBB66_114:
	s_or_b64 exec, exec, s[4:5]
	v_mov_b32_e32 v2, 0
	v_mov_b32_e32 v3, 0x3ff00000
	v_pk_mov_b32 v[4:5], 0, 0
.LBB66_115:
	s_or_b64 exec, exec, s[2:3]
	v_cmp_lt_u32_e32 vcc, 2, v29
	s_and_saveexec_b64 s[2:3], vcc
	s_cbranch_execz .LBB66_117
; %bb.116:
	v_mul_f64 v[6:7], v[4:5], v[4:5]
	v_mul_u32_u24_e32 v9, 0x90, v29
	v_fmac_f64_e32 v[6:7], v[2:3], v[2:3]
	ds_read_b128 v[10:13], v9 offset:2336
	ds_read_b128 v[14:17], v9 offset:3488
	v_div_scale_f64 v[18:19], s[4:5], v[6:7], v[6:7], 1.0
	v_rcp_f64_e32 v[20:21], v[18:19]
	s_waitcnt lgkmcnt(0)
	v_add_f64 v[14:15], v[10:11], -v[14:15]
	v_add_f64 v[12:13], v[12:13], -v[16:17]
	v_fma_f64 v[10:11], -v[18:19], v[20:21], 1.0
	v_fmac_f64_e32 v[20:21], v[20:21], v[10:11]
	v_fma_f64 v[10:11], -v[18:19], v[20:21], 1.0
	v_fmac_f64_e32 v[20:21], v[20:21], v[10:11]
	v_div_scale_f64 v[10:11], vcc, 1.0, v[6:7], 1.0
	v_mul_f64 v[16:17], v[10:11], v[20:21]
	v_fma_f64 v[10:11], -v[18:19], v[16:17], v[10:11]
	s_nop 1
	v_div_fmas_f64 v[10:11], v[10:11], v[20:21], v[16:17]
	v_div_fixup_f64 v[6:7], v[10:11], v[6:7], 1.0
	v_mul_f64 v[10:11], v[4:5], v[12:13]
	v_mul_f64 v[4:5], v[4:5], -v[14:15]
	v_fmac_f64_e32 v[10:11], v[14:15], v[2:3]
	v_fmac_f64_e32 v[4:5], v[12:13], v[2:3]
	v_mul_f64 v[10:11], v[6:7], v[10:11]
	v_mul_f64 v[12:13], v[6:7], v[4:5]
	v_mul_u32_u24_e32 v2, 0x90, v28
	ds_write_b128 v9, v[10:13] offset:2336
	s_waitcnt lgkmcnt(0)
	ds_read_b128 v[2:5], v2 offset:2336
	ds_read_b128 v[14:17], v31
	s_waitcnt lgkmcnt(0)
	v_fmac_f64_e32 v[14:15], v[10:11], v[2:3]
	v_fmac_f64_e32 v[16:17], v[12:13], v[2:3]
	;; [unrolled: 1-line block ×3, first 2 shown]
	v_fma_f64 v[16:17], v[10:11], -v[4:5], v[16:17]
	ds_write_b128 v31, v[14:17]
.LBB66_117:
	s_or_b64 exec, exec, s[2:3]
	v_cmp_eq_u32_e32 vcc, 3, v29
	s_waitcnt lgkmcnt(0)
	s_and_saveexec_b64 s[2:3], vcc
	s_cbranch_execz .LBB66_125
; %bb.118:
	v_mov_b32_e32 v6, 0
	ds_read_b128 v[2:5], v6 offset:3936
	ds_read_b128 v[10:13], v6 offset:2784
	s_waitcnt lgkmcnt(0)
	v_add_f64 v[2:3], v[10:11], -v[2:3]
	v_add_f64 v[6:7], v[12:13], -v[4:5]
	v_xor_b32_e32 v4, 0x80000000, v3
	v_cmp_gt_f64_e32 vcc, 0, v[2:3]
	v_cndmask_b32_e32 v3, v3, v4, vcc
	v_cndmask_b32_e32 v2, v2, v2, vcc
	v_xor_b32_e32 v4, 0x80000000, v7
	v_cmp_gt_f64_e32 vcc, 0, v[6:7]
	v_cndmask_b32_e32 v5, v7, v4, vcc
	v_cndmask_b32_e32 v4, v6, v6, vcc
	v_cmp_gt_f64_e32 vcc, v[2:3], v[4:5]
	s_cbranch_vccnz .LBB66_121
; %bb.119:
	v_cmp_eq_f64_e32 vcc, 0, v[6:7]
	s_mov_b64 s[4:5], 0
	v_pk_mov_b32 v[6:7], 0, 0
	s_cbranch_vccnz .LBB66_122
; %bb.120:
	v_div_scale_f64 v[6:7], s[8:9], v[4:5], v[4:5], v[2:3]
	v_rcp_f64_e32 v[10:11], v[6:7]
	v_div_scale_f64 v[12:13], vcc, v[2:3], v[4:5], v[2:3]
	s_mov_b32 s8, 0
	v_fma_f64 v[14:15], -v[6:7], v[10:11], 1.0
	v_fmac_f64_e32 v[10:11], v[10:11], v[14:15]
	v_fma_f64 v[14:15], -v[6:7], v[10:11], 1.0
	v_fmac_f64_e32 v[10:11], v[10:11], v[14:15]
	v_mul_f64 v[14:15], v[12:13], v[10:11]
	v_fma_f64 v[6:7], -v[6:7], v[14:15], v[12:13]
	v_div_fmas_f64 v[6:7], v[6:7], v[10:11], v[14:15]
	v_div_fixup_f64 v[6:7], v[6:7], v[4:5], v[2:3]
	v_fma_f64 v[6:7], v[6:7], v[6:7], 1.0
	s_brev_b32 s9, 8
	v_cmp_gt_f64_e32 vcc, s[8:9], v[6:7]
	v_cndmask_b32_e64 v9, 0, 1, vcc
	v_lshlrev_b32_e32 v9, 8, v9
	v_ldexp_f64 v[6:7], v[6:7], v9
	v_rsq_f64_e32 v[10:11], v[6:7]
	s_and_b64 s[8:9], vcc, exec
	s_cselect_b32 s8, 0xffffff80, 0
	v_mov_b32_e32 v9, 0x260
	v_mul_f64 v[12:13], v[6:7], v[10:11]
	v_mul_f64 v[10:11], v[10:11], 0.5
	v_fma_f64 v[14:15], -v[10:11], v[12:13], 0.5
	v_fmac_f64_e32 v[12:13], v[12:13], v[14:15]
	v_fma_f64 v[16:17], -v[12:13], v[12:13], v[6:7]
	v_fmac_f64_e32 v[10:11], v[10:11], v[14:15]
	v_fmac_f64_e32 v[12:13], v[16:17], v[10:11]
	v_fma_f64 v[14:15], -v[12:13], v[12:13], v[6:7]
	v_fmac_f64_e32 v[12:13], v[14:15], v[10:11]
	v_ldexp_f64 v[10:11], v[12:13], s8
	v_cmp_class_f64_e32 vcc, v[6:7], v9
	v_cndmask_b32_e32 v7, v11, v7, vcc
	v_cndmask_b32_e32 v6, v10, v6, vcc
	v_mul_f64 v[6:7], v[4:5], v[6:7]
	s_branch .LBB66_122
.LBB66_121:
	s_mov_b64 s[4:5], -1
                                        ; implicit-def: $vgpr6_vgpr7
.LBB66_122:
	s_andn2_b64 vcc, exec, s[4:5]
	s_cbranch_vccnz .LBB66_124
; %bb.123:
	v_div_scale_f64 v[6:7], s[4:5], v[2:3], v[2:3], v[4:5]
	v_rcp_f64_e32 v[10:11], v[6:7]
	v_div_scale_f64 v[12:13], vcc, v[4:5], v[2:3], v[4:5]
	s_mov_b32 s4, 0
	v_fma_f64 v[14:15], -v[6:7], v[10:11], 1.0
	v_fmac_f64_e32 v[10:11], v[10:11], v[14:15]
	v_fma_f64 v[14:15], -v[6:7], v[10:11], 1.0
	v_fmac_f64_e32 v[10:11], v[10:11], v[14:15]
	v_mul_f64 v[14:15], v[12:13], v[10:11]
	v_fma_f64 v[6:7], -v[6:7], v[14:15], v[12:13]
	v_div_fmas_f64 v[6:7], v[6:7], v[10:11], v[14:15]
	v_div_fixup_f64 v[4:5], v[6:7], v[2:3], v[4:5]
	v_fma_f64 v[4:5], v[4:5], v[4:5], 1.0
	s_brev_b32 s5, 8
	v_cmp_gt_f64_e32 vcc, s[4:5], v[4:5]
	v_cndmask_b32_e64 v6, 0, 1, vcc
	v_lshlrev_b32_e32 v6, 8, v6
	v_ldexp_f64 v[4:5], v[4:5], v6
	v_rsq_f64_e32 v[6:7], v[4:5]
	s_and_b64 s[4:5], vcc, exec
	s_cselect_b32 s4, 0xffffff80, 0
	v_mov_b32_e32 v9, 0x260
	v_mul_f64 v[10:11], v[4:5], v[6:7]
	v_mul_f64 v[6:7], v[6:7], 0.5
	v_fma_f64 v[12:13], -v[6:7], v[10:11], 0.5
	v_fmac_f64_e32 v[10:11], v[10:11], v[12:13]
	v_fma_f64 v[14:15], -v[10:11], v[10:11], v[4:5]
	v_fmac_f64_e32 v[6:7], v[6:7], v[12:13]
	v_fmac_f64_e32 v[10:11], v[14:15], v[6:7]
	v_fma_f64 v[12:13], -v[10:11], v[10:11], v[4:5]
	v_fmac_f64_e32 v[10:11], v[12:13], v[6:7]
	v_ldexp_f64 v[6:7], v[10:11], s4
	v_cmp_class_f64_e32 vcc, v[4:5], v9
	v_cndmask_b32_e32 v5, v7, v5, vcc
	v_cndmask_b32_e32 v4, v6, v4, vcc
	v_mul_f64 v[6:7], v[2:3], v[4:5]
.LBB66_124:
	s_mov_b32 s4, 0
	s_brev_b32 s5, 8
	v_cmp_gt_f64_e32 vcc, s[4:5], v[6:7]
	v_cndmask_b32_e64 v2, 0, 1, vcc
	v_lshlrev_b32_e32 v2, 8, v2
	v_ldexp_f64 v[2:3], v[6:7], v2
	v_rsq_f64_e32 v[4:5], v[2:3]
	s_and_b64 s[4:5], vcc, exec
	s_cselect_b32 s4, 0xffffff80, 0
	v_mul_f64 v[6:7], v[2:3], v[4:5]
	v_mul_f64 v[4:5], v[4:5], 0.5
	v_fma_f64 v[10:11], -v[4:5], v[6:7], 0.5
	v_fmac_f64_e32 v[6:7], v[6:7], v[10:11]
	v_fma_f64 v[12:13], -v[6:7], v[6:7], v[2:3]
	v_fmac_f64_e32 v[4:5], v[4:5], v[10:11]
	v_fmac_f64_e32 v[6:7], v[12:13], v[4:5]
	v_fma_f64 v[10:11], -v[6:7], v[6:7], v[2:3]
	v_fmac_f64_e32 v[6:7], v[10:11], v[4:5]
	v_ldexp_f64 v[4:5], v[6:7], s4
	v_mov_b32_e32 v6, 0x260
	v_cmp_class_f64_e32 vcc, v[2:3], v6
	v_cndmask_b32_e32 v2, v4, v2, vcc
	v_mov_b32_e32 v4, 0
	v_cndmask_b32_e32 v3, v5, v3, vcc
	v_mov_b32_e32 v5, v4
	ds_write_b128 v4, v[2:5] offset:2784
.LBB66_125:
	s_or_b64 exec, exec, s[2:3]
	v_mov_b32_e32 v2, 0
	s_waitcnt lgkmcnt(0)
	ds_read_b128 v[2:5], v2 offset:2784
	v_mov_b32_e32 v6, 0x3ff00000
	s_waitcnt lgkmcnt(0)
	v_cmp_neq_f64_e32 vcc, 0, v[2:3]
	v_cmp_neq_f64_e64 s[2:3], 0, v[4:5]
	s_or_b64 vcc, vcc, s[2:3]
	s_or_b64 s[2:3], vcc, s[0:1]
	v_cndmask_b32_e32 v3, v6, v3, vcc
	s_xor_b64 s[4:5], s[2:3], -1
	v_cndmask_b32_e32 v2, 0, v2, vcc
	v_cndmask_b32_e32 v5, 0, v5, vcc
	;; [unrolled: 1-line block ×3, first 2 shown]
	s_and_saveexec_b64 s[2:3], s[4:5]
	s_cbranch_execz .LBB66_129
; %bb.126:
	v_mbcnt_lo_u32_b32 v2, exec_lo, 0
	v_mbcnt_hi_u32_b32 v2, exec_hi, v2
	v_cmp_eq_u32_e32 vcc, 0, v2
	s_and_saveexec_b64 s[4:5], vcc
	s_cbranch_execz .LBB66_128
; %bb.127:
	v_mov_b32_e32 v2, 0
	v_mov_b32_e32 v3, s16
	global_atomic_smin v2, v3, s[14:15]
.LBB66_128:
	s_or_b64 exec, exec, s[4:5]
	v_mov_b32_e32 v2, 0
	v_mov_b32_e32 v3, 0x3ff00000
	v_pk_mov_b32 v[4:5], 0, 0
.LBB66_129:
	s_or_b64 exec, exec, s[2:3]
	v_cmp_lt_u32_e32 vcc, 3, v29
	s_and_saveexec_b64 s[2:3], vcc
	s_cbranch_execz .LBB66_131
; %bb.130:
	v_mul_f64 v[6:7], v[4:5], v[4:5]
	v_mul_u32_u24_e32 v9, 0x90, v29
	v_fmac_f64_e32 v[6:7], v[2:3], v[2:3]
	ds_read_b128 v[10:13], v9 offset:2352
	ds_read_b128 v[14:17], v9 offset:3504
	v_div_scale_f64 v[18:19], s[4:5], v[6:7], v[6:7], 1.0
	v_rcp_f64_e32 v[20:21], v[18:19]
	s_waitcnt lgkmcnt(0)
	v_add_f64 v[14:15], v[10:11], -v[14:15]
	v_add_f64 v[12:13], v[12:13], -v[16:17]
	v_fma_f64 v[10:11], -v[18:19], v[20:21], 1.0
	v_fmac_f64_e32 v[20:21], v[20:21], v[10:11]
	v_fma_f64 v[10:11], -v[18:19], v[20:21], 1.0
	v_fmac_f64_e32 v[20:21], v[20:21], v[10:11]
	v_div_scale_f64 v[10:11], vcc, 1.0, v[6:7], 1.0
	v_mul_f64 v[16:17], v[10:11], v[20:21]
	v_fma_f64 v[10:11], -v[18:19], v[16:17], v[10:11]
	s_nop 1
	v_div_fmas_f64 v[10:11], v[10:11], v[20:21], v[16:17]
	v_div_fixup_f64 v[6:7], v[10:11], v[6:7], 1.0
	v_mul_f64 v[10:11], v[4:5], v[12:13]
	v_mul_f64 v[4:5], v[4:5], -v[14:15]
	v_fmac_f64_e32 v[10:11], v[14:15], v[2:3]
	v_fmac_f64_e32 v[4:5], v[12:13], v[2:3]
	v_mul_f64 v[10:11], v[6:7], v[10:11]
	v_mul_f64 v[12:13], v[6:7], v[4:5]
	v_mul_u32_u24_e32 v2, 0x90, v28
	ds_write_b128 v9, v[10:13] offset:2352
	s_waitcnt lgkmcnt(0)
	ds_read_b128 v[2:5], v2 offset:2352
	ds_read_b128 v[14:17], v31
	s_waitcnt lgkmcnt(0)
	v_fmac_f64_e32 v[14:15], v[10:11], v[2:3]
	v_fmac_f64_e32 v[16:17], v[12:13], v[2:3]
	v_fmac_f64_e32 v[14:15], v[12:13], v[4:5]
	v_fma_f64 v[16:17], v[10:11], -v[4:5], v[16:17]
	ds_write_b128 v31, v[14:17]
.LBB66_131:
	s_or_b64 exec, exec, s[2:3]
	v_cmp_eq_u32_e32 vcc, 4, v29
	s_waitcnt lgkmcnt(0)
	s_and_saveexec_b64 s[2:3], vcc
	s_cbranch_execz .LBB66_139
; %bb.132:
	v_mov_b32_e32 v6, 0
	ds_read_b128 v[2:5], v6 offset:4096
	ds_read_b128 v[10:13], v6 offset:2944
	s_waitcnt lgkmcnt(0)
	v_add_f64 v[2:3], v[10:11], -v[2:3]
	v_add_f64 v[6:7], v[12:13], -v[4:5]
	v_xor_b32_e32 v4, 0x80000000, v3
	v_cmp_gt_f64_e32 vcc, 0, v[2:3]
	v_cndmask_b32_e32 v3, v3, v4, vcc
	v_cndmask_b32_e32 v2, v2, v2, vcc
	v_xor_b32_e32 v4, 0x80000000, v7
	v_cmp_gt_f64_e32 vcc, 0, v[6:7]
	v_cndmask_b32_e32 v5, v7, v4, vcc
	v_cndmask_b32_e32 v4, v6, v6, vcc
	v_cmp_gt_f64_e32 vcc, v[2:3], v[4:5]
	s_cbranch_vccnz .LBB66_135
; %bb.133:
	v_cmp_eq_f64_e32 vcc, 0, v[6:7]
	s_mov_b64 s[4:5], 0
	v_pk_mov_b32 v[6:7], 0, 0
	s_cbranch_vccnz .LBB66_136
; %bb.134:
	v_div_scale_f64 v[6:7], s[8:9], v[4:5], v[4:5], v[2:3]
	v_rcp_f64_e32 v[10:11], v[6:7]
	v_div_scale_f64 v[12:13], vcc, v[2:3], v[4:5], v[2:3]
	s_mov_b32 s8, 0
	v_fma_f64 v[14:15], -v[6:7], v[10:11], 1.0
	v_fmac_f64_e32 v[10:11], v[10:11], v[14:15]
	v_fma_f64 v[14:15], -v[6:7], v[10:11], 1.0
	v_fmac_f64_e32 v[10:11], v[10:11], v[14:15]
	v_mul_f64 v[14:15], v[12:13], v[10:11]
	v_fma_f64 v[6:7], -v[6:7], v[14:15], v[12:13]
	v_div_fmas_f64 v[6:7], v[6:7], v[10:11], v[14:15]
	v_div_fixup_f64 v[6:7], v[6:7], v[4:5], v[2:3]
	v_fma_f64 v[6:7], v[6:7], v[6:7], 1.0
	s_brev_b32 s9, 8
	v_cmp_gt_f64_e32 vcc, s[8:9], v[6:7]
	v_cndmask_b32_e64 v9, 0, 1, vcc
	v_lshlrev_b32_e32 v9, 8, v9
	v_ldexp_f64 v[6:7], v[6:7], v9
	v_rsq_f64_e32 v[10:11], v[6:7]
	s_and_b64 s[8:9], vcc, exec
	s_cselect_b32 s8, 0xffffff80, 0
	v_mov_b32_e32 v9, 0x260
	v_mul_f64 v[12:13], v[6:7], v[10:11]
	v_mul_f64 v[10:11], v[10:11], 0.5
	v_fma_f64 v[14:15], -v[10:11], v[12:13], 0.5
	v_fmac_f64_e32 v[12:13], v[12:13], v[14:15]
	v_fma_f64 v[16:17], -v[12:13], v[12:13], v[6:7]
	v_fmac_f64_e32 v[10:11], v[10:11], v[14:15]
	v_fmac_f64_e32 v[12:13], v[16:17], v[10:11]
	v_fma_f64 v[14:15], -v[12:13], v[12:13], v[6:7]
	v_fmac_f64_e32 v[12:13], v[14:15], v[10:11]
	v_ldexp_f64 v[10:11], v[12:13], s8
	v_cmp_class_f64_e32 vcc, v[6:7], v9
	v_cndmask_b32_e32 v7, v11, v7, vcc
	v_cndmask_b32_e32 v6, v10, v6, vcc
	v_mul_f64 v[6:7], v[4:5], v[6:7]
	s_branch .LBB66_136
.LBB66_135:
	s_mov_b64 s[4:5], -1
                                        ; implicit-def: $vgpr6_vgpr7
.LBB66_136:
	s_andn2_b64 vcc, exec, s[4:5]
	s_cbranch_vccnz .LBB66_138
; %bb.137:
	v_div_scale_f64 v[6:7], s[4:5], v[2:3], v[2:3], v[4:5]
	v_rcp_f64_e32 v[10:11], v[6:7]
	v_div_scale_f64 v[12:13], vcc, v[4:5], v[2:3], v[4:5]
	s_mov_b32 s4, 0
	v_fma_f64 v[14:15], -v[6:7], v[10:11], 1.0
	v_fmac_f64_e32 v[10:11], v[10:11], v[14:15]
	v_fma_f64 v[14:15], -v[6:7], v[10:11], 1.0
	v_fmac_f64_e32 v[10:11], v[10:11], v[14:15]
	v_mul_f64 v[14:15], v[12:13], v[10:11]
	v_fma_f64 v[6:7], -v[6:7], v[14:15], v[12:13]
	v_div_fmas_f64 v[6:7], v[6:7], v[10:11], v[14:15]
	v_div_fixup_f64 v[4:5], v[6:7], v[2:3], v[4:5]
	v_fma_f64 v[4:5], v[4:5], v[4:5], 1.0
	s_brev_b32 s5, 8
	v_cmp_gt_f64_e32 vcc, s[4:5], v[4:5]
	v_cndmask_b32_e64 v6, 0, 1, vcc
	v_lshlrev_b32_e32 v6, 8, v6
	v_ldexp_f64 v[4:5], v[4:5], v6
	v_rsq_f64_e32 v[6:7], v[4:5]
	s_and_b64 s[4:5], vcc, exec
	s_cselect_b32 s4, 0xffffff80, 0
	v_mov_b32_e32 v9, 0x260
	v_mul_f64 v[10:11], v[4:5], v[6:7]
	v_mul_f64 v[6:7], v[6:7], 0.5
	v_fma_f64 v[12:13], -v[6:7], v[10:11], 0.5
	v_fmac_f64_e32 v[10:11], v[10:11], v[12:13]
	v_fma_f64 v[14:15], -v[10:11], v[10:11], v[4:5]
	v_fmac_f64_e32 v[6:7], v[6:7], v[12:13]
	v_fmac_f64_e32 v[10:11], v[14:15], v[6:7]
	v_fma_f64 v[12:13], -v[10:11], v[10:11], v[4:5]
	v_fmac_f64_e32 v[10:11], v[12:13], v[6:7]
	v_ldexp_f64 v[6:7], v[10:11], s4
	v_cmp_class_f64_e32 vcc, v[4:5], v9
	v_cndmask_b32_e32 v5, v7, v5, vcc
	v_cndmask_b32_e32 v4, v6, v4, vcc
	v_mul_f64 v[6:7], v[2:3], v[4:5]
.LBB66_138:
	s_mov_b32 s4, 0
	s_brev_b32 s5, 8
	v_cmp_gt_f64_e32 vcc, s[4:5], v[6:7]
	v_cndmask_b32_e64 v2, 0, 1, vcc
	v_lshlrev_b32_e32 v2, 8, v2
	v_ldexp_f64 v[2:3], v[6:7], v2
	v_rsq_f64_e32 v[4:5], v[2:3]
	s_and_b64 s[4:5], vcc, exec
	s_cselect_b32 s4, 0xffffff80, 0
	v_mul_f64 v[6:7], v[2:3], v[4:5]
	v_mul_f64 v[4:5], v[4:5], 0.5
	v_fma_f64 v[10:11], -v[4:5], v[6:7], 0.5
	v_fmac_f64_e32 v[6:7], v[6:7], v[10:11]
	v_fma_f64 v[12:13], -v[6:7], v[6:7], v[2:3]
	v_fmac_f64_e32 v[4:5], v[4:5], v[10:11]
	v_fmac_f64_e32 v[6:7], v[12:13], v[4:5]
	v_fma_f64 v[10:11], -v[6:7], v[6:7], v[2:3]
	v_fmac_f64_e32 v[6:7], v[10:11], v[4:5]
	v_ldexp_f64 v[4:5], v[6:7], s4
	v_mov_b32_e32 v6, 0x260
	v_cmp_class_f64_e32 vcc, v[2:3], v6
	v_cndmask_b32_e32 v2, v4, v2, vcc
	v_mov_b32_e32 v4, 0
	v_cndmask_b32_e32 v3, v5, v3, vcc
	v_mov_b32_e32 v5, v4
	ds_write_b128 v4, v[2:5] offset:2944
.LBB66_139:
	s_or_b64 exec, exec, s[2:3]
	v_mov_b32_e32 v2, 0
	s_waitcnt lgkmcnt(0)
	ds_read_b128 v[2:5], v2 offset:2944
	v_mov_b32_e32 v6, 0x3ff00000
	s_waitcnt lgkmcnt(0)
	v_cmp_neq_f64_e32 vcc, 0, v[2:3]
	v_cmp_neq_f64_e64 s[2:3], 0, v[4:5]
	s_or_b64 vcc, vcc, s[2:3]
	s_or_b64 s[2:3], vcc, s[0:1]
	v_cndmask_b32_e32 v3, v6, v3, vcc
	s_xor_b64 s[4:5], s[2:3], -1
	v_cndmask_b32_e32 v2, 0, v2, vcc
	v_cndmask_b32_e32 v5, 0, v5, vcc
	;; [unrolled: 1-line block ×3, first 2 shown]
	s_and_saveexec_b64 s[2:3], s[4:5]
	s_cbranch_execz .LBB66_143
; %bb.140:
	v_mbcnt_lo_u32_b32 v2, exec_lo, 0
	v_mbcnt_hi_u32_b32 v2, exec_hi, v2
	v_cmp_eq_u32_e32 vcc, 0, v2
	s_and_saveexec_b64 s[4:5], vcc
	s_cbranch_execz .LBB66_142
; %bb.141:
	v_mov_b32_e32 v2, 0
	v_mov_b32_e32 v3, s16
	global_atomic_smin v2, v3, s[14:15]
.LBB66_142:
	s_or_b64 exec, exec, s[4:5]
	v_mov_b32_e32 v2, 0
	v_mov_b32_e32 v3, 0x3ff00000
	v_pk_mov_b32 v[4:5], 0, 0
.LBB66_143:
	s_or_b64 exec, exec, s[2:3]
	v_cmp_lt_u32_e32 vcc, 4, v29
	s_and_saveexec_b64 s[2:3], vcc
	s_cbranch_execz .LBB66_145
; %bb.144:
	v_mul_f64 v[6:7], v[4:5], v[4:5]
	v_mul_u32_u24_e32 v9, 0x90, v29
	v_fmac_f64_e32 v[6:7], v[2:3], v[2:3]
	ds_read_b128 v[10:13], v9 offset:2368
	ds_read_b128 v[14:17], v9 offset:3520
	v_div_scale_f64 v[18:19], s[4:5], v[6:7], v[6:7], 1.0
	v_rcp_f64_e32 v[20:21], v[18:19]
	s_waitcnt lgkmcnt(0)
	v_add_f64 v[14:15], v[10:11], -v[14:15]
	v_add_f64 v[12:13], v[12:13], -v[16:17]
	v_fma_f64 v[10:11], -v[18:19], v[20:21], 1.0
	v_fmac_f64_e32 v[20:21], v[20:21], v[10:11]
	v_fma_f64 v[10:11], -v[18:19], v[20:21], 1.0
	v_fmac_f64_e32 v[20:21], v[20:21], v[10:11]
	v_div_scale_f64 v[10:11], vcc, 1.0, v[6:7], 1.0
	v_mul_f64 v[16:17], v[10:11], v[20:21]
	v_fma_f64 v[10:11], -v[18:19], v[16:17], v[10:11]
	s_nop 1
	v_div_fmas_f64 v[10:11], v[10:11], v[20:21], v[16:17]
	v_div_fixup_f64 v[6:7], v[10:11], v[6:7], 1.0
	v_mul_f64 v[10:11], v[4:5], v[12:13]
	v_mul_f64 v[4:5], v[4:5], -v[14:15]
	v_fmac_f64_e32 v[10:11], v[14:15], v[2:3]
	v_fmac_f64_e32 v[4:5], v[12:13], v[2:3]
	v_mul_f64 v[10:11], v[6:7], v[10:11]
	v_mul_f64 v[12:13], v[6:7], v[4:5]
	v_mul_u32_u24_e32 v2, 0x90, v28
	ds_write_b128 v9, v[10:13] offset:2368
	s_waitcnt lgkmcnt(0)
	ds_read_b128 v[2:5], v2 offset:2368
	ds_read_b128 v[14:17], v31
	s_waitcnt lgkmcnt(0)
	v_fmac_f64_e32 v[14:15], v[10:11], v[2:3]
	v_fmac_f64_e32 v[16:17], v[12:13], v[2:3]
	;; [unrolled: 1-line block ×3, first 2 shown]
	v_fma_f64 v[16:17], v[10:11], -v[4:5], v[16:17]
	ds_write_b128 v31, v[14:17]
.LBB66_145:
	s_or_b64 exec, exec, s[2:3]
	v_cmp_eq_u32_e32 vcc, 5, v29
	s_waitcnt lgkmcnt(0)
	s_and_saveexec_b64 s[2:3], vcc
	s_cbranch_execz .LBB66_153
; %bb.146:
	v_mov_b32_e32 v6, 0
	ds_read_b128 v[2:5], v6 offset:4256
	ds_read_b128 v[10:13], v6 offset:3104
	s_waitcnt lgkmcnt(0)
	v_add_f64 v[2:3], v[10:11], -v[2:3]
	v_add_f64 v[6:7], v[12:13], -v[4:5]
	v_xor_b32_e32 v4, 0x80000000, v3
	v_cmp_gt_f64_e32 vcc, 0, v[2:3]
	v_cndmask_b32_e32 v3, v3, v4, vcc
	v_cndmask_b32_e32 v2, v2, v2, vcc
	v_xor_b32_e32 v4, 0x80000000, v7
	v_cmp_gt_f64_e32 vcc, 0, v[6:7]
	v_cndmask_b32_e32 v5, v7, v4, vcc
	v_cndmask_b32_e32 v4, v6, v6, vcc
	v_cmp_gt_f64_e32 vcc, v[2:3], v[4:5]
	s_cbranch_vccnz .LBB66_149
; %bb.147:
	v_cmp_eq_f64_e32 vcc, 0, v[6:7]
	s_mov_b64 s[4:5], 0
	v_pk_mov_b32 v[6:7], 0, 0
	s_cbranch_vccnz .LBB66_150
; %bb.148:
	v_div_scale_f64 v[6:7], s[8:9], v[4:5], v[4:5], v[2:3]
	v_rcp_f64_e32 v[10:11], v[6:7]
	v_div_scale_f64 v[12:13], vcc, v[2:3], v[4:5], v[2:3]
	s_mov_b32 s8, 0
	v_fma_f64 v[14:15], -v[6:7], v[10:11], 1.0
	v_fmac_f64_e32 v[10:11], v[10:11], v[14:15]
	v_fma_f64 v[14:15], -v[6:7], v[10:11], 1.0
	v_fmac_f64_e32 v[10:11], v[10:11], v[14:15]
	v_mul_f64 v[14:15], v[12:13], v[10:11]
	v_fma_f64 v[6:7], -v[6:7], v[14:15], v[12:13]
	v_div_fmas_f64 v[6:7], v[6:7], v[10:11], v[14:15]
	v_div_fixup_f64 v[6:7], v[6:7], v[4:5], v[2:3]
	v_fma_f64 v[6:7], v[6:7], v[6:7], 1.0
	s_brev_b32 s9, 8
	v_cmp_gt_f64_e32 vcc, s[8:9], v[6:7]
	v_cndmask_b32_e64 v9, 0, 1, vcc
	v_lshlrev_b32_e32 v9, 8, v9
	v_ldexp_f64 v[6:7], v[6:7], v9
	v_rsq_f64_e32 v[10:11], v[6:7]
	s_and_b64 s[8:9], vcc, exec
	s_cselect_b32 s8, 0xffffff80, 0
	v_mov_b32_e32 v9, 0x260
	v_mul_f64 v[12:13], v[6:7], v[10:11]
	v_mul_f64 v[10:11], v[10:11], 0.5
	v_fma_f64 v[14:15], -v[10:11], v[12:13], 0.5
	v_fmac_f64_e32 v[12:13], v[12:13], v[14:15]
	v_fma_f64 v[16:17], -v[12:13], v[12:13], v[6:7]
	v_fmac_f64_e32 v[10:11], v[10:11], v[14:15]
	v_fmac_f64_e32 v[12:13], v[16:17], v[10:11]
	v_fma_f64 v[14:15], -v[12:13], v[12:13], v[6:7]
	v_fmac_f64_e32 v[12:13], v[14:15], v[10:11]
	v_ldexp_f64 v[10:11], v[12:13], s8
	v_cmp_class_f64_e32 vcc, v[6:7], v9
	v_cndmask_b32_e32 v7, v11, v7, vcc
	v_cndmask_b32_e32 v6, v10, v6, vcc
	v_mul_f64 v[6:7], v[4:5], v[6:7]
	s_branch .LBB66_150
.LBB66_149:
	s_mov_b64 s[4:5], -1
                                        ; implicit-def: $vgpr6_vgpr7
.LBB66_150:
	s_andn2_b64 vcc, exec, s[4:5]
	s_cbranch_vccnz .LBB66_152
; %bb.151:
	v_div_scale_f64 v[6:7], s[4:5], v[2:3], v[2:3], v[4:5]
	v_rcp_f64_e32 v[10:11], v[6:7]
	v_div_scale_f64 v[12:13], vcc, v[4:5], v[2:3], v[4:5]
	s_mov_b32 s4, 0
	v_fma_f64 v[14:15], -v[6:7], v[10:11], 1.0
	v_fmac_f64_e32 v[10:11], v[10:11], v[14:15]
	v_fma_f64 v[14:15], -v[6:7], v[10:11], 1.0
	v_fmac_f64_e32 v[10:11], v[10:11], v[14:15]
	v_mul_f64 v[14:15], v[12:13], v[10:11]
	v_fma_f64 v[6:7], -v[6:7], v[14:15], v[12:13]
	v_div_fmas_f64 v[6:7], v[6:7], v[10:11], v[14:15]
	v_div_fixup_f64 v[4:5], v[6:7], v[2:3], v[4:5]
	v_fma_f64 v[4:5], v[4:5], v[4:5], 1.0
	s_brev_b32 s5, 8
	v_cmp_gt_f64_e32 vcc, s[4:5], v[4:5]
	v_cndmask_b32_e64 v6, 0, 1, vcc
	v_lshlrev_b32_e32 v6, 8, v6
	v_ldexp_f64 v[4:5], v[4:5], v6
	v_rsq_f64_e32 v[6:7], v[4:5]
	s_and_b64 s[4:5], vcc, exec
	s_cselect_b32 s4, 0xffffff80, 0
	v_mov_b32_e32 v9, 0x260
	v_mul_f64 v[10:11], v[4:5], v[6:7]
	v_mul_f64 v[6:7], v[6:7], 0.5
	v_fma_f64 v[12:13], -v[6:7], v[10:11], 0.5
	v_fmac_f64_e32 v[10:11], v[10:11], v[12:13]
	v_fma_f64 v[14:15], -v[10:11], v[10:11], v[4:5]
	v_fmac_f64_e32 v[6:7], v[6:7], v[12:13]
	v_fmac_f64_e32 v[10:11], v[14:15], v[6:7]
	v_fma_f64 v[12:13], -v[10:11], v[10:11], v[4:5]
	v_fmac_f64_e32 v[10:11], v[12:13], v[6:7]
	v_ldexp_f64 v[6:7], v[10:11], s4
	v_cmp_class_f64_e32 vcc, v[4:5], v9
	v_cndmask_b32_e32 v5, v7, v5, vcc
	v_cndmask_b32_e32 v4, v6, v4, vcc
	v_mul_f64 v[6:7], v[2:3], v[4:5]
.LBB66_152:
	s_mov_b32 s4, 0
	s_brev_b32 s5, 8
	v_cmp_gt_f64_e32 vcc, s[4:5], v[6:7]
	v_cndmask_b32_e64 v2, 0, 1, vcc
	v_lshlrev_b32_e32 v2, 8, v2
	v_ldexp_f64 v[2:3], v[6:7], v2
	v_rsq_f64_e32 v[4:5], v[2:3]
	s_and_b64 s[4:5], vcc, exec
	s_cselect_b32 s4, 0xffffff80, 0
	v_mul_f64 v[6:7], v[2:3], v[4:5]
	v_mul_f64 v[4:5], v[4:5], 0.5
	v_fma_f64 v[10:11], -v[4:5], v[6:7], 0.5
	v_fmac_f64_e32 v[6:7], v[6:7], v[10:11]
	v_fma_f64 v[12:13], -v[6:7], v[6:7], v[2:3]
	v_fmac_f64_e32 v[4:5], v[4:5], v[10:11]
	v_fmac_f64_e32 v[6:7], v[12:13], v[4:5]
	v_fma_f64 v[10:11], -v[6:7], v[6:7], v[2:3]
	v_fmac_f64_e32 v[6:7], v[10:11], v[4:5]
	v_ldexp_f64 v[4:5], v[6:7], s4
	v_mov_b32_e32 v6, 0x260
	v_cmp_class_f64_e32 vcc, v[2:3], v6
	v_cndmask_b32_e32 v2, v4, v2, vcc
	v_mov_b32_e32 v4, 0
	v_cndmask_b32_e32 v3, v5, v3, vcc
	v_mov_b32_e32 v5, v4
	ds_write_b128 v4, v[2:5] offset:3104
.LBB66_153:
	s_or_b64 exec, exec, s[2:3]
	v_mov_b32_e32 v2, 0
	s_waitcnt lgkmcnt(0)
	ds_read_b128 v[2:5], v2 offset:3104
	v_mov_b32_e32 v6, 0x3ff00000
	s_waitcnt lgkmcnt(0)
	v_cmp_neq_f64_e32 vcc, 0, v[2:3]
	v_cmp_neq_f64_e64 s[2:3], 0, v[4:5]
	s_or_b64 vcc, vcc, s[2:3]
	s_or_b64 s[2:3], vcc, s[0:1]
	v_cndmask_b32_e32 v3, v6, v3, vcc
	s_xor_b64 s[4:5], s[2:3], -1
	v_cndmask_b32_e32 v2, 0, v2, vcc
	v_cndmask_b32_e32 v5, 0, v5, vcc
	;; [unrolled: 1-line block ×3, first 2 shown]
	s_and_saveexec_b64 s[2:3], s[4:5]
	s_cbranch_execz .LBB66_157
; %bb.154:
	v_mbcnt_lo_u32_b32 v2, exec_lo, 0
	v_mbcnt_hi_u32_b32 v2, exec_hi, v2
	v_cmp_eq_u32_e32 vcc, 0, v2
	s_and_saveexec_b64 s[4:5], vcc
	s_cbranch_execz .LBB66_156
; %bb.155:
	v_mov_b32_e32 v2, 0
	v_mov_b32_e32 v3, s16
	global_atomic_smin v2, v3, s[14:15]
.LBB66_156:
	s_or_b64 exec, exec, s[4:5]
	v_mov_b32_e32 v2, 0
	v_mov_b32_e32 v3, 0x3ff00000
	v_pk_mov_b32 v[4:5], 0, 0
.LBB66_157:
	s_or_b64 exec, exec, s[2:3]
	v_cmp_lt_u32_e32 vcc, 5, v29
	s_and_saveexec_b64 s[2:3], vcc
	s_cbranch_execz .LBB66_159
; %bb.158:
	v_mul_f64 v[6:7], v[4:5], v[4:5]
	v_mul_u32_u24_e32 v9, 0x90, v29
	v_fmac_f64_e32 v[6:7], v[2:3], v[2:3]
	ds_read_b128 v[10:13], v9 offset:2384
	ds_read_b128 v[14:17], v9 offset:3536
	v_div_scale_f64 v[18:19], s[4:5], v[6:7], v[6:7], 1.0
	v_rcp_f64_e32 v[20:21], v[18:19]
	s_waitcnt lgkmcnt(0)
	v_add_f64 v[14:15], v[10:11], -v[14:15]
	v_add_f64 v[12:13], v[12:13], -v[16:17]
	v_fma_f64 v[10:11], -v[18:19], v[20:21], 1.0
	v_fmac_f64_e32 v[20:21], v[20:21], v[10:11]
	v_fma_f64 v[10:11], -v[18:19], v[20:21], 1.0
	v_fmac_f64_e32 v[20:21], v[20:21], v[10:11]
	v_div_scale_f64 v[10:11], vcc, 1.0, v[6:7], 1.0
	v_mul_f64 v[16:17], v[10:11], v[20:21]
	v_fma_f64 v[10:11], -v[18:19], v[16:17], v[10:11]
	s_nop 1
	v_div_fmas_f64 v[10:11], v[10:11], v[20:21], v[16:17]
	v_div_fixup_f64 v[6:7], v[10:11], v[6:7], 1.0
	v_mul_f64 v[10:11], v[4:5], v[12:13]
	v_mul_f64 v[4:5], v[4:5], -v[14:15]
	v_fmac_f64_e32 v[10:11], v[14:15], v[2:3]
	v_fmac_f64_e32 v[4:5], v[12:13], v[2:3]
	v_mul_f64 v[10:11], v[6:7], v[10:11]
	v_mul_f64 v[12:13], v[6:7], v[4:5]
	v_mul_u32_u24_e32 v2, 0x90, v28
	ds_write_b128 v9, v[10:13] offset:2384
	s_waitcnt lgkmcnt(0)
	ds_read_b128 v[2:5], v2 offset:2384
	ds_read_b128 v[14:17], v31
	s_waitcnt lgkmcnt(0)
	v_fmac_f64_e32 v[14:15], v[10:11], v[2:3]
	v_fmac_f64_e32 v[16:17], v[12:13], v[2:3]
	;; [unrolled: 1-line block ×3, first 2 shown]
	v_fma_f64 v[16:17], v[10:11], -v[4:5], v[16:17]
	ds_write_b128 v31, v[14:17]
.LBB66_159:
	s_or_b64 exec, exec, s[2:3]
	v_cmp_eq_u32_e32 vcc, 6, v29
	s_waitcnt lgkmcnt(0)
	s_and_saveexec_b64 s[2:3], vcc
	s_cbranch_execz .LBB66_167
; %bb.160:
	v_mov_b32_e32 v6, 0
	ds_read_b128 v[2:5], v6 offset:4416
	ds_read_b128 v[10:13], v6 offset:3264
	s_waitcnt lgkmcnt(0)
	v_add_f64 v[2:3], v[10:11], -v[2:3]
	v_add_f64 v[6:7], v[12:13], -v[4:5]
	v_xor_b32_e32 v4, 0x80000000, v3
	v_cmp_gt_f64_e32 vcc, 0, v[2:3]
	v_cndmask_b32_e32 v3, v3, v4, vcc
	v_cndmask_b32_e32 v2, v2, v2, vcc
	v_xor_b32_e32 v4, 0x80000000, v7
	v_cmp_gt_f64_e32 vcc, 0, v[6:7]
	v_cndmask_b32_e32 v5, v7, v4, vcc
	v_cndmask_b32_e32 v4, v6, v6, vcc
	v_cmp_gt_f64_e32 vcc, v[2:3], v[4:5]
	s_cbranch_vccnz .LBB66_163
; %bb.161:
	v_cmp_eq_f64_e32 vcc, 0, v[6:7]
	s_mov_b64 s[4:5], 0
	v_pk_mov_b32 v[6:7], 0, 0
	s_cbranch_vccnz .LBB66_164
; %bb.162:
	v_div_scale_f64 v[6:7], s[8:9], v[4:5], v[4:5], v[2:3]
	v_rcp_f64_e32 v[10:11], v[6:7]
	v_div_scale_f64 v[12:13], vcc, v[2:3], v[4:5], v[2:3]
	s_mov_b32 s8, 0
	v_fma_f64 v[14:15], -v[6:7], v[10:11], 1.0
	v_fmac_f64_e32 v[10:11], v[10:11], v[14:15]
	v_fma_f64 v[14:15], -v[6:7], v[10:11], 1.0
	v_fmac_f64_e32 v[10:11], v[10:11], v[14:15]
	v_mul_f64 v[14:15], v[12:13], v[10:11]
	v_fma_f64 v[6:7], -v[6:7], v[14:15], v[12:13]
	v_div_fmas_f64 v[6:7], v[6:7], v[10:11], v[14:15]
	v_div_fixup_f64 v[6:7], v[6:7], v[4:5], v[2:3]
	v_fma_f64 v[6:7], v[6:7], v[6:7], 1.0
	s_brev_b32 s9, 8
	v_cmp_gt_f64_e32 vcc, s[8:9], v[6:7]
	v_cndmask_b32_e64 v9, 0, 1, vcc
	v_lshlrev_b32_e32 v9, 8, v9
	v_ldexp_f64 v[6:7], v[6:7], v9
	v_rsq_f64_e32 v[10:11], v[6:7]
	s_and_b64 s[8:9], vcc, exec
	s_cselect_b32 s8, 0xffffff80, 0
	v_mov_b32_e32 v9, 0x260
	v_mul_f64 v[12:13], v[6:7], v[10:11]
	v_mul_f64 v[10:11], v[10:11], 0.5
	v_fma_f64 v[14:15], -v[10:11], v[12:13], 0.5
	v_fmac_f64_e32 v[12:13], v[12:13], v[14:15]
	v_fma_f64 v[16:17], -v[12:13], v[12:13], v[6:7]
	v_fmac_f64_e32 v[10:11], v[10:11], v[14:15]
	v_fmac_f64_e32 v[12:13], v[16:17], v[10:11]
	v_fma_f64 v[14:15], -v[12:13], v[12:13], v[6:7]
	v_fmac_f64_e32 v[12:13], v[14:15], v[10:11]
	v_ldexp_f64 v[10:11], v[12:13], s8
	v_cmp_class_f64_e32 vcc, v[6:7], v9
	v_cndmask_b32_e32 v7, v11, v7, vcc
	v_cndmask_b32_e32 v6, v10, v6, vcc
	v_mul_f64 v[6:7], v[4:5], v[6:7]
	s_branch .LBB66_164
.LBB66_163:
	s_mov_b64 s[4:5], -1
                                        ; implicit-def: $vgpr6_vgpr7
.LBB66_164:
	s_andn2_b64 vcc, exec, s[4:5]
	s_cbranch_vccnz .LBB66_166
; %bb.165:
	v_div_scale_f64 v[6:7], s[4:5], v[2:3], v[2:3], v[4:5]
	v_rcp_f64_e32 v[10:11], v[6:7]
	v_div_scale_f64 v[12:13], vcc, v[4:5], v[2:3], v[4:5]
	s_mov_b32 s4, 0
	v_fma_f64 v[14:15], -v[6:7], v[10:11], 1.0
	v_fmac_f64_e32 v[10:11], v[10:11], v[14:15]
	v_fma_f64 v[14:15], -v[6:7], v[10:11], 1.0
	v_fmac_f64_e32 v[10:11], v[10:11], v[14:15]
	v_mul_f64 v[14:15], v[12:13], v[10:11]
	v_fma_f64 v[6:7], -v[6:7], v[14:15], v[12:13]
	v_div_fmas_f64 v[6:7], v[6:7], v[10:11], v[14:15]
	v_div_fixup_f64 v[4:5], v[6:7], v[2:3], v[4:5]
	v_fma_f64 v[4:5], v[4:5], v[4:5], 1.0
	s_brev_b32 s5, 8
	v_cmp_gt_f64_e32 vcc, s[4:5], v[4:5]
	v_cndmask_b32_e64 v6, 0, 1, vcc
	v_lshlrev_b32_e32 v6, 8, v6
	v_ldexp_f64 v[4:5], v[4:5], v6
	v_rsq_f64_e32 v[6:7], v[4:5]
	s_and_b64 s[4:5], vcc, exec
	s_cselect_b32 s4, 0xffffff80, 0
	v_mov_b32_e32 v9, 0x260
	v_mul_f64 v[10:11], v[4:5], v[6:7]
	v_mul_f64 v[6:7], v[6:7], 0.5
	v_fma_f64 v[12:13], -v[6:7], v[10:11], 0.5
	v_fmac_f64_e32 v[10:11], v[10:11], v[12:13]
	v_fma_f64 v[14:15], -v[10:11], v[10:11], v[4:5]
	v_fmac_f64_e32 v[6:7], v[6:7], v[12:13]
	v_fmac_f64_e32 v[10:11], v[14:15], v[6:7]
	v_fma_f64 v[12:13], -v[10:11], v[10:11], v[4:5]
	v_fmac_f64_e32 v[10:11], v[12:13], v[6:7]
	v_ldexp_f64 v[6:7], v[10:11], s4
	v_cmp_class_f64_e32 vcc, v[4:5], v9
	v_cndmask_b32_e32 v5, v7, v5, vcc
	v_cndmask_b32_e32 v4, v6, v4, vcc
	v_mul_f64 v[6:7], v[2:3], v[4:5]
.LBB66_166:
	s_mov_b32 s4, 0
	s_brev_b32 s5, 8
	v_cmp_gt_f64_e32 vcc, s[4:5], v[6:7]
	v_cndmask_b32_e64 v2, 0, 1, vcc
	v_lshlrev_b32_e32 v2, 8, v2
	v_ldexp_f64 v[2:3], v[6:7], v2
	v_rsq_f64_e32 v[4:5], v[2:3]
	s_and_b64 s[4:5], vcc, exec
	s_cselect_b32 s4, 0xffffff80, 0
	v_mul_f64 v[6:7], v[2:3], v[4:5]
	v_mul_f64 v[4:5], v[4:5], 0.5
	v_fma_f64 v[10:11], -v[4:5], v[6:7], 0.5
	v_fmac_f64_e32 v[6:7], v[6:7], v[10:11]
	v_fma_f64 v[12:13], -v[6:7], v[6:7], v[2:3]
	v_fmac_f64_e32 v[4:5], v[4:5], v[10:11]
	v_fmac_f64_e32 v[6:7], v[12:13], v[4:5]
	v_fma_f64 v[10:11], -v[6:7], v[6:7], v[2:3]
	v_fmac_f64_e32 v[6:7], v[10:11], v[4:5]
	v_ldexp_f64 v[4:5], v[6:7], s4
	v_mov_b32_e32 v6, 0x260
	v_cmp_class_f64_e32 vcc, v[2:3], v6
	v_cndmask_b32_e32 v2, v4, v2, vcc
	v_mov_b32_e32 v4, 0
	v_cndmask_b32_e32 v3, v5, v3, vcc
	v_mov_b32_e32 v5, v4
	ds_write_b128 v4, v[2:5] offset:3264
.LBB66_167:
	s_or_b64 exec, exec, s[2:3]
	v_mov_b32_e32 v2, 0
	s_waitcnt lgkmcnt(0)
	ds_read_b128 v[2:5], v2 offset:3264
	v_mov_b32_e32 v6, 0x3ff00000
	s_waitcnt lgkmcnt(0)
	v_cmp_neq_f64_e32 vcc, 0, v[2:3]
	v_cmp_neq_f64_e64 s[2:3], 0, v[4:5]
	s_or_b64 vcc, vcc, s[2:3]
	s_or_b64 s[2:3], vcc, s[0:1]
	v_cndmask_b32_e32 v3, v6, v3, vcc
	s_xor_b64 s[4:5], s[2:3], -1
	v_cndmask_b32_e32 v2, 0, v2, vcc
	v_cndmask_b32_e32 v5, 0, v5, vcc
	;; [unrolled: 1-line block ×3, first 2 shown]
	s_and_saveexec_b64 s[2:3], s[4:5]
	s_cbranch_execz .LBB66_171
; %bb.168:
	v_mbcnt_lo_u32_b32 v2, exec_lo, 0
	v_mbcnt_hi_u32_b32 v2, exec_hi, v2
	v_cmp_eq_u32_e32 vcc, 0, v2
	s_and_saveexec_b64 s[4:5], vcc
	s_cbranch_execz .LBB66_170
; %bb.169:
	v_mov_b32_e32 v2, 0
	v_mov_b32_e32 v3, s16
	global_atomic_smin v2, v3, s[14:15]
.LBB66_170:
	s_or_b64 exec, exec, s[4:5]
	v_mov_b32_e32 v2, 0
	v_mov_b32_e32 v3, 0x3ff00000
	v_pk_mov_b32 v[4:5], 0, 0
.LBB66_171:
	s_or_b64 exec, exec, s[2:3]
	v_cmp_lt_u32_e32 vcc, 6, v29
	s_and_saveexec_b64 s[2:3], vcc
	s_cbranch_execz .LBB66_173
; %bb.172:
	v_mul_f64 v[6:7], v[4:5], v[4:5]
	v_mul_u32_u24_e32 v9, 0x90, v29
	v_fmac_f64_e32 v[6:7], v[2:3], v[2:3]
	ds_read_b128 v[10:13], v9 offset:2400
	ds_read_b128 v[14:17], v9 offset:3552
	v_div_scale_f64 v[18:19], s[4:5], v[6:7], v[6:7], 1.0
	v_rcp_f64_e32 v[20:21], v[18:19]
	s_waitcnt lgkmcnt(0)
	v_add_f64 v[14:15], v[10:11], -v[14:15]
	v_add_f64 v[12:13], v[12:13], -v[16:17]
	v_fma_f64 v[10:11], -v[18:19], v[20:21], 1.0
	v_fmac_f64_e32 v[20:21], v[20:21], v[10:11]
	v_fma_f64 v[10:11], -v[18:19], v[20:21], 1.0
	v_fmac_f64_e32 v[20:21], v[20:21], v[10:11]
	v_div_scale_f64 v[10:11], vcc, 1.0, v[6:7], 1.0
	v_mul_f64 v[16:17], v[10:11], v[20:21]
	v_fma_f64 v[10:11], -v[18:19], v[16:17], v[10:11]
	s_nop 1
	v_div_fmas_f64 v[10:11], v[10:11], v[20:21], v[16:17]
	v_div_fixup_f64 v[6:7], v[10:11], v[6:7], 1.0
	v_mul_f64 v[10:11], v[4:5], v[12:13]
	v_mul_f64 v[4:5], v[4:5], -v[14:15]
	v_fmac_f64_e32 v[10:11], v[14:15], v[2:3]
	v_fmac_f64_e32 v[4:5], v[12:13], v[2:3]
	v_mul_f64 v[10:11], v[6:7], v[10:11]
	v_mul_f64 v[12:13], v[6:7], v[4:5]
	v_mul_u32_u24_e32 v2, 0x90, v28
	ds_write_b128 v9, v[10:13] offset:2400
	s_waitcnt lgkmcnt(0)
	ds_read_b128 v[2:5], v2 offset:2400
	ds_read_b128 v[14:17], v31
	s_waitcnt lgkmcnt(0)
	v_fmac_f64_e32 v[14:15], v[10:11], v[2:3]
	v_fmac_f64_e32 v[16:17], v[12:13], v[2:3]
	;; [unrolled: 1-line block ×3, first 2 shown]
	v_fma_f64 v[16:17], v[10:11], -v[4:5], v[16:17]
	ds_write_b128 v31, v[14:17]
.LBB66_173:
	s_or_b64 exec, exec, s[2:3]
	v_cmp_eq_u32_e32 vcc, 7, v29
	s_waitcnt lgkmcnt(0)
	s_and_saveexec_b64 s[2:3], vcc
	s_cbranch_execz .LBB66_181
; %bb.174:
	v_mov_b32_e32 v6, 0
	ds_read_b128 v[2:5], v6 offset:4576
	ds_read_b128 v[10:13], v6 offset:3424
	s_waitcnt lgkmcnt(0)
	v_add_f64 v[2:3], v[10:11], -v[2:3]
	v_add_f64 v[6:7], v[12:13], -v[4:5]
	v_xor_b32_e32 v4, 0x80000000, v3
	v_cmp_gt_f64_e32 vcc, 0, v[2:3]
	v_cndmask_b32_e32 v3, v3, v4, vcc
	v_cndmask_b32_e32 v2, v2, v2, vcc
	v_xor_b32_e32 v4, 0x80000000, v7
	v_cmp_gt_f64_e32 vcc, 0, v[6:7]
	v_cndmask_b32_e32 v5, v7, v4, vcc
	v_cndmask_b32_e32 v4, v6, v6, vcc
	v_cmp_gt_f64_e32 vcc, v[2:3], v[4:5]
	s_cbranch_vccnz .LBB66_177
; %bb.175:
	v_cmp_eq_f64_e32 vcc, 0, v[6:7]
	s_mov_b64 s[4:5], 0
	v_pk_mov_b32 v[6:7], 0, 0
	s_cbranch_vccnz .LBB66_178
; %bb.176:
	v_div_scale_f64 v[6:7], s[8:9], v[4:5], v[4:5], v[2:3]
	v_rcp_f64_e32 v[10:11], v[6:7]
	v_div_scale_f64 v[12:13], vcc, v[2:3], v[4:5], v[2:3]
	s_mov_b32 s8, 0
	v_fma_f64 v[14:15], -v[6:7], v[10:11], 1.0
	v_fmac_f64_e32 v[10:11], v[10:11], v[14:15]
	v_fma_f64 v[14:15], -v[6:7], v[10:11], 1.0
	v_fmac_f64_e32 v[10:11], v[10:11], v[14:15]
	v_mul_f64 v[14:15], v[12:13], v[10:11]
	v_fma_f64 v[6:7], -v[6:7], v[14:15], v[12:13]
	v_div_fmas_f64 v[6:7], v[6:7], v[10:11], v[14:15]
	v_div_fixup_f64 v[6:7], v[6:7], v[4:5], v[2:3]
	v_fma_f64 v[6:7], v[6:7], v[6:7], 1.0
	s_brev_b32 s9, 8
	v_cmp_gt_f64_e32 vcc, s[8:9], v[6:7]
	v_cndmask_b32_e64 v9, 0, 1, vcc
	v_lshlrev_b32_e32 v9, 8, v9
	v_ldexp_f64 v[6:7], v[6:7], v9
	v_rsq_f64_e32 v[10:11], v[6:7]
	s_and_b64 s[8:9], vcc, exec
	s_cselect_b32 s8, 0xffffff80, 0
	v_mov_b32_e32 v9, 0x260
	v_mul_f64 v[12:13], v[6:7], v[10:11]
	v_mul_f64 v[10:11], v[10:11], 0.5
	v_fma_f64 v[14:15], -v[10:11], v[12:13], 0.5
	v_fmac_f64_e32 v[12:13], v[12:13], v[14:15]
	v_fma_f64 v[16:17], -v[12:13], v[12:13], v[6:7]
	v_fmac_f64_e32 v[10:11], v[10:11], v[14:15]
	v_fmac_f64_e32 v[12:13], v[16:17], v[10:11]
	v_fma_f64 v[14:15], -v[12:13], v[12:13], v[6:7]
	v_fmac_f64_e32 v[12:13], v[14:15], v[10:11]
	v_ldexp_f64 v[10:11], v[12:13], s8
	v_cmp_class_f64_e32 vcc, v[6:7], v9
	v_cndmask_b32_e32 v7, v11, v7, vcc
	v_cndmask_b32_e32 v6, v10, v6, vcc
	v_mul_f64 v[6:7], v[4:5], v[6:7]
	s_branch .LBB66_178
.LBB66_177:
	s_mov_b64 s[4:5], -1
                                        ; implicit-def: $vgpr6_vgpr7
.LBB66_178:
	s_andn2_b64 vcc, exec, s[4:5]
	s_cbranch_vccnz .LBB66_180
; %bb.179:
	v_div_scale_f64 v[6:7], s[4:5], v[2:3], v[2:3], v[4:5]
	v_rcp_f64_e32 v[10:11], v[6:7]
	v_div_scale_f64 v[12:13], vcc, v[4:5], v[2:3], v[4:5]
	s_mov_b32 s4, 0
	v_fma_f64 v[14:15], -v[6:7], v[10:11], 1.0
	v_fmac_f64_e32 v[10:11], v[10:11], v[14:15]
	v_fma_f64 v[14:15], -v[6:7], v[10:11], 1.0
	v_fmac_f64_e32 v[10:11], v[10:11], v[14:15]
	v_mul_f64 v[14:15], v[12:13], v[10:11]
	v_fma_f64 v[6:7], -v[6:7], v[14:15], v[12:13]
	v_div_fmas_f64 v[6:7], v[6:7], v[10:11], v[14:15]
	v_div_fixup_f64 v[4:5], v[6:7], v[2:3], v[4:5]
	v_fma_f64 v[4:5], v[4:5], v[4:5], 1.0
	s_brev_b32 s5, 8
	v_cmp_gt_f64_e32 vcc, s[4:5], v[4:5]
	v_cndmask_b32_e64 v6, 0, 1, vcc
	v_lshlrev_b32_e32 v6, 8, v6
	v_ldexp_f64 v[4:5], v[4:5], v6
	v_rsq_f64_e32 v[6:7], v[4:5]
	s_and_b64 s[4:5], vcc, exec
	s_cselect_b32 s4, 0xffffff80, 0
	v_mov_b32_e32 v9, 0x260
	v_mul_f64 v[10:11], v[4:5], v[6:7]
	v_mul_f64 v[6:7], v[6:7], 0.5
	v_fma_f64 v[12:13], -v[6:7], v[10:11], 0.5
	v_fmac_f64_e32 v[10:11], v[10:11], v[12:13]
	v_fma_f64 v[14:15], -v[10:11], v[10:11], v[4:5]
	v_fmac_f64_e32 v[6:7], v[6:7], v[12:13]
	v_fmac_f64_e32 v[10:11], v[14:15], v[6:7]
	v_fma_f64 v[12:13], -v[10:11], v[10:11], v[4:5]
	v_fmac_f64_e32 v[10:11], v[12:13], v[6:7]
	v_ldexp_f64 v[6:7], v[10:11], s4
	v_cmp_class_f64_e32 vcc, v[4:5], v9
	v_cndmask_b32_e32 v5, v7, v5, vcc
	v_cndmask_b32_e32 v4, v6, v4, vcc
	v_mul_f64 v[6:7], v[2:3], v[4:5]
.LBB66_180:
	s_mov_b32 s4, 0
	s_brev_b32 s5, 8
	v_cmp_gt_f64_e32 vcc, s[4:5], v[6:7]
	v_cndmask_b32_e64 v2, 0, 1, vcc
	v_lshlrev_b32_e32 v2, 8, v2
	v_ldexp_f64 v[2:3], v[6:7], v2
	v_rsq_f64_e32 v[4:5], v[2:3]
	s_and_b64 s[4:5], vcc, exec
	s_cselect_b32 s4, 0xffffff80, 0
	v_mul_f64 v[6:7], v[2:3], v[4:5]
	v_mul_f64 v[4:5], v[4:5], 0.5
	v_fma_f64 v[10:11], -v[4:5], v[6:7], 0.5
	v_fmac_f64_e32 v[6:7], v[6:7], v[10:11]
	v_fma_f64 v[12:13], -v[6:7], v[6:7], v[2:3]
	v_fmac_f64_e32 v[4:5], v[4:5], v[10:11]
	v_fmac_f64_e32 v[6:7], v[12:13], v[4:5]
	v_fma_f64 v[10:11], -v[6:7], v[6:7], v[2:3]
	v_fmac_f64_e32 v[6:7], v[10:11], v[4:5]
	v_ldexp_f64 v[4:5], v[6:7], s4
	v_mov_b32_e32 v6, 0x260
	v_cmp_class_f64_e32 vcc, v[2:3], v6
	v_cndmask_b32_e32 v2, v4, v2, vcc
	v_mov_b32_e32 v4, 0
	v_cndmask_b32_e32 v3, v5, v3, vcc
	v_mov_b32_e32 v5, v4
	ds_write_b128 v4, v[2:5] offset:3424
.LBB66_181:
	s_or_b64 exec, exec, s[2:3]
	v_mov_b32_e32 v2, 0
	s_waitcnt lgkmcnt(0)
	ds_read_b128 v[2:5], v2 offset:3424
	v_mov_b32_e32 v6, 0x3ff00000
	s_waitcnt lgkmcnt(0)
	v_cmp_neq_f64_e32 vcc, 0, v[2:3]
	v_cmp_neq_f64_e64 s[2:3], 0, v[4:5]
	s_or_b64 vcc, vcc, s[2:3]
	s_or_b64 s[0:1], vcc, s[0:1]
	v_cndmask_b32_e32 v3, v6, v3, vcc
	s_xor_b64 s[2:3], s[0:1], -1
	v_cndmask_b32_e32 v2, 0, v2, vcc
	v_cndmask_b32_e32 v5, 0, v5, vcc
	;; [unrolled: 1-line block ×3, first 2 shown]
	s_and_saveexec_b64 s[0:1], s[2:3]
	s_cbranch_execz .LBB66_185
; %bb.182:
	v_mbcnt_lo_u32_b32 v2, exec_lo, 0
	v_mbcnt_hi_u32_b32 v2, exec_hi, v2
	v_cmp_eq_u32_e32 vcc, 0, v2
	s_and_saveexec_b64 s[2:3], vcc
	s_cbranch_execz .LBB66_184
; %bb.183:
	v_mov_b32_e32 v2, 0
	v_mov_b32_e32 v3, s16
	global_atomic_smin v2, v3, s[14:15]
.LBB66_184:
	s_or_b64 exec, exec, s[2:3]
	v_mov_b32_e32 v2, 0
	v_mov_b32_e32 v3, 0x3ff00000
	v_pk_mov_b32 v[4:5], 0, 0
.LBB66_185:
	s_or_b64 exec, exec, s[0:1]
	v_cmp_lt_u32_e32 vcc, 7, v29
	s_and_saveexec_b64 s[0:1], vcc
	s_cbranch_execz .LBB66_187
; %bb.186:
	v_mul_f64 v[6:7], v[4:5], v[4:5]
	v_mul_u32_u24_e32 v9, 0x90, v29
	v_fmac_f64_e32 v[6:7], v[2:3], v[2:3]
	ds_read_b128 v[10:13], v9 offset:2416
	ds_read_b128 v[14:17], v9 offset:3568
	v_div_scale_f64 v[18:19], s[2:3], v[6:7], v[6:7], 1.0
	v_rcp_f64_e32 v[20:21], v[18:19]
	s_waitcnt lgkmcnt(0)
	v_add_f64 v[14:15], v[10:11], -v[14:15]
	v_add_f64 v[12:13], v[12:13], -v[16:17]
	v_fma_f64 v[10:11], -v[18:19], v[20:21], 1.0
	v_fmac_f64_e32 v[20:21], v[20:21], v[10:11]
	v_fma_f64 v[10:11], -v[18:19], v[20:21], 1.0
	v_fmac_f64_e32 v[20:21], v[20:21], v[10:11]
	v_div_scale_f64 v[10:11], vcc, 1.0, v[6:7], 1.0
	v_mul_f64 v[16:17], v[10:11], v[20:21]
	v_fma_f64 v[10:11], -v[18:19], v[16:17], v[10:11]
	s_nop 1
	v_div_fmas_f64 v[10:11], v[10:11], v[20:21], v[16:17]
	v_div_fixup_f64 v[6:7], v[10:11], v[6:7], 1.0
	v_mul_f64 v[10:11], v[4:5], v[12:13]
	v_mul_f64 v[4:5], v[4:5], -v[14:15]
	v_fmac_f64_e32 v[10:11], v[14:15], v[2:3]
	v_fmac_f64_e32 v[4:5], v[12:13], v[2:3]
	v_mul_f64 v[10:11], v[6:7], v[10:11]
	v_mul_f64 v[12:13], v[6:7], v[4:5]
	v_mul_u32_u24_e32 v2, 0x90, v28
	ds_write_b128 v9, v[10:13] offset:2416
	s_waitcnt lgkmcnt(0)
	ds_read_b128 v[2:5], v2 offset:2416
	ds_read_b128 v[14:17], v31
	s_waitcnt lgkmcnt(0)
	v_fmac_f64_e32 v[14:15], v[10:11], v[2:3]
	v_fmac_f64_e32 v[16:17], v[12:13], v[2:3]
	;; [unrolled: 1-line block ×3, first 2 shown]
	v_fma_f64 v[16:17], v[10:11], -v[4:5], v[16:17]
	ds_write_b128 v31, v[14:17]
.LBB66_187:
	s_or_b64 exec, exec, s[0:1]
	s_waitcnt lgkmcnt(0)
	ds_read2_b64 v[2:5], v8 offset1:1
	v_cmp_eq_u32_e64 s[0:1], 0, v30
	s_waitcnt lgkmcnt(0)
	global_store_dwordx4 v[0:1], v[2:5], off
	s_branch .LBB66_193
.LBB66_188:
	v_or_b32_e32 v0, v28, v29
	v_cmp_eq_u32_e32 vcc, 0, v0
	s_and_saveexec_b64 s[2:3], vcc
	s_cbranch_execz .LBB66_192
; %bb.189:
	v_mbcnt_lo_u32_b32 v0, exec_lo, 0
	v_mbcnt_hi_u32_b32 v0, exec_hi, v0
	v_cmp_eq_u32_e32 vcc, 0, v0
	s_and_saveexec_b64 s[4:5], vcc
	s_cbranch_execz .LBB66_191
; %bb.190:
	s_add_i32 s8, s12, s13
	v_mov_b32_e32 v0, 0
	v_mov_b32_e32 v1, s8
	global_atomic_smin v0, v1, s[14:15]
.LBB66_191:
	s_or_b64 exec, exec, s[4:5]
	s_or_b64 s[0:1], s[0:1], exec
.LBB66_192:
	s_or_b64 exec, exec, s[2:3]
.LBB66_193:
	s_and_saveexec_b64 s[2:3], s[0:1]
	s_cbranch_execnz .LBB66_195
; %bb.194:
	s_endpgm
.LBB66_195:
	s_add_u32 s0, s10, s6
	s_addc_u32 s1, s11, s7
	v_mov_b32_e32 v0, 0
	v_mov_b32_e32 v1, 1
	s_waitcnt vmcnt(0)
	global_store_dword v0, v1, s[0:1]
	s_endpgm
	.section	.rodata,"a",@progbits
	.p2align	6, 0x0
	.amdhsa_kernel _ZN9rocsparseL26bsric0_2_8_unrolled_kernelILi64ELi32ELi8E21rocsparse_complex_numIdEEEv20rocsparse_direction_iiPKiS5_PT2_S5_PiS5_S8_21rocsparse_index_base_
		.amdhsa_group_segment_fixed_size 4992
		.amdhsa_private_segment_fixed_size 0
		.amdhsa_kernarg_size 76
		.amdhsa_user_sgpr_count 6
		.amdhsa_user_sgpr_private_segment_buffer 1
		.amdhsa_user_sgpr_dispatch_ptr 0
		.amdhsa_user_sgpr_queue_ptr 0
		.amdhsa_user_sgpr_kernarg_segment_ptr 1
		.amdhsa_user_sgpr_dispatch_id 0
		.amdhsa_user_sgpr_flat_scratch_init 0
		.amdhsa_user_sgpr_kernarg_preload_length 0
		.amdhsa_user_sgpr_kernarg_preload_offset 0
		.amdhsa_user_sgpr_private_segment_size 0
		.amdhsa_uses_dynamic_stack 0
		.amdhsa_system_sgpr_private_segment_wavefront_offset 0
		.amdhsa_system_sgpr_workgroup_id_x 1
		.amdhsa_system_sgpr_workgroup_id_y 0
		.amdhsa_system_sgpr_workgroup_id_z 0
		.amdhsa_system_sgpr_workgroup_info 0
		.amdhsa_system_vgpr_workitem_id 1
		.amdhsa_next_free_vgpr 94
		.amdhsa_next_free_sgpr 40
		.amdhsa_accum_offset 96
		.amdhsa_reserve_vcc 1
		.amdhsa_reserve_flat_scratch 0
		.amdhsa_float_round_mode_32 0
		.amdhsa_float_round_mode_16_64 0
		.amdhsa_float_denorm_mode_32 3
		.amdhsa_float_denorm_mode_16_64 3
		.amdhsa_dx10_clamp 1
		.amdhsa_ieee_mode 1
		.amdhsa_fp16_overflow 0
		.amdhsa_tg_split 0
		.amdhsa_exception_fp_ieee_invalid_op 0
		.amdhsa_exception_fp_denorm_src 0
		.amdhsa_exception_fp_ieee_div_zero 0
		.amdhsa_exception_fp_ieee_overflow 0
		.amdhsa_exception_fp_ieee_underflow 0
		.amdhsa_exception_fp_ieee_inexact 0
		.amdhsa_exception_int_div_zero 0
	.end_amdhsa_kernel
	.section	.text._ZN9rocsparseL26bsric0_2_8_unrolled_kernelILi64ELi32ELi8E21rocsparse_complex_numIdEEEv20rocsparse_direction_iiPKiS5_PT2_S5_PiS5_S8_21rocsparse_index_base_,"axG",@progbits,_ZN9rocsparseL26bsric0_2_8_unrolled_kernelILi64ELi32ELi8E21rocsparse_complex_numIdEEEv20rocsparse_direction_iiPKiS5_PT2_S5_PiS5_S8_21rocsparse_index_base_,comdat
.Lfunc_end66:
	.size	_ZN9rocsparseL26bsric0_2_8_unrolled_kernelILi64ELi32ELi8E21rocsparse_complex_numIdEEEv20rocsparse_direction_iiPKiS5_PT2_S5_PiS5_S8_21rocsparse_index_base_, .Lfunc_end66-_ZN9rocsparseL26bsric0_2_8_unrolled_kernelILi64ELi32ELi8E21rocsparse_complex_numIdEEEv20rocsparse_direction_iiPKiS5_PT2_S5_PiS5_S8_21rocsparse_index_base_
                                        ; -- End function
	.section	.AMDGPU.csdata,"",@progbits
; Kernel info:
; codeLenInByte = 17056
; NumSgprs: 44
; NumVgprs: 94
; NumAgprs: 0
; TotalNumVgprs: 94
; ScratchSize: 0
; MemoryBound: 1
; FloatMode: 240
; IeeeMode: 1
; LDSByteSize: 4992 bytes/workgroup (compile time only)
; SGPRBlocks: 5
; VGPRBlocks: 11
; NumSGPRsForWavesPerEU: 44
; NumVGPRsForWavesPerEU: 94
; AccumOffset: 96
; Occupancy: 4
; WaveLimiterHint : 1
; COMPUTE_PGM_RSRC2:SCRATCH_EN: 0
; COMPUTE_PGM_RSRC2:USER_SGPR: 6
; COMPUTE_PGM_RSRC2:TRAP_HANDLER: 0
; COMPUTE_PGM_RSRC2:TGID_X_EN: 1
; COMPUTE_PGM_RSRC2:TGID_Y_EN: 0
; COMPUTE_PGM_RSRC2:TGID_Z_EN: 0
; COMPUTE_PGM_RSRC2:TIDIG_COMP_CNT: 1
; COMPUTE_PGM_RSRC3_GFX90A:ACCUM_OFFSET: 23
; COMPUTE_PGM_RSRC3_GFX90A:TG_SPLIT: 0
	.section	.text._ZN9rocsparseL18bsric0_9_16_kernelILi64ELi32ELi16E21rocsparse_complex_numIdEEEv20rocsparse_direction_iiPKiS5_PT2_S5_PiS5_S8_21rocsparse_index_base_,"axG",@progbits,_ZN9rocsparseL18bsric0_9_16_kernelILi64ELi32ELi16E21rocsparse_complex_numIdEEEv20rocsparse_direction_iiPKiS5_PT2_S5_PiS5_S8_21rocsparse_index_base_,comdat
	.globl	_ZN9rocsparseL18bsric0_9_16_kernelILi64ELi32ELi16E21rocsparse_complex_numIdEEEv20rocsparse_direction_iiPKiS5_PT2_S5_PiS5_S8_21rocsparse_index_base_ ; -- Begin function _ZN9rocsparseL18bsric0_9_16_kernelILi64ELi32ELi16E21rocsparse_complex_numIdEEEv20rocsparse_direction_iiPKiS5_PT2_S5_PiS5_S8_21rocsparse_index_base_
	.p2align	8
	.type	_ZN9rocsparseL18bsric0_9_16_kernelILi64ELi32ELi16E21rocsparse_complex_numIdEEEv20rocsparse_direction_iiPKiS5_PT2_S5_PiS5_S8_21rocsparse_index_base_,@function
_ZN9rocsparseL18bsric0_9_16_kernelILi64ELi32ELi16E21rocsparse_complex_numIdEEEv20rocsparse_direction_iiPKiS5_PT2_S5_PiS5_S8_21rocsparse_index_base_: ; @_ZN9rocsparseL18bsric0_9_16_kernelILi64ELi32ELi16E21rocsparse_complex_numIdEEEv20rocsparse_direction_iiPKiS5_PT2_S5_PiS5_S8_21rocsparse_index_base_
; %bb.0:
	s_load_dwordx8 s[8:15], s[4:5], 0x28
	s_mov_b32 s7, 0
	s_lshl_b64 s[0:1], s[6:7], 2
	v_and_b32_e32 v11, 0x3ff, v0
	v_bfe_u32 v10, v0, 10, 10
	s_waitcnt lgkmcnt(0)
	s_add_u32 s0, s12, s0
	s_addc_u32 s1, s13, s1
	s_load_dword s20, s[0:1], 0x0
	s_waitcnt lgkmcnt(0)
	s_ashr_i32 s21, s20, 31
	s_lshl_b64 s[12:13], s[20:21], 2
	s_add_u32 s0, s8, s12
	s_addc_u32 s1, s9, s13
	s_load_dword s33, s[0:1], 0x0
	s_load_dword s21, s[4:5], 0x48
	s_waitcnt lgkmcnt(0)
	s_cmp_lg_u32 s33, -1
	s_cbranch_scc0 .LBB67_149
; %bb.1:
	s_load_dwordx4 s[16:19], s[4:5], 0x10
	v_lshlrev_b32_e32 v1, 2, v10
	v_add_u32_e32 v2, v1, v11
	s_waitcnt lgkmcnt(0)
	s_add_u32 s0, s16, s12
	s_addc_u32 s1, s17, s13
	s_load_dword s28, s[0:1], 0x0
	s_waitcnt lgkmcnt(0)
	s_sub_i32 s45, s28, s21
	v_add_u32_e32 v0, s45, v2
	v_cmp_ge_i32_e32 vcc, s33, v0
	s_and_saveexec_b64 s[2:3], vcc
	s_cbranch_execz .LBB67_16
; %bb.2:
	v_add_u32_e32 v2, s28, v2
	v_subrev_u32_e32 v2, s21, v2
	v_add_u32_e32 v2, 64, v2
	s_add_i32 s0, s33, 1
	v_max_i32_e32 v2, s0, v2
	v_not_b32_e32 v3, v11
	v_add3_u32 v2, v2, s21, v3
	v_add_u32_e32 v1, s28, v1
	v_sub_u32_e32 v1, v2, v1
	s_movk_i32 s0, 0x640
	v_cmp_gt_u32_e32 vcc, s0, v1
	s_movk_i32 s0, 0x63f
	v_cmp_lt_u32_e64 s[0:1], s0, v1
	s_and_saveexec_b64 s[6:7], s[0:1]
	s_cbranch_execz .LBB67_13
; %bb.3:
	v_and_b32_e32 v2, 0xffffffc0, v1
	v_add_u32_e32 v2, v0, v2
	v_cmp_ge_i32_e64 s[0:1], v2, v0
	s_mov_b64 s[24:25], -1
	s_and_saveexec_b64 s[22:23], s[0:1]
	s_cbranch_execz .LBB67_12
; %bb.4:
	v_lshrrev_b32_e32 v14, 6, v1
	v_add_u32_e32 v2, -1, v14
	v_add_u32_e32 v1, 64, v0
	v_lshrrev_b32_e32 v3, 1, v2
	v_add_u32_e32 v15, 1, v3
	v_cmp_lt_u32_e64 s[0:1], 13, v2
	v_pk_mov_b32 v[2:3], v[0:1], v[0:1] op_sel:[0,1]
	s_and_saveexec_b64 s[24:25], s[0:1]
	s_cbranch_execz .LBB67_8
; %bb.5:
	v_and_b32_e32 v16, -8, v15
	s_mov_b64 s[26:27], 0
	v_mov_b32_e32 v17, s19
	v_pk_mov_b32 v[2:3], v[0:1], v[0:1] op_sel:[0,1]
.LBB67_6:                               ; =>This Inner Loop Header: Depth=1
	v_ashrrev_i32_e32 v21, 31, v2
	v_mov_b32_e32 v20, v2
	v_lshlrev_b64 v[20:21], 2, v[20:21]
	v_ashrrev_i32_e32 v19, 31, v3
	v_mov_b32_e32 v18, v3
	v_add_co_u32_e64 v20, s[0:1], s18, v20
	v_add_u32_e32 v4, 0x80, v2
	v_lshlrev_b64 v[18:19], 2, v[18:19]
	v_addc_co_u32_e64 v21, s[0:1], v17, v21, s[0:1]
	v_ashrrev_i32_e32 v5, 31, v4
	v_add_co_u32_e64 v18, s[0:1], s18, v18
	v_add_u32_e32 v6, 0x80, v3
	v_addc_co_u32_e64 v19, s[0:1], v17, v19, s[0:1]
	v_lshlrev_b64 v[42:43], 2, v[4:5]
	v_ashrrev_i32_e32 v7, 31, v6
	global_load_dword v1, v[20:21], off
	global_load_dword v5, v[18:19], off
	v_add_co_u32_e64 v18, s[0:1], s18, v42
	v_add_u32_e32 v8, 0x100, v2
	v_lshlrev_b64 v[44:45], 2, v[6:7]
	v_addc_co_u32_e64 v19, s[0:1], v17, v43, s[0:1]
	v_ashrrev_i32_e32 v9, 31, v8
	v_add_co_u32_e64 v20, s[0:1], s18, v44
	v_add_u32_e32 v12, 0x100, v3
	v_lshlrev_b64 v[46:47], 2, v[8:9]
	v_addc_co_u32_e64 v21, s[0:1], v17, v45, s[0:1]
	v_ashrrev_i32_e32 v13, 31, v12
	;; [unrolled: 5-line block ×12, first 2 shown]
	v_add_co_u32_e64 v62, s[0:1], s18, v66
	v_lshlrev_b64 v[68:69], 2, v[40:41]
	v_addc_co_u32_e64 v63, s[0:1], v17, v67, s[0:1]
	v_add_co_u32_e64 v64, s[0:1], s18, v68
	v_addc_co_u32_e64 v65, s[0:1], v17, v69, s[0:1]
	global_load_dword v7, v[20:21], off
	global_load_dword v9, v[18:19], off
	;; [unrolled: 1-line block ×14, first 2 shown]
	v_subrev_u32_e32 v19, s45, v2
	v_add_u32_e32 v16, -8, v16
	v_subrev_u32_e32 v18, s45, v3
	v_lshlrev_b32_e32 v19, 2, v19
	v_subrev_u32_e32 v4, s45, v4
	v_cmp_eq_u32_e64 s[0:1], 0, v16
	s_waitcnt vmcnt(14)
	v_subrev_u32_e32 v5, s21, v5
	v_subrev_u32_e32 v1, s21, v1
	v_add_u32_e32 v3, 0x400, v3
	v_add_u32_e32 v2, 0x400, v2
	v_lshlrev_b32_e32 v18, 2, v18
	v_subrev_u32_e32 v6, s45, v6
	v_subrev_u32_e32 v12, s45, v12
	;; [unrolled: 1-line block ×13, first 2 shown]
	v_lshlrev_b32_e32 v4, 2, v4
	s_or_b64 s[26:27], s[0:1], s[26:27]
	ds_write_b32 v19, v1 offset:17664
	ds_write_b32 v18, v5 offset:17664
	v_lshlrev_b32_e32 v6, 2, v6
	v_lshlrev_b32_e32 v8, 2, v8
	;; [unrolled: 1-line block ×13, first 2 shown]
	s_waitcnt vmcnt(13)
	v_subrev_u32_e32 v1, s21, v7
	s_waitcnt vmcnt(12)
	v_subrev_u32_e32 v5, s21, v9
	;; [unrolled: 2-line block ×14, first 2 shown]
	ds_write_b32 v4, v5 offset:17664
	ds_write_b32 v6, v1 offset:17664
	;; [unrolled: 1-line block ×14, first 2 shown]
	s_andn2_b64 exec, exec, s[26:27]
	s_cbranch_execnz .LBB67_6
; %bb.7:
	s_or_b64 exec, exec, s[26:27]
.LBB67_8:
	s_or_b64 exec, exec, s[24:25]
	v_and_b32_e32 v1, 7, v15
	v_cmp_ne_u32_e64 s[0:1], 0, v1
	s_and_saveexec_b64 s[24:25], s[0:1]
	s_cbranch_execz .LBB67_11
; %bb.9:
	s_mov_b64 s[26:27], 0
	v_mov_b32_e32 v4, s19
.LBB67_10:                              ; =>This Inner Loop Header: Depth=1
	v_ashrrev_i32_e32 v9, 31, v2
	v_mov_b32_e32 v8, v2
	v_lshlrev_b64 v[8:9], 2, v[8:9]
	v_ashrrev_i32_e32 v7, 31, v3
	v_mov_b32_e32 v6, v3
	v_add_co_u32_e64 v8, s[0:1], s18, v8
	v_lshlrev_b64 v[6:7], 2, v[6:7]
	v_addc_co_u32_e64 v9, s[0:1], v4, v9, s[0:1]
	v_add_co_u32_e64 v6, s[0:1], s18, v6
	v_addc_co_u32_e64 v7, s[0:1], v4, v7, s[0:1]
	global_load_dword v5, v[6:7], off
	global_load_dword v12, v[8:9], off
	v_add_u32_e32 v1, -1, v1
	v_subrev_u32_e32 v7, s45, v2
	v_cmp_eq_u32_e64 s[0:1], 0, v1
	v_subrev_u32_e32 v6, s45, v3
	v_add_u32_e32 v3, 0x80, v3
	v_add_u32_e32 v2, 0x80, v2
	v_lshlrev_b32_e32 v7, 2, v7
	s_or_b64 s[26:27], s[0:1], s[26:27]
	v_lshlrev_b32_e32 v6, 2, v6
	s_waitcnt vmcnt(1)
	v_subrev_u32_e32 v5, s21, v5
	s_waitcnt vmcnt(0)
	v_subrev_u32_e32 v8, s21, v12
	ds_write_b32 v7, v8 offset:17664
	ds_write_b32 v6, v5 offset:17664
	s_andn2_b64 exec, exec, s[26:27]
	s_cbranch_execnz .LBB67_10
.LBB67_11:
	s_or_b64 exec, exec, s[24:25]
	v_add_u32_e32 v1, 1, v14
	v_and_b32_e32 v2, 0x7fffffe, v1
	v_cmp_ne_u32_e64 s[0:1], v1, v2
	v_lshl_add_u32 v0, v2, 6, v0
	s_orn2_b64 s[24:25], s[0:1], exec
.LBB67_12:
	s_or_b64 exec, exec, s[22:23]
	s_andn2_b64 s[0:1], vcc, exec
	s_and_b64 s[22:23], s[24:25], exec
	s_or_b64 vcc, s[0:1], s[22:23]
.LBB67_13:
	s_or_b64 exec, exec, s[6:7]
	s_and_b64 exec, exec, vcc
	s_cbranch_execz .LBB67_16
; %bb.14:
	v_add_u32_e32 v1, s21, v0
	v_subrev_u32_e32 v1, s28, v1
	v_mov_b32_e32 v2, 0x4500
	v_lshl_add_u32 v2, v1, 2, v2
	s_mov_b64 s[0:1], 0
	v_mov_b32_e32 v3, s19
.LBB67_15:                              ; =>This Inner Loop Header: Depth=1
	v_ashrrev_i32_e32 v1, 31, v0
	v_lshlrev_b64 v[4:5], 2, v[0:1]
	v_add_co_u32_e32 v4, vcc, s18, v4
	v_addc_co_u32_e32 v5, vcc, v3, v5, vcc
	global_load_dword v1, v[4:5], off
	v_add_u32_e32 v0, 64, v0
	v_cmp_lt_i32_e32 vcc, s33, v0
	s_or_b64 s[0:1], vcc, s[0:1]
	s_waitcnt vmcnt(0)
	v_subrev_u32_e32 v1, s21, v1
	ds_write_b32 v2, v1
	v_add_u32_e32 v2, 0x100, v2
	s_andn2_b64 exec, exec, s[0:1]
	s_cbranch_execnz .LBB67_15
.LBB67_16:
	s_or_b64 exec, exec, s[2:3]
	s_load_dwordx2 s[22:23], s[4:5], 0x20
	v_cmp_gt_u32_e32 vcc, 16, v11
	v_lshlrev_b32_e32 v22, 4, v11
	s_and_saveexec_b64 s[0:1], vcc
	s_cbranch_execz .LBB67_19
; %bb.17:
	v_mul_u32_u24_e32 v0, 0x110, v10
	s_movk_i32 s2, 0x3300
	v_add3_u32 v5, v0, v22, s2
	v_mov_b32_e32 v0, 0
	v_add_u32_e32 v4, -4, v11
	s_mov_b64 s[2:3], 0
	v_mov_b32_e32 v1, v0
	v_mov_b32_e32 v2, v0
	;; [unrolled: 1-line block ×3, first 2 shown]
.LBB67_18:                              ; =>This Inner Loop Header: Depth=1
	v_add_u32_e32 v4, 4, v4
	v_cmp_lt_u32_e32 vcc, 11, v4
	ds_write_b128 v5, v[0:3]
	s_or_b64 s[2:3], vcc, s[2:3]
	v_add_u32_e32 v5, 64, v5
	s_andn2_b64 exec, exec, s[2:3]
	s_cbranch_execnz .LBB67_18
.LBB67_19:
	s_or_b64 exec, exec, s[0:1]
	s_load_dword s44, s[4:5], 0x8
	s_load_dword s46, s[4:5], 0x0
	s_cmp_ge_i32 s45, s33
	s_waitcnt lgkmcnt(0)
	v_cmp_gt_i32_e64 s[0:1], s44, v11
	s_cbranch_scc1 .LBB67_104
; %bb.20:
	v_or_b32_e32 v0, v11, v10
	s_mul_i32 s6, s44, s45
	s_cmp_lg_u32 s46, 0
	v_cmp_ne_u32_e64 s[4:5], 0, v0
	s_movk_i32 s48, 0x110
	v_add_u32_e32 v0, s6, v10
	s_cselect_b64 s[24:25], -1, 0
	s_cmp_gt_i32 s44, 0
	v_mad_u32_u24 v24, v10, s48, v22
	v_mul_lo_u32 v27, s44, v0
	v_mov_b32_e32 v0, 0x2200
	v_cmp_gt_i32_e64 s[2:3], s44, v10
	s_mul_i32 s47, s44, s44
	v_mul_lo_u32 v23, v10, s44
	v_add_u32_e32 v25, 0x1100, v24
	v_mul_lo_u32 v26, v11, s44
	s_cselect_b64 s[26:27], -1, 0
	s_lshl_b32 s49, s44, 2
	v_mad_u32_u24 v28, v10, s48, v0
	v_mad_u32_u24 v29, v11, s48, v0
	v_add_u32_e32 v30, 0x3300, v24
	v_add_u32_e32 v31, 0x2200, v24
	v_mov_b32_e32 v0, 0
	v_mul_u32_u24_e32 v32, 0x110, v10
	v_mov_b32_e32 v33, 0x3ff00000
	s_mov_b32 s28, s45
	s_branch .LBB67_22
.LBB67_21:                              ;   in Loop: Header=BB67_22 Depth=1
	s_or_b64 exec, exec, s[6:7]
	s_add_i32 s28, s28, 1
	s_cmp_ge_i32 s28, s33
	s_waitcnt vmcnt(0)
	buffer_wbinvl1_vol
	v_add_u32_e32 v27, s47, v27
	s_cselect_b64 s[6:7], -1, 0
	s_and_b64 vcc, exec, s[6:7]
	s_cbranch_vccnz .LBB67_104
.LBB67_22:                              ; =>This Loop Header: Depth=1
                                        ;     Child Loop BB67_26 Depth 2
                                        ;     Child Loop BB67_39 Depth 2
	;; [unrolled: 1-line block ×5, first 2 shown]
                                        ;       Child Loop BB67_71 Depth 3
                                        ;     Child Loop BB67_84 Depth 2
                                        ;       Child Loop BB67_90 Depth 3
                                        ;       Child Loop BB67_93 Depth 3
                                        ;     Child Loop BB67_98 Depth 2
	s_ashr_i32 s29, s28, 31
	s_lshl_b64 s[6:7], s[28:29], 2
	s_add_u32 s6, s18, s6
	s_addc_u32 s7, s19, s7
	s_load_dword s50, s[6:7], 0x0
	s_waitcnt lgkmcnt(0)
	s_sub_i32 s30, s50, s21
	s_ashr_i32 s31, s30, 31
	s_lshl_b64 s[6:7], s[30:31], 2
	s_add_u32 s34, s8, s6
	s_addc_u32 s35, s9, s7
	s_load_dword s31, s[34:35], 0x0
	s_waitcnt lgkmcnt(0)
	s_cmp_eq_u32 s31, -1
	s_cbranch_scc1 .LBB67_103
; %bb.23:                               ;   in Loop: Header=BB67_22 Depth=1
	s_add_u32 s34, s16, s6
	s_addc_u32 s35, s17, s7
	s_load_dword s51, s[34:35], 0x0
	s_mul_i32 s29, s28, s44
	s_and_saveexec_b64 s[34:35], s[0:1]
	s_cbranch_execz .LBB67_36
; %bb.24:                               ;   in Loop: Header=BB67_22 Depth=1
	s_mov_b64 s[36:37], 0
	v_mov_b32_e32 v8, v25
	v_mov_b32_e32 v9, v11
	s_branch .LBB67_26
.LBB67_25:                              ;   in Loop: Header=BB67_26 Depth=2
	s_or_b64 exec, exec, s[40:41]
	v_add_u32_e32 v9, 4, v9
	s_waitcnt vmcnt(0)
	ds_write_b128 v8, v[2:5] offset:4352
	v_mov_b32_e32 v1, v0
	v_mov_b32_e32 v2, v0
	;; [unrolled: 1-line block ×3, first 2 shown]
	v_cmp_le_i32_e32 vcc, s44, v9
	ds_write_b128 v8, v[0:3]
	s_or_b64 s[36:37], vcc, s[36:37]
	v_add_u32_e32 v8, 64, v8
	s_andn2_b64 exec, exec, s[36:37]
	s_cbranch_execz .LBB67_36
.LBB67_26:                              ;   Parent Loop BB67_22 Depth=1
                                        ; =>  This Inner Loop Header: Depth=2
	s_and_b64 vcc, exec, s[24:25]
	s_cbranch_vccz .LBB67_31
; %bb.27:                               ;   in Loop: Header=BB67_26 Depth=2
	s_mov_b64 s[40:41], 0
	s_mov_b64 s[38:39], 0
                                        ; implicit-def: $vgpr6
	s_and_saveexec_b64 s[42:43], s[2:3]
	s_xor_b64 s[42:43], exec, s[42:43]
; %bb.28:                               ;   in Loop: Header=BB67_26 Depth=2
	v_add_u32_e32 v1, s29, v9
	s_mov_b64 s[38:39], exec
	v_mad_u64_u32 v[6:7], s[52:53], v1, s44, v[10:11]
; %bb.29:                               ;   in Loop: Header=BB67_26 Depth=2
	s_or_b64 exec, exec, s[42:43]
	s_and_b64 vcc, exec, s[40:41]
	s_cbranch_vccnz .LBB67_32
.LBB67_30:                              ;   in Loop: Header=BB67_26 Depth=2
	v_pk_mov_b32 v[2:3], s[40:41], s[40:41] op_sel:[0,1]
	v_pk_mov_b32 v[4:5], s[40:41], s[40:41] op_sel:[0,1]
	s_and_saveexec_b64 s[40:41], s[38:39]
	s_cbranch_execz .LBB67_25
	s_branch .LBB67_35
.LBB67_31:                              ;   in Loop: Header=BB67_26 Depth=2
	s_mov_b64 s[40:41], -1
	s_mov_b64 s[38:39], 0
                                        ; implicit-def: $vgpr6
	s_cbranch_execz .LBB67_30
.LBB67_32:                              ;   in Loop: Header=BB67_26 Depth=2
                                        ; implicit-def: $vgpr6
	s_and_saveexec_b64 s[40:41], s[2:3]
; %bb.33:                               ;   in Loop: Header=BB67_26 Depth=2
	v_add_u32_e32 v6, v27, v9
	s_or_b64 s[38:39], s[38:39], exec
; %bb.34:                               ;   in Loop: Header=BB67_26 Depth=2
	s_or_b64 exec, exec, s[40:41]
	s_mov_b64 s[40:41], 0
	v_pk_mov_b32 v[2:3], s[40:41], s[40:41] op_sel:[0,1]
	v_pk_mov_b32 v[4:5], s[40:41], s[40:41] op_sel:[0,1]
	s_and_saveexec_b64 s[40:41], s[38:39]
	s_cbranch_execz .LBB67_25
.LBB67_35:                              ;   in Loop: Header=BB67_26 Depth=2
	v_ashrrev_i32_e32 v7, 31, v6
	v_lshlrev_b64 v[2:3], 4, v[6:7]
	v_mov_b32_e32 v1, s23
	v_add_co_u32_e32 v2, vcc, s22, v2
	v_addc_co_u32_e32 v3, vcc, v1, v3, vcc
	global_load_dwordx4 v[2:5], v[2:3], off
	s_branch .LBB67_25
.LBB67_36:                              ;   in Loop: Header=BB67_22 Depth=1
	s_or_b64 exec, exec, s[34:35]
; %bb.37:                               ;   in Loop: Header=BB67_22 Depth=1
	ds_read_b32 v1, v0 offset:17664
	s_waitcnt lgkmcnt(0)
	s_sub_i32 s34, s51, s21
	s_cmp_le_i32 s34, s31
	s_cselect_b64 s[36:37], -1, 0
	s_mov_b32 s40, 0
	v_cmp_ge_i32_e32 vcc, s30, v1
	s_and_b64 s[36:37], s[36:37], vcc
	s_andn2_b64 vcc, exec, s[36:37]
	s_cbranch_vccnz .LBB67_49
; %bb.38:                               ;   in Loop: Header=BB67_22 Depth=1
	s_mov_b32 s38, 0
	s_mov_b32 s39, 0
.LBB67_39:                              ;   Parent Loop BB67_22 Depth=1
                                        ; =>  This Inner Loop Header: Depth=2
	s_ashr_i32 s35, s34, 31
	s_lshl_b64 s[36:37], s[34:35], 2
	s_add_u32 s36, s18, s36
	s_addc_u32 s37, s19, s37
	s_load_dword s35, s[36:37], 0x0
	s_lshl_b32 s36, s39, 2
	v_mov_b32_e32 v1, s36
	ds_read_b32 v1, v1 offset:17664
	s_mov_b64 s[36:37], -1
	s_waitcnt lgkmcnt(0)
	s_sub_i32 s43, s35, s21
                                        ; implicit-def: $sgpr40
                                        ; implicit-def: $sgpr42
                                        ; implicit-def: $sgpr41
	v_cmp_ge_i32_e32 vcc, s43, v1
	v_readfirstlane_b32 s35, v1
	s_cbranch_vccz .LBB67_45
; %bb.40:                               ;   in Loop: Header=BB67_39 Depth=2
	s_cmp_le_i32 s43, s35
                                        ; implicit-def: $sgpr40
                                        ; implicit-def: $sgpr42
                                        ; implicit-def: $sgpr41
	s_cbranch_scc0 .LBB67_42
; %bb.41:                               ;   in Loop: Header=BB67_39 Depth=2
	s_add_i32 s36, s39, s45
	s_mul_i32 s36, s36, s47
	s_lshl_b32 s37, s38, 2
	v_mov_b32_e32 v1, s37
	v_mov_b32_e32 v2, s36
	s_mul_i32 s36, s34, s47
	v_mov_b32_e32 v3, s36
	v_add_u32_e32 v1, 0x4400, v1
	ds_write2_b32 v1, v3, v2 offset1:32
	s_add_i32 s41, s39, 1
	s_add_i32 s42, s34, 1
	;; [unrolled: 1-line block ×3, first 2 shown]
	s_mov_b64 s[36:37], 0
.LBB67_42:                              ;   in Loop: Header=BB67_39 Depth=2
	s_andn2_b64 vcc, exec, s[36:37]
	s_cbranch_vccnz .LBB67_44
; %bb.43:                               ;   in Loop: Header=BB67_39 Depth=2
	s_add_i32 s41, s39, 1
	s_mov_b32 s40, s38
	s_mov_b32 s42, s34
.LBB67_44:                              ;   in Loop: Header=BB67_39 Depth=2
	s_mov_b64 s[36:37], 0
.LBB67_45:                              ;   in Loop: Header=BB67_39 Depth=2
	s_andn2_b64 vcc, exec, s[36:37]
	s_cbranch_vccnz .LBB67_47
; %bb.46:                               ;   in Loop: Header=BB67_39 Depth=2
	s_add_i32 s42, s34, 1
	s_mov_b32 s41, s39
	s_mov_b32 s40, s38
.LBB67_47:                              ;   in Loop: Header=BB67_39 Depth=2
	s_cmp_le_i32 s42, s31
	s_cselect_b64 s[36:37], -1, 0
	s_cmp_le_i32 s35, s30
	s_cselect_b64 s[34:35], -1, 0
	s_and_b64 s[34:35], s[36:37], s[34:35]
	s_and_b64 vcc, exec, s[34:35]
	s_cbranch_vccz .LBB67_49
; %bb.48:                               ;   in Loop: Header=BB67_39 Depth=2
	s_mov_b32 s38, s40
	s_mov_b32 s34, s42
	;; [unrolled: 1-line block ×3, first 2 shown]
	s_branch .LBB67_39
.LBB67_49:                              ;   in Loop: Header=BB67_22 Depth=1
	s_add_u32 s6, s10, s6
	s_addc_u32 s7, s11, s7
	s_waitcnt lgkmcnt(0)
.LBB67_50:                              ;   Parent Loop BB67_22 Depth=1
                                        ; =>  This Inner Loop Header: Depth=2
	global_load_dword v1, v0, s[6:7] glc
	s_waitcnt vmcnt(0)
	v_cmp_eq_u32_e32 vcc, 0, v1
	s_cbranch_vccnz .LBB67_50
; %bb.51:                               ;   in Loop: Header=BB67_22 Depth=1
	buffer_wbinvl1_vol
	s_and_saveexec_b64 s[6:7], s[0:1]
	s_cbranch_execz .LBB67_64
; %bb.52:                               ;   in Loop: Header=BB67_22 Depth=1
	s_mul_i32 s41, s31, s44
	v_add_u32_e32 v1, s41, v10
	v_mul_lo_u32 v1, v1, s44
	s_mov_b64 s[30:31], 0
	v_mov_b32_e32 v8, v24
	v_mov_b32_e32 v9, v11
	s_branch .LBB67_54
.LBB67_53:                              ;   in Loop: Header=BB67_54 Depth=2
	s_or_b64 exec, exec, s[36:37]
	v_add_u32_e32 v9, 4, v9
	v_cmp_le_i32_e32 vcc, s44, v9
	s_waitcnt vmcnt(0)
	ds_write_b128 v8, v[2:5]
	s_or_b64 s[30:31], vcc, s[30:31]
	v_add_u32_e32 v8, 64, v8
	s_andn2_b64 exec, exec, s[30:31]
	s_cbranch_execz .LBB67_64
.LBB67_54:                              ;   Parent Loop BB67_22 Depth=1
                                        ; =>  This Inner Loop Header: Depth=2
	s_and_b64 vcc, exec, s[24:25]
	s_cbranch_vccz .LBB67_59
; %bb.55:                               ;   in Loop: Header=BB67_54 Depth=2
	s_mov_b64 s[36:37], 0
	s_mov_b64 s[34:35], 0
                                        ; implicit-def: $vgpr6
	s_and_saveexec_b64 s[38:39], s[2:3]
	s_xor_b64 s[38:39], exec, s[38:39]
; %bb.56:                               ;   in Loop: Header=BB67_54 Depth=2
	v_add_u32_e32 v2, s41, v9
	s_mov_b64 s[34:35], exec
	v_mad_u64_u32 v[6:7], s[42:43], v2, s44, v[10:11]
; %bb.57:                               ;   in Loop: Header=BB67_54 Depth=2
	s_or_b64 exec, exec, s[38:39]
	s_and_b64 vcc, exec, s[36:37]
	s_cbranch_vccnz .LBB67_60
.LBB67_58:                              ;   in Loop: Header=BB67_54 Depth=2
	v_pk_mov_b32 v[2:3], s[36:37], s[36:37] op_sel:[0,1]
	v_pk_mov_b32 v[4:5], s[36:37], s[36:37] op_sel:[0,1]
	s_and_saveexec_b64 s[36:37], s[34:35]
	s_cbranch_execz .LBB67_53
	s_branch .LBB67_63
.LBB67_59:                              ;   in Loop: Header=BB67_54 Depth=2
	s_mov_b64 s[36:37], -1
	s_mov_b64 s[34:35], 0
                                        ; implicit-def: $vgpr6
	s_cbranch_execz .LBB67_58
.LBB67_60:                              ;   in Loop: Header=BB67_54 Depth=2
                                        ; implicit-def: $vgpr6
	s_and_saveexec_b64 s[36:37], s[2:3]
; %bb.61:                               ;   in Loop: Header=BB67_54 Depth=2
	v_add_u32_e32 v6, v1, v9
	s_or_b64 s[34:35], s[34:35], exec
; %bb.62:                               ;   in Loop: Header=BB67_54 Depth=2
	s_or_b64 exec, exec, s[36:37]
	s_mov_b64 s[36:37], 0
	v_pk_mov_b32 v[2:3], s[36:37], s[36:37] op_sel:[0,1]
	v_pk_mov_b32 v[4:5], s[36:37], s[36:37] op_sel:[0,1]
	s_and_saveexec_b64 s[36:37], s[34:35]
	s_cbranch_execz .LBB67_53
.LBB67_63:                              ;   in Loop: Header=BB67_54 Depth=2
	v_ashrrev_i32_e32 v7, 31, v6
	v_lshlrev_b64 v[2:3], 4, v[6:7]
	v_mov_b32_e32 v4, s23
	v_add_co_u32_e32 v2, vcc, s22, v2
	v_addc_co_u32_e32 v3, vcc, v4, v3, vcc
	global_load_dwordx4 v[2:5], v[2:3], off
	s_branch .LBB67_53
.LBB67_64:                              ;   in Loop: Header=BB67_22 Depth=1
	s_or_b64 exec, exec, s[6:7]
; %bb.65:                               ;   in Loop: Header=BB67_22 Depth=1
	s_cmp_lt_i32 s40, 2
	s_cbranch_scc1 .LBB67_81
; %bb.66:                               ;   in Loop: Header=BB67_22 Depth=1
	s_add_i32 s38, s40, -2
	s_mov_b32 s39, 0
	s_branch .LBB67_68
.LBB67_67:                              ;   in Loop: Header=BB67_68 Depth=2
	s_or_b64 exec, exec, s[6:7]
	s_add_i32 s6, s39, 1
	s_cmp_eq_u32 s39, s38
	s_mov_b32 s39, s6
	s_cbranch_scc1 .LBB67_81
.LBB67_68:                              ;   Parent Loop BB67_22 Depth=1
                                        ; =>  This Loop Header: Depth=2
                                        ;       Child Loop BB67_71 Depth 3
	s_and_saveexec_b64 s[6:7], s[0:1]
	s_cbranch_execz .LBB67_67
; %bb.69:                               ;   in Loop: Header=BB67_68 Depth=2
	s_lshl_b32 s30, s39, 2
	v_mov_b32_e32 v1, s30
	v_add_u32_e32 v1, 0x4400, v1
	ds_read2_b32 v[2:3], v1 offset1:32
	s_mov_b64 s[30:31], 0
	v_mov_b32_e32 v37, v11
	s_waitcnt lgkmcnt(0)
	v_add_u32_e32 v1, v3, v23
	v_add_u32_e32 v34, v10, v3
	v_add_u32_e32 v35, v11, v2
	v_add_u32_e32 v36, v26, v2
	s_branch .LBB67_71
.LBB67_70:                              ;   in Loop: Header=BB67_71 Depth=3
	v_lshlrev_b32_e32 v4, 4, v37
	v_mad_u32_u24 v8, v10, s48, v4
	ds_read_b128 v[4:7], v8 offset:4352
	v_add_u32_e32 v37, 4, v37
	v_cmp_le_i32_e32 vcc, s44, v37
	v_add_u32_e32 v35, 4, v35
	s_or_b64 s[30:31], vcc, s[30:31]
	s_waitcnt lgkmcnt(0)
	v_add_f64 v[4:5], v[20:21], v[4:5]
	v_add_f64 v[6:7], v[2:3], v[6:7]
	v_add_u32_e32 v36, s49, v36
	ds_write_b128 v8, v[4:7] offset:4352
	s_andn2_b64 exec, exec, s[30:31]
	s_cbranch_execz .LBB67_67
.LBB67_71:                              ;   Parent Loop BB67_22 Depth=1
                                        ;     Parent Loop BB67_68 Depth=2
                                        ; =>    This Inner Loop Header: Depth=3
	v_pk_mov_b32 v[16:17], 0, 0
	s_mov_b32 s40, 0
	v_mov_b32_e32 v12, v35
	v_mov_b32_e32 v14, v34
	v_pk_mov_b32 v[18:19], v[16:17], v[16:17] op_sel:[0,1]
	s_and_b64 vcc, exec, s[24:25]
	s_cbranch_vccz .LBB67_75
.LBB67_72:                              ;   in Loop: Header=BB67_71 Depth=3
	v_ashrrev_i32_e32 v13, 31, v12
	v_lshlrev_b64 v[2:3], 4, v[12:13]
	v_mov_b32_e32 v4, s23
	v_add_co_u32_e32 v2, vcc, s22, v2
	v_addc_co_u32_e32 v3, vcc, v4, v3, vcc
	global_load_dwordx4 v[2:5], v[2:3], off
	v_pk_mov_b32 v[6:7], 0, 0
	s_mov_b64 s[34:35], 0
	v_pk_mov_b32 v[8:9], v[6:7], v[6:7] op_sel:[0,1]
	s_and_saveexec_b64 s[36:37], s[2:3]
	s_cbranch_execz .LBB67_74
; %bb.73:                               ;   in Loop: Header=BB67_71 Depth=3
	v_ashrrev_i32_e32 v15, 31, v14
	v_lshlrev_b64 v[6:7], 4, v[14:15]
	v_mov_b32_e32 v8, s23
	v_add_co_u32_e32 v6, vcc, s22, v6
	v_addc_co_u32_e32 v7, vcc, v8, v7, vcc
	global_load_dwordx4 v[6:9], v[6:7], off
.LBB67_74:                              ;   in Loop: Header=BB67_71 Depth=3
	s_or_b64 exec, exec, s[36:37]
	s_waitcnt vmcnt(0)
	v_fma_f64 v[20:21], v[2:3], v[6:7], v[18:19]
	v_fmac_f64_e32 v[20:21], v[4:5], v[8:9]
	v_fma_f64 v[4:5], v[4:5], v[6:7], v[16:17]
	v_fma_f64 v[2:3], v[2:3], -v[8:9], v[4:5]
	s_and_b64 vcc, exec, s[34:35]
	s_cbranch_vccnz .LBB67_76
	s_branch .LBB67_79
.LBB67_75:                              ;   in Loop: Header=BB67_71 Depth=3
                                        ; implicit-def: $vgpr2_vgpr3
                                        ; implicit-def: $vgpr20_vgpr21
	s_cbranch_execz .LBB67_79
.LBB67_76:                              ;   in Loop: Header=BB67_71 Depth=3
	v_add_u32_e32 v2, s40, v36
	v_ashrrev_i32_e32 v3, 31, v2
	v_lshlrev_b64 v[2:3], 4, v[2:3]
	v_mov_b32_e32 v4, s23
	v_add_co_u32_e32 v2, vcc, s22, v2
	v_addc_co_u32_e32 v3, vcc, v4, v3, vcc
	global_load_dwordx4 v[2:5], v[2:3], off
	v_pk_mov_b32 v[6:7], 0, 0
	v_pk_mov_b32 v[8:9], v[6:7], v[6:7] op_sel:[0,1]
	s_and_saveexec_b64 s[34:35], s[2:3]
	s_cbranch_execz .LBB67_78
; %bb.77:                               ;   in Loop: Header=BB67_71 Depth=3
	v_add_u32_e32 v6, s40, v1
	v_ashrrev_i32_e32 v7, 31, v6
	v_lshlrev_b64 v[6:7], 4, v[6:7]
	v_mov_b32_e32 v8, s23
	v_add_co_u32_e32 v6, vcc, s22, v6
	v_addc_co_u32_e32 v7, vcc, v8, v7, vcc
	global_load_dwordx4 v[6:9], v[6:7], off
.LBB67_78:                              ;   in Loop: Header=BB67_71 Depth=3
	s_or_b64 exec, exec, s[34:35]
	s_waitcnt vmcnt(0)
	v_fmac_f64_e32 v[18:19], v[2:3], v[6:7]
	v_fmac_f64_e32 v[18:19], v[4:5], v[8:9]
	;; [unrolled: 1-line block ×3, first 2 shown]
	v_fma_f64 v[2:3], v[2:3], -v[8:9], v[16:17]
	v_pk_mov_b32 v[20:21], v[18:19], v[18:19] op_sel:[0,1]
.LBB67_79:                              ;   in Loop: Header=BB67_71 Depth=3
	s_add_i32 s40, s40, 1
	v_add_u32_e32 v14, s44, v14
	s_cmp_eq_u32 s44, s40
	v_add_u32_e32 v12, s44, v12
	s_cbranch_scc1 .LBB67_70
; %bb.80:                               ;   in Loop: Header=BB67_71 Depth=3
	v_pk_mov_b32 v[16:17], v[2:3], v[2:3] op_sel:[0,1]
	v_pk_mov_b32 v[18:19], v[20:21], v[20:21] op_sel:[0,1]
	s_and_b64 vcc, exec, s[24:25]
	s_cbranch_vccnz .LBB67_72
	s_branch .LBB67_75
.LBB67_81:                              ;   in Loop: Header=BB67_22 Depth=1
	s_andn2_b64 vcc, exec, s[26:27]
	s_waitcnt lgkmcnt(0)
	s_cbranch_vccnz .LBB67_94
; %bb.82:                               ;   in Loop: Header=BB67_22 Depth=1
	s_mov_b32 s34, 0
	s_mov_b32 s35, 0
	v_mov_b32_e32 v1, v29
	s_branch .LBB67_84
.LBB67_83:                              ;   in Loop: Header=BB67_84 Depth=2
	s_or_b64 exec, exec, s[6:7]
	s_add_i32 s35, s35, 1
	s_addk_i32 s34, 0x110
	s_cmp_eq_u32 s35, s44
	v_add_u32_e32 v1, 16, v1
	s_waitcnt lgkmcnt(0)
	s_cbranch_scc1 .LBB67_94
.LBB67_84:                              ;   Parent Loop BB67_22 Depth=1
                                        ; =>  This Loop Header: Depth=2
                                        ;       Child Loop BB67_90 Depth 3
                                        ;       Child Loop BB67_93 Depth 3
	s_lshl_b32 s6, s35, 4
	s_mul_i32 s7, s35, 0x110
	s_add_i32 s7, s6, s7
	v_mov_b32_e32 v2, s7
	ds_read_b128 v[6:9], v2
	v_mov_b32_e32 v2, s6
	v_mad_u32_u24 v16, v10, s48, v2
	ds_read_b128 v[2:5], v16 offset:8704
	s_waitcnt lgkmcnt(1)
	v_cmp_neq_f64_e32 vcc, 0, v[6:7]
	v_cmp_neq_f64_e64 s[6:7], 0, v[8:9]
	s_or_b64 vcc, vcc, s[6:7]
	s_or_b64 s[6:7], vcc, s[4:5]
	v_cndmask_b32_e32 v13, v33, v7, vcc
	s_xor_b64 s[30:31], s[6:7], -1
	v_cndmask_b32_e32 v12, 0, v6, vcc
	v_cndmask_b32_e32 v15, 0, v9, vcc
	;; [unrolled: 1-line block ×3, first 2 shown]
	s_and_saveexec_b64 s[6:7], s[30:31]
	s_cbranch_execz .LBB67_88
; %bb.85:                               ;   in Loop: Header=BB67_84 Depth=2
	v_mbcnt_lo_u32_b32 v6, exec_lo, 0
	v_mbcnt_hi_u32_b32 v6, exec_hi, v6
	v_cmp_eq_u32_e32 vcc, 0, v6
	s_and_saveexec_b64 s[30:31], vcc
	s_cbranch_execz .LBB67_87
; %bb.86:                               ;   in Loop: Header=BB67_84 Depth=2
	v_mov_b32_e32 v6, s50
	global_atomic_smin v0, v6, s[14:15]
.LBB67_87:                              ;   in Loop: Header=BB67_84 Depth=2
	s_or_b64 exec, exec, s[30:31]
	v_mov_b32_e32 v12, 0
	v_mov_b32_e32 v13, 0x3ff00000
	v_pk_mov_b32 v[14:15], 0, 0
.LBB67_88:                              ;   in Loop: Header=BB67_84 Depth=2
	s_or_b64 exec, exec, s[6:7]
	v_lshl_add_u32 v6, s35, 4, v32
	ds_read_b128 v[6:9], v6 offset:4352
	s_cmp_eq_u32 s35, 0
	s_cbranch_scc1 .LBB67_91
; %bb.89:                               ;   in Loop: Header=BB67_84 Depth=2
	s_mov_b32 s6, 0
	v_mov_b32_e32 v17, v28
	s_mov_b32 s7, s34
.LBB67_90:                              ;   Parent Loop BB67_22 Depth=1
                                        ;     Parent Loop BB67_84 Depth=2
                                        ; =>    This Inner Loop Header: Depth=3
	v_mov_b32_e32 v34, s7
	ds_read_b128 v[18:21], v17
	ds_read_b128 v[34:37], v34
	s_add_i32 s6, s6, 1
	s_add_i32 s7, s7, 16
	v_add_u32_e32 v17, 16, v17
	s_cmp_ge_u32 s6, s35
	s_waitcnt lgkmcnt(0)
	v_fmac_f64_e32 v[6:7], v[34:35], v[18:19]
	v_fmac_f64_e32 v[8:9], v[36:37], v[18:19]
	;; [unrolled: 1-line block ×3, first 2 shown]
	v_fma_f64 v[8:9], v[34:35], -v[20:21], v[8:9]
	s_cbranch_scc0 .LBB67_90
.LBB67_91:                              ;   in Loop: Header=BB67_84 Depth=2
	v_mul_f64 v[18:19], v[14:15], v[14:15]
	v_fmac_f64_e32 v[18:19], v[12:13], v[12:13]
	v_div_scale_f64 v[20:21], s[6:7], v[18:19], v[18:19], 1.0
	v_rcp_f64_e32 v[34:35], v[20:21]
	s_waitcnt lgkmcnt(0)
	v_add_f64 v[6:7], v[2:3], -v[6:7]
	v_add_f64 v[4:5], v[4:5], -v[8:9]
	v_add_u32_e32 v16, 0x2200, v16
	v_fma_f64 v[2:3], -v[20:21], v[34:35], 1.0
	v_fmac_f64_e32 v[34:35], v[34:35], v[2:3]
	v_fma_f64 v[2:3], -v[20:21], v[34:35], 1.0
	v_fmac_f64_e32 v[34:35], v[34:35], v[2:3]
	v_div_scale_f64 v[2:3], vcc, 1.0, v[18:19], 1.0
	v_mul_f64 v[8:9], v[2:3], v[34:35]
	v_fma_f64 v[2:3], -v[20:21], v[8:9], v[2:3]
	s_nop 1
	v_div_fmas_f64 v[2:3], v[2:3], v[34:35], v[8:9]
	v_div_fixup_f64 v[8:9], v[2:3], v[18:19], 1.0
	v_mul_f64 v[2:3], v[14:15], v[4:5]
	v_fmac_f64_e32 v[2:3], v[6:7], v[12:13]
	v_mul_f64 v[6:7], v[14:15], -v[6:7]
	v_fmac_f64_e32 v[6:7], v[4:5], v[12:13]
	v_mul_f64 v[2:3], v[8:9], v[2:3]
	v_mul_f64 v[4:5], v[8:9], v[6:7]
	ds_write_b128 v16, v[2:5]
	s_waitcnt lgkmcnt(0)
	s_and_saveexec_b64 s[6:7], s[0:1]
	s_cbranch_execz .LBB67_83
; %bb.92:                               ;   in Loop: Header=BB67_84 Depth=2
	s_mov_b64 s[30:31], 0
	v_mov_b32_e32 v6, v30
	v_mov_b32_e32 v7, v1
	;; [unrolled: 1-line block ×3, first 2 shown]
.LBB67_93:                              ;   Parent Loop BB67_22 Depth=1
                                        ;     Parent Loop BB67_84 Depth=2
                                        ; =>    This Inner Loop Header: Depth=3
	ds_read_b128 v[12:15], v7
	ds_read_b128 v[16:19], v6
	v_add_u32_e32 v8, 4, v8
	v_cmp_le_i32_e32 vcc, s44, v8
	v_add_u32_e32 v7, 0x440, v7
	s_or_b64 s[30:31], vcc, s[30:31]
	s_waitcnt lgkmcnt(0)
	v_fmac_f64_e32 v[16:17], v[2:3], v[12:13]
	v_fmac_f64_e32 v[18:19], v[4:5], v[12:13]
	;; [unrolled: 1-line block ×3, first 2 shown]
	v_fma_f64 v[18:19], v[2:3], -v[14:15], v[18:19]
	ds_write_b128 v6, v[16:19]
	v_add_u32_e32 v6, 64, v6
	s_andn2_b64 exec, exec, s[30:31]
	s_cbranch_execnz .LBB67_93
	s_branch .LBB67_83
.LBB67_94:                              ;   in Loop: Header=BB67_22 Depth=1
	s_and_saveexec_b64 s[6:7], s[0:1]
	s_cbranch_execz .LBB67_21
; %bb.95:                               ;   in Loop: Header=BB67_22 Depth=1
	s_mov_b64 s[30:31], 0
	v_mov_b32_e32 v1, v31
	v_mov_b32_e32 v4, v11
	s_branch .LBB67_98
.LBB67_96:                              ;   in Loop: Header=BB67_98 Depth=2
	ds_read2_b64 v[6:9], v1 offset1:1
	v_ashrrev_i32_e32 v3, 31, v2
	v_lshlrev_b64 v[2:3], 4, v[2:3]
	v_mov_b32_e32 v5, s23
	v_add_co_u32_e32 v2, vcc, s22, v2
	v_addc_co_u32_e32 v3, vcc, v5, v3, vcc
	s_waitcnt lgkmcnt(0)
	global_store_dwordx4 v[2:3], v[6:9], off
.LBB67_97:                              ;   in Loop: Header=BB67_98 Depth=2
	s_or_b64 exec, exec, s[34:35]
	v_add_u32_e32 v4, 4, v4
	v_cmp_le_i32_e32 vcc, s44, v4
	s_or_b64 s[30:31], vcc, s[30:31]
	v_add_u32_e32 v1, 64, v1
	s_andn2_b64 exec, exec, s[30:31]
	s_cbranch_execz .LBB67_21
.LBB67_98:                              ;   Parent Loop BB67_22 Depth=1
                                        ; =>  This Inner Loop Header: Depth=2
	s_and_saveexec_b64 s[34:35], s[2:3]
	s_cbranch_execz .LBB67_97
; %bb.99:                               ;   in Loop: Header=BB67_98 Depth=2
	s_and_b64 vcc, exec, s[24:25]
	s_cbranch_vccz .LBB67_101
; %bb.100:                              ;   in Loop: Header=BB67_98 Depth=2
	v_add_u32_e32 v2, s29, v4
	v_mad_u64_u32 v[2:3], s[36:37], v2, s44, v[10:11]
	s_cbranch_execnz .LBB67_96
	s_branch .LBB67_102
.LBB67_101:                             ;   in Loop: Header=BB67_98 Depth=2
                                        ; implicit-def: $vgpr2
.LBB67_102:                             ;   in Loop: Header=BB67_98 Depth=2
	v_add_u32_e32 v2, v27, v4
	s_branch .LBB67_96
.LBB67_103:                             ;   in Loop: Header=BB67_22 Depth=1
                                        ; implicit-def: $sgpr28
                                        ; implicit-def: $vgpr27
	s_cbranch_execz .LBB67_22
.LBB67_104:
	v_cmp_gt_i32_e64 s[0:1], s44, v11
	s_and_saveexec_b64 s[4:5], s[0:1]
	s_cbranch_execz .LBB67_117
; %bb.105:
	s_mul_i32 s26, s33, s44
	v_add_u32_e32 v0, s26, v10
	s_cmp_lg_u32 s46, 0
	v_mul_lo_u32 v6, v0, s44
	v_mul_u32_u24_e32 v0, 0x110, v10
	s_movk_i32 s8, 0x2200
	s_cselect_b64 s[6:7], -1, 0
	v_cmp_gt_i32_e64 s[2:3], s44, v10
	v_add3_u32 v7, v0, v22, s8
	s_mov_b64 s[8:9], 0
	v_mov_b32_e32 v8, v11
	s_branch .LBB67_107
.LBB67_106:                             ;   in Loop: Header=BB67_107 Depth=1
	s_or_b64 exec, exec, s[18:19]
	v_add_u32_e32 v8, 4, v8
	v_cmp_le_i32_e32 vcc, s44, v8
	s_waitcnt vmcnt(0)
	ds_write_b128 v7, v[0:3]
	s_or_b64 s[8:9], vcc, s[8:9]
	v_add_u32_e32 v7, 64, v7
	s_andn2_b64 exec, exec, s[8:9]
	s_cbranch_execz .LBB67_117
.LBB67_107:                             ; =>This Inner Loop Header: Depth=1
	s_and_b64 vcc, exec, s[6:7]
	s_cbranch_vccz .LBB67_112
; %bb.108:                              ;   in Loop: Header=BB67_107 Depth=1
	s_mov_b64 s[18:19], 0
	s_mov_b64 s[16:17], 0
                                        ; implicit-def: $vgpr4
	s_and_saveexec_b64 s[24:25], s[2:3]
	s_xor_b64 s[24:25], exec, s[24:25]
; %bb.109:                              ;   in Loop: Header=BB67_107 Depth=1
	v_add_u32_e32 v0, s26, v8
	s_mov_b64 s[16:17], exec
	v_mad_u64_u32 v[4:5], s[28:29], v0, s44, v[10:11]
; %bb.110:                              ;   in Loop: Header=BB67_107 Depth=1
	s_or_b64 exec, exec, s[24:25]
	s_and_b64 vcc, exec, s[18:19]
	s_cbranch_vccnz .LBB67_113
.LBB67_111:                             ;   in Loop: Header=BB67_107 Depth=1
	v_pk_mov_b32 v[0:1], s[18:19], s[18:19] op_sel:[0,1]
	v_pk_mov_b32 v[2:3], s[18:19], s[18:19] op_sel:[0,1]
	s_and_saveexec_b64 s[18:19], s[16:17]
	s_cbranch_execz .LBB67_106
	s_branch .LBB67_116
.LBB67_112:                             ;   in Loop: Header=BB67_107 Depth=1
	s_mov_b64 s[18:19], -1
	s_mov_b64 s[16:17], 0
                                        ; implicit-def: $vgpr4
	s_cbranch_execz .LBB67_111
.LBB67_113:                             ;   in Loop: Header=BB67_107 Depth=1
                                        ; implicit-def: $vgpr4
	s_and_saveexec_b64 s[18:19], s[2:3]
; %bb.114:                              ;   in Loop: Header=BB67_107 Depth=1
	v_add_u32_e32 v4, v6, v8
	s_or_b64 s[16:17], s[16:17], exec
; %bb.115:                              ;   in Loop: Header=BB67_107 Depth=1
	s_or_b64 exec, exec, s[18:19]
	s_mov_b64 s[18:19], 0
	v_pk_mov_b32 v[0:1], s[18:19], s[18:19] op_sel:[0,1]
	v_pk_mov_b32 v[2:3], s[18:19], s[18:19] op_sel:[0,1]
	s_and_saveexec_b64 s[18:19], s[16:17]
	s_cbranch_execz .LBB67_106
.LBB67_116:                             ;   in Loop: Header=BB67_107 Depth=1
	v_ashrrev_i32_e32 v5, 31, v4
	v_lshlrev_b64 v[0:1], 4, v[4:5]
	v_mov_b32_e32 v2, s23
	v_add_co_u32_e32 v0, vcc, s22, v0
	v_addc_co_u32_e32 v1, vcc, v2, v1, vcc
	global_load_dwordx4 v[0:3], v[0:1], off
	s_branch .LBB67_106
.LBB67_117:
	s_or_b64 exec, exec, s[4:5]
; %bb.118:
	s_cmp_lt_i32 s44, 1
	s_waitcnt lgkmcnt(0)
	s_cbranch_scc1 .LBB67_137
; %bb.119:
	v_or_b32_e32 v0, v11, v10
	v_cmp_ne_u32_e64 s[2:3], 0, v0
	v_lshlrev_b32_e32 v0, 4, v10
	s_movk_i32 s24, 0x110
	v_mad_u32_u24 v0, v10, s24, v0
	v_add_u32_e32 v12, 0x2200, v0
	v_mul_u32_u24_e32 v13, 0x110, v10
	s_movk_i32 s4, 0x3300
	v_add_u32_e32 v14, 0x3300, v0
	v_mov_b32_e32 v0, 0x2200
	s_mov_b32 s6, 0
	s_mov_b32 s18, 0
	s_add_i32 s19, s20, s21
	v_mad_u32_u24 v15, v11, s24, v0
	v_add3_u32 v16, v13, v22, s4
	s_brev_b32 s7, 8
	v_mov_b32_e32 v17, 0x260
	v_mov_b32_e32 v18, 0x3ff00000
	;; [unrolled: 1-line block ×4, first 2 shown]
	s_branch .LBB67_121
.LBB67_120:                             ;   in Loop: Header=BB67_121 Depth=1
	s_or_b64 exec, exec, s[4:5]
	s_add_i32 s18, s18, 1
	s_cmp_eq_u32 s18, s44
	v_add_u32_e32 v15, 16, v15
	s_waitcnt lgkmcnt(0)
	s_cbranch_scc1 .LBB67_137
.LBB67_121:                             ; =>This Loop Header: Depth=1
                                        ;     Child Loop BB67_136 Depth 2
	v_cmp_eq_u32_e32 vcc, s18, v10
	s_and_saveexec_b64 s[4:5], vcc
	s_cbranch_execz .LBB67_129
; %bb.122:                              ;   in Loop: Header=BB67_121 Depth=1
	ds_read_b128 v[4:7], v14
	ds_read_b128 v[24:27], v12
	s_waitcnt lgkmcnt(0)
	v_add_f64 v[0:1], v[24:25], -v[4:5]
	v_add_f64 v[8:9], v[26:27], -v[6:7]
	v_xor_b32_e32 v3, 0x80000000, v1
	v_cmp_gt_f64_e32 vcc, 0, v[0:1]
	v_cndmask_b32_e32 v1, v1, v3, vcc
	v_cndmask_b32_e32 v0, v0, v0, vcc
	v_xor_b32_e32 v3, 0x80000000, v9
	v_cmp_gt_f64_e32 vcc, 0, v[8:9]
	v_cndmask_b32_e32 v5, v9, v3, vcc
	v_cndmask_b32_e32 v4, v8, v8, vcc
	v_cmp_ngt_f64_e32 vcc, v[0:1], v[4:5]
                                        ; implicit-def: $vgpr6_vgpr7
	s_and_saveexec_b64 s[8:9], vcc
	s_xor_b64 s[8:9], exec, s[8:9]
	s_cbranch_execz .LBB67_126
; %bb.123:                              ;   in Loop: Header=BB67_121 Depth=1
	v_cmp_neq_f64_e32 vcc, 0, v[8:9]
	v_pk_mov_b32 v[6:7], 0, 0
	s_and_saveexec_b64 s[16:17], vcc
	s_cbranch_execz .LBB67_125
; %bb.124:                              ;   in Loop: Header=BB67_121 Depth=1
	v_div_scale_f64 v[6:7], s[26:27], v[4:5], v[4:5], v[0:1]
	v_rcp_f64_e32 v[8:9], v[6:7]
	v_div_scale_f64 v[20:21], vcc, v[0:1], v[4:5], v[0:1]
	v_fma_f64 v[24:25], -v[6:7], v[8:9], 1.0
	v_fmac_f64_e32 v[8:9], v[8:9], v[24:25]
	v_fma_f64 v[24:25], -v[6:7], v[8:9], 1.0
	v_fmac_f64_e32 v[8:9], v[8:9], v[24:25]
	v_mul_f64 v[24:25], v[20:21], v[8:9]
	v_fma_f64 v[6:7], -v[6:7], v[24:25], v[20:21]
	v_div_fmas_f64 v[6:7], v[6:7], v[8:9], v[24:25]
	v_div_fixup_f64 v[0:1], v[6:7], v[4:5], v[0:1]
	v_fma_f64 v[0:1], v[0:1], v[0:1], 1.0
	v_cmp_gt_f64_e32 vcc, s[6:7], v[0:1]
	v_cndmask_b32_e64 v3, 0, 1, vcc
	v_lshlrev_b32_e32 v3, 8, v3
	v_ldexp_f64 v[0:1], v[0:1], v3
	v_rsq_f64_e32 v[6:7], v[0:1]
	v_cndmask_b32_e32 v3, 0, v19, vcc
	v_cmp_class_f64_e32 vcc, v[0:1], v17
	v_mul_f64 v[8:9], v[0:1], v[6:7]
	v_mul_f64 v[6:7], v[6:7], 0.5
	v_fma_f64 v[20:21], -v[6:7], v[8:9], 0.5
	v_fmac_f64_e32 v[8:9], v[8:9], v[20:21]
	v_fma_f64 v[24:25], -v[8:9], v[8:9], v[0:1]
	v_fmac_f64_e32 v[6:7], v[6:7], v[20:21]
	v_fmac_f64_e32 v[8:9], v[24:25], v[6:7]
	v_fma_f64 v[20:21], -v[8:9], v[8:9], v[0:1]
	v_fmac_f64_e32 v[8:9], v[20:21], v[6:7]
	v_ldexp_f64 v[6:7], v[8:9], v3
	v_cndmask_b32_e32 v1, v7, v1, vcc
	v_cndmask_b32_e32 v0, v6, v0, vcc
	v_mul_f64 v[6:7], v[4:5], v[0:1]
.LBB67_125:                             ;   in Loop: Header=BB67_121 Depth=1
	s_or_b64 exec, exec, s[16:17]
                                        ; implicit-def: $vgpr0_vgpr1
                                        ; implicit-def: $vgpr4_vgpr5
.LBB67_126:                             ;   in Loop: Header=BB67_121 Depth=1
	s_andn2_saveexec_b64 s[8:9], s[8:9]
	s_cbranch_execz .LBB67_128
; %bb.127:                              ;   in Loop: Header=BB67_121 Depth=1
	v_div_scale_f64 v[6:7], s[16:17], v[0:1], v[0:1], v[4:5]
	v_rcp_f64_e32 v[8:9], v[6:7]
	v_div_scale_f64 v[20:21], vcc, v[4:5], v[0:1], v[4:5]
	v_fma_f64 v[24:25], -v[6:7], v[8:9], 1.0
	v_fmac_f64_e32 v[8:9], v[8:9], v[24:25]
	v_fma_f64 v[24:25], -v[6:7], v[8:9], 1.0
	v_fmac_f64_e32 v[8:9], v[8:9], v[24:25]
	v_mul_f64 v[24:25], v[20:21], v[8:9]
	v_fma_f64 v[6:7], -v[6:7], v[24:25], v[20:21]
	v_div_fmas_f64 v[6:7], v[6:7], v[8:9], v[24:25]
	v_div_fixup_f64 v[4:5], v[6:7], v[0:1], v[4:5]
	v_fma_f64 v[4:5], v[4:5], v[4:5], 1.0
	v_cmp_gt_f64_e32 vcc, s[6:7], v[4:5]
	v_cndmask_b32_e64 v3, 0, 1, vcc
	v_lshlrev_b32_e32 v3, 8, v3
	v_ldexp_f64 v[4:5], v[4:5], v3
	v_rsq_f64_e32 v[6:7], v[4:5]
	v_cndmask_b32_e32 v3, 0, v19, vcc
	v_cmp_class_f64_e32 vcc, v[4:5], v17
	v_mul_f64 v[8:9], v[4:5], v[6:7]
	v_mul_f64 v[6:7], v[6:7], 0.5
	v_fma_f64 v[20:21], -v[6:7], v[8:9], 0.5
	v_fmac_f64_e32 v[8:9], v[8:9], v[20:21]
	v_fma_f64 v[24:25], -v[8:9], v[8:9], v[4:5]
	v_fmac_f64_e32 v[6:7], v[6:7], v[20:21]
	v_fmac_f64_e32 v[8:9], v[24:25], v[6:7]
	v_fma_f64 v[20:21], -v[8:9], v[8:9], v[4:5]
	v_fmac_f64_e32 v[8:9], v[20:21], v[6:7]
	v_ldexp_f64 v[6:7], v[8:9], v3
	v_cndmask_b32_e32 v5, v7, v5, vcc
	v_cndmask_b32_e32 v4, v6, v4, vcc
	v_mul_f64 v[6:7], v[0:1], v[4:5]
.LBB67_128:                             ;   in Loop: Header=BB67_121 Depth=1
	s_or_b64 exec, exec, s[8:9]
	v_cmp_gt_f64_e32 vcc, s[6:7], v[6:7]
	v_cndmask_b32_e64 v0, 0, 1, vcc
	v_lshlrev_b32_e32 v0, 8, v0
	v_ldexp_f64 v[0:1], v[6:7], v0
	v_rsq_f64_e32 v[4:5], v[0:1]
	v_cndmask_b32_e32 v3, 0, v19, vcc
	v_cmp_class_f64_e32 vcc, v[0:1], v17
	v_mul_f64 v[6:7], v[0:1], v[4:5]
	v_mul_f64 v[4:5], v[4:5], 0.5
	v_fma_f64 v[8:9], -v[4:5], v[6:7], 0.5
	v_fmac_f64_e32 v[6:7], v[6:7], v[8:9]
	v_fmac_f64_e32 v[4:5], v[4:5], v[8:9]
	v_fma_f64 v[8:9], -v[6:7], v[6:7], v[0:1]
	v_fmac_f64_e32 v[6:7], v[8:9], v[4:5]
	v_fma_f64 v[8:9], -v[6:7], v[6:7], v[0:1]
	v_fmac_f64_e32 v[6:7], v[8:9], v[4:5]
	v_ldexp_f64 v[4:5], v[6:7], v3
	v_cndmask_b32_e32 v1, v5, v1, vcc
	v_cndmask_b32_e32 v0, v4, v0, vcc
	v_mov_b32_e32 v3, v2
	ds_write_b128 v12, v[0:3]
.LBB67_129:                             ;   in Loop: Header=BB67_121 Depth=1
	s_or_b64 exec, exec, s[4:5]
	s_lshl_b32 s4, s18, 4
	s_mul_i32 s5, s18, 0x110
	s_add_i32 s5, s5, s4
	v_mov_b32_e32 v0, s5
	s_waitcnt lgkmcnt(0)
	ds_read_b128 v[24:27], v0 offset:8704
	v_mov_b32_e32 v0, s4
	v_mad_u32_u24 v3, v10, s24, v0
	ds_read_b128 v[4:7], v3 offset:8704
	s_waitcnt lgkmcnt(1)
	v_cmp_neq_f64_e32 vcc, 0, v[24:25]
	v_cmp_neq_f64_e64 s[4:5], 0, v[26:27]
	s_or_b64 vcc, vcc, s[4:5]
	s_or_b64 s[4:5], vcc, s[2:3]
	v_cndmask_b32_e32 v1, 0, v27, vcc
	s_xor_b64 s[8:9], s[4:5], -1
	v_cndmask_b32_e32 v0, 0, v26, vcc
	v_cndmask_b32_e32 v9, v18, v25, vcc
	;; [unrolled: 1-line block ×3, first 2 shown]
	s_and_saveexec_b64 s[4:5], s[8:9]
	s_cbranch_execz .LBB67_133
; %bb.130:                              ;   in Loop: Header=BB67_121 Depth=1
	v_mbcnt_lo_u32_b32 v0, exec_lo, 0
	v_mbcnt_hi_u32_b32 v0, exec_hi, v0
	v_cmp_eq_u32_e32 vcc, 0, v0
	s_and_saveexec_b64 s[8:9], vcc
	s_cbranch_execz .LBB67_132
; %bb.131:                              ;   in Loop: Header=BB67_121 Depth=1
	v_mov_b32_e32 v0, s19
	global_atomic_smin v2, v0, s[14:15]
.LBB67_132:                             ;   in Loop: Header=BB67_121 Depth=1
	s_or_b64 exec, exec, s[8:9]
	v_mov_b32_e32 v8, 0
	v_pk_mov_b32 v[0:1], 0, 0
	v_mov_b32_e32 v9, 0x3ff00000
.LBB67_133:                             ;   in Loop: Header=BB67_121 Depth=1
	s_or_b64 exec, exec, s[4:5]
	v_cmp_lt_u32_e32 vcc, s18, v10
	s_and_saveexec_b64 s[4:5], vcc
	s_cbranch_execz .LBB67_120
; %bb.134:                              ;   in Loop: Header=BB67_121 Depth=1
	v_lshl_add_u32 v20, s18, 4, v13
	ds_read_b128 v[24:27], v20 offset:13056
	v_mul_f64 v[20:21], v[0:1], v[0:1]
	v_fmac_f64_e32 v[20:21], v[8:9], v[8:9]
	v_div_scale_f64 v[28:29], s[8:9], v[20:21], v[20:21], 1.0
	v_rcp_f64_e32 v[30:31], v[28:29]
	s_waitcnt lgkmcnt(0)
	v_add_f64 v[24:25], v[4:5], -v[24:25]
	v_add_f64 v[6:7], v[6:7], -v[26:27]
	v_add_u32_e32 v3, 0x2200, v3
	v_fma_f64 v[4:5], -v[28:29], v[30:31], 1.0
	v_fmac_f64_e32 v[30:31], v[30:31], v[4:5]
	v_fma_f64 v[4:5], -v[28:29], v[30:31], 1.0
	v_fmac_f64_e32 v[30:31], v[30:31], v[4:5]
	v_div_scale_f64 v[4:5], vcc, 1.0, v[20:21], 1.0
	v_mul_f64 v[26:27], v[4:5], v[30:31]
	v_fma_f64 v[4:5], -v[28:29], v[26:27], v[4:5]
	s_nop 1
	v_div_fmas_f64 v[4:5], v[4:5], v[30:31], v[26:27]
	v_div_fixup_f64 v[20:21], v[4:5], v[20:21], 1.0
	v_mul_f64 v[4:5], v[0:1], v[6:7]
	v_mul_f64 v[0:1], v[0:1], -v[24:25]
	v_fmac_f64_e32 v[4:5], v[24:25], v[8:9]
	v_fmac_f64_e32 v[0:1], v[6:7], v[8:9]
	v_mul_f64 v[4:5], v[20:21], v[4:5]
	v_mul_f64 v[6:7], v[20:21], v[0:1]
	ds_write_b128 v3, v[4:7]
	s_waitcnt lgkmcnt(0)
	s_and_b64 exec, exec, s[0:1]
	s_cbranch_execz .LBB67_120
; %bb.135:                              ;   in Loop: Header=BB67_121 Depth=1
	s_mov_b64 s[8:9], 0
	v_mov_b32_e32 v0, v16
	v_mov_b32_e32 v1, v15
	;; [unrolled: 1-line block ×3, first 2 shown]
.LBB67_136:                             ;   Parent Loop BB67_121 Depth=1
                                        ; =>  This Inner Loop Header: Depth=2
	ds_read_b128 v[24:27], v1
	ds_read_b128 v[28:31], v0
	v_add_u32_e32 v3, 4, v3
	v_cmp_le_i32_e32 vcc, s44, v3
	v_add_u32_e32 v1, 0x440, v1
	s_or_b64 s[8:9], vcc, s[8:9]
	s_waitcnt lgkmcnt(0)
	v_fmac_f64_e32 v[28:29], v[4:5], v[24:25]
	v_fmac_f64_e32 v[30:31], v[6:7], v[24:25]
	;; [unrolled: 1-line block ×3, first 2 shown]
	v_fma_f64 v[30:31], v[4:5], -v[26:27], v[30:31]
	ds_write_b128 v0, v[28:31]
	v_add_u32_e32 v0, 64, v0
	s_andn2_b64 exec, exec, s[8:9]
	s_cbranch_execnz .LBB67_136
	s_branch .LBB67_120
.LBB67_137:
	s_and_saveexec_b64 s[2:3], s[0:1]
	s_cbranch_execz .LBB67_146
; %bb.138:
	s_mul_i32 s33, s33, s44
	v_add_u32_e32 v0, s33, v10
	s_cmp_lg_u32 s46, 0
	v_mul_lo_u32 v2, v0, s44
	v_mul_u32_u24_e32 v0, 0x110, v10
	s_movk_i32 s6, 0x2200
	v_cmp_gt_i32_e64 s[0:1], s44, v10
	s_cselect_b64 s[4:5], -1, 0
	v_add3_u32 v3, v0, v22, s6
	s_mov_b64 s[6:7], 0
	v_mov_b32_e32 v4, v11
	s_branch .LBB67_141
.LBB67_139:                             ;   in Loop: Header=BB67_141 Depth=1
	ds_read2_b64 v[6:9], v3 offset1:1
	v_ashrrev_i32_e32 v1, 31, v0
	v_lshlrev_b64 v[0:1], 4, v[0:1]
	v_mov_b32_e32 v5, s23
	v_add_co_u32_e32 v0, vcc, s22, v0
	v_addc_co_u32_e32 v1, vcc, v5, v1, vcc
	s_waitcnt lgkmcnt(0)
	global_store_dwordx4 v[0:1], v[6:9], off
.LBB67_140:                             ;   in Loop: Header=BB67_141 Depth=1
	s_or_b64 exec, exec, s[8:9]
	v_add_u32_e32 v4, 4, v4
	v_cmp_le_i32_e32 vcc, s44, v4
	s_or_b64 s[6:7], vcc, s[6:7]
	v_add_u32_e32 v3, 64, v3
	s_andn2_b64 exec, exec, s[6:7]
	s_cbranch_execz .LBB67_146
.LBB67_141:                             ; =>This Inner Loop Header: Depth=1
	s_and_saveexec_b64 s[8:9], s[0:1]
	s_cbranch_execz .LBB67_140
; %bb.142:                              ;   in Loop: Header=BB67_141 Depth=1
	s_and_b64 vcc, exec, s[4:5]
	s_cbranch_vccz .LBB67_144
; %bb.143:                              ;   in Loop: Header=BB67_141 Depth=1
	v_add_u32_e32 v0, s33, v4
	v_mad_u64_u32 v[0:1], s[16:17], v0, s44, v[10:11]
	s_cbranch_execnz .LBB67_139
	s_branch .LBB67_145
.LBB67_144:                             ;   in Loop: Header=BB67_141 Depth=1
                                        ; implicit-def: $vgpr0
.LBB67_145:                             ;   in Loop: Header=BB67_141 Depth=1
	v_add_u32_e32 v0, v2, v4
	s_branch .LBB67_139
.LBB67_146:
	s_or_b64 exec, exec, s[2:3]
	v_or_b32_e32 v0, v11, v10
	v_cmp_eq_u32_e64 s[0:1], 0, v0
.LBB67_147:
	s_and_saveexec_b64 s[2:3], s[0:1]
	s_cbranch_execnz .LBB67_155
.LBB67_148:
	s_endpgm
.LBB67_149:
	s_mov_b64 s[0:1], 0
	s_cbranch_execz .LBB67_147
; %bb.150:
	v_or_b32_e32 v0, v11, v10
	v_cmp_eq_u32_e32 vcc, 0, v0
	s_and_saveexec_b64 s[2:3], vcc
	s_cbranch_execz .LBB67_154
; %bb.151:
	v_mbcnt_lo_u32_b32 v0, exec_lo, 0
	v_mbcnt_hi_u32_b32 v0, exec_hi, v0
	v_cmp_eq_u32_e32 vcc, 0, v0
	s_and_saveexec_b64 s[4:5], vcc
	s_cbranch_execz .LBB67_153
; %bb.152:
	s_add_i32 s6, s20, s21
	v_mov_b32_e32 v0, 0
	v_mov_b32_e32 v1, s6
	global_atomic_smin v0, v1, s[14:15]
.LBB67_153:
	s_or_b64 exec, exec, s[4:5]
	s_or_b64 s[0:1], s[0:1], exec
.LBB67_154:
	s_or_b64 exec, exec, s[2:3]
	s_and_saveexec_b64 s[2:3], s[0:1]
	s_cbranch_execz .LBB67_148
.LBB67_155:
	s_add_u32 s0, s10, s12
	s_addc_u32 s1, s11, s13
	v_mov_b32_e32 v0, 0
	v_mov_b32_e32 v1, 1
	s_waitcnt vmcnt(0)
	global_store_dword v0, v1, s[0:1]
	s_endpgm
	.section	.rodata,"a",@progbits
	.p2align	6, 0x0
	.amdhsa_kernel _ZN9rocsparseL18bsric0_9_16_kernelILi64ELi32ELi16E21rocsparse_complex_numIdEEEv20rocsparse_direction_iiPKiS5_PT2_S5_PiS5_S8_21rocsparse_index_base_
		.amdhsa_group_segment_fixed_size 17792
		.amdhsa_private_segment_fixed_size 0
		.amdhsa_kernarg_size 76
		.amdhsa_user_sgpr_count 6
		.amdhsa_user_sgpr_private_segment_buffer 1
		.amdhsa_user_sgpr_dispatch_ptr 0
		.amdhsa_user_sgpr_queue_ptr 0
		.amdhsa_user_sgpr_kernarg_segment_ptr 1
		.amdhsa_user_sgpr_dispatch_id 0
		.amdhsa_user_sgpr_flat_scratch_init 0
		.amdhsa_user_sgpr_kernarg_preload_length 0
		.amdhsa_user_sgpr_kernarg_preload_offset 0
		.amdhsa_user_sgpr_private_segment_size 0
		.amdhsa_uses_dynamic_stack 0
		.amdhsa_system_sgpr_private_segment_wavefront_offset 0
		.amdhsa_system_sgpr_workgroup_id_x 1
		.amdhsa_system_sgpr_workgroup_id_y 0
		.amdhsa_system_sgpr_workgroup_id_z 0
		.amdhsa_system_sgpr_workgroup_info 0
		.amdhsa_system_vgpr_workitem_id 1
		.amdhsa_next_free_vgpr 70
		.amdhsa_next_free_sgpr 54
		.amdhsa_accum_offset 72
		.amdhsa_reserve_vcc 1
		.amdhsa_reserve_flat_scratch 0
		.amdhsa_float_round_mode_32 0
		.amdhsa_float_round_mode_16_64 0
		.amdhsa_float_denorm_mode_32 3
		.amdhsa_float_denorm_mode_16_64 3
		.amdhsa_dx10_clamp 1
		.amdhsa_ieee_mode 1
		.amdhsa_fp16_overflow 0
		.amdhsa_tg_split 0
		.amdhsa_exception_fp_ieee_invalid_op 0
		.amdhsa_exception_fp_denorm_src 0
		.amdhsa_exception_fp_ieee_div_zero 0
		.amdhsa_exception_fp_ieee_overflow 0
		.amdhsa_exception_fp_ieee_underflow 0
		.amdhsa_exception_fp_ieee_inexact 0
		.amdhsa_exception_int_div_zero 0
	.end_amdhsa_kernel
	.section	.text._ZN9rocsparseL18bsric0_9_16_kernelILi64ELi32ELi16E21rocsparse_complex_numIdEEEv20rocsparse_direction_iiPKiS5_PT2_S5_PiS5_S8_21rocsparse_index_base_,"axG",@progbits,_ZN9rocsparseL18bsric0_9_16_kernelILi64ELi32ELi16E21rocsparse_complex_numIdEEEv20rocsparse_direction_iiPKiS5_PT2_S5_PiS5_S8_21rocsparse_index_base_,comdat
.Lfunc_end67:
	.size	_ZN9rocsparseL18bsric0_9_16_kernelILi64ELi32ELi16E21rocsparse_complex_numIdEEEv20rocsparse_direction_iiPKiS5_PT2_S5_PiS5_S8_21rocsparse_index_base_, .Lfunc_end67-_ZN9rocsparseL18bsric0_9_16_kernelILi64ELi32ELi16E21rocsparse_complex_numIdEEEv20rocsparse_direction_iiPKiS5_PT2_S5_PiS5_S8_21rocsparse_index_base_
                                        ; -- End function
	.section	.AMDGPU.csdata,"",@progbits
; Kernel info:
; codeLenInByte = 6308
; NumSgprs: 58
; NumVgprs: 70
; NumAgprs: 0
; TotalNumVgprs: 70
; ScratchSize: 0
; MemoryBound: 1
; FloatMode: 240
; IeeeMode: 1
; LDSByteSize: 17792 bytes/workgroup (compile time only)
; SGPRBlocks: 7
; VGPRBlocks: 8
; NumSGPRsForWavesPerEU: 58
; NumVGPRsForWavesPerEU: 70
; AccumOffset: 72
; Occupancy: 1
; WaveLimiterHint : 1
; COMPUTE_PGM_RSRC2:SCRATCH_EN: 0
; COMPUTE_PGM_RSRC2:USER_SGPR: 6
; COMPUTE_PGM_RSRC2:TRAP_HANDLER: 0
; COMPUTE_PGM_RSRC2:TGID_X_EN: 1
; COMPUTE_PGM_RSRC2:TGID_Y_EN: 0
; COMPUTE_PGM_RSRC2:TGID_Z_EN: 0
; COMPUTE_PGM_RSRC2:TIDIG_COMP_CNT: 1
; COMPUTE_PGM_RSRC3_GFX90A:ACCUM_OFFSET: 17
; COMPUTE_PGM_RSRC3_GFX90A:TG_SPLIT: 0
	.section	.text._ZN9rocsparseL19bsric0_17_32_kernelILi64ELi32ELi32E21rocsparse_complex_numIdEEEv20rocsparse_direction_iiPKiS5_PT2_S5_PiS5_S8_21rocsparse_index_base_,"axG",@progbits,_ZN9rocsparseL19bsric0_17_32_kernelILi64ELi32ELi32E21rocsparse_complex_numIdEEEv20rocsparse_direction_iiPKiS5_PT2_S5_PiS5_S8_21rocsparse_index_base_,comdat
	.globl	_ZN9rocsparseL19bsric0_17_32_kernelILi64ELi32ELi32E21rocsparse_complex_numIdEEEv20rocsparse_direction_iiPKiS5_PT2_S5_PiS5_S8_21rocsparse_index_base_ ; -- Begin function _ZN9rocsparseL19bsric0_17_32_kernelILi64ELi32ELi32E21rocsparse_complex_numIdEEEv20rocsparse_direction_iiPKiS5_PT2_S5_PiS5_S8_21rocsparse_index_base_
	.p2align	8
	.type	_ZN9rocsparseL19bsric0_17_32_kernelILi64ELi32ELi32E21rocsparse_complex_numIdEEEv20rocsparse_direction_iiPKiS5_PT2_S5_PiS5_S8_21rocsparse_index_base_,@function
_ZN9rocsparseL19bsric0_17_32_kernelILi64ELi32ELi32E21rocsparse_complex_numIdEEEv20rocsparse_direction_iiPKiS5_PT2_S5_PiS5_S8_21rocsparse_index_base_: ; @_ZN9rocsparseL19bsric0_17_32_kernelILi64ELi32ELi32E21rocsparse_complex_numIdEEEv20rocsparse_direction_iiPKiS5_PT2_S5_PiS5_S8_21rocsparse_index_base_
; %bb.0:
	s_load_dwordx8 s[8:15], s[4:5], 0x28
	s_mov_b32 s7, 0
	s_lshl_b64 s[0:1], s[6:7], 2
	v_and_b32_e32 v11, 0x3ff, v0
	v_bfe_u32 v10, v0, 10, 10
	s_waitcnt lgkmcnt(0)
	s_add_u32 s0, s12, s0
	s_addc_u32 s1, s13, s1
	s_load_dword s20, s[0:1], 0x0
	s_waitcnt lgkmcnt(0)
	s_ashr_i32 s21, s20, 31
	s_lshl_b64 s[12:13], s[20:21], 2
	s_add_u32 s0, s8, s12
	s_addc_u32 s1, s9, s13
	s_load_dword s33, s[0:1], 0x0
	s_load_dword s21, s[4:5], 0x48
	s_waitcnt lgkmcnt(0)
	s_cmp_lg_u32 s33, -1
	s_cbranch_scc0 .LBB68_137
; %bb.1:
	s_load_dwordx4 s[16:19], s[4:5], 0x10
	v_lshlrev_b32_e32 v1, 1, v10
	v_add_u32_e32 v2, v1, v11
	s_waitcnt lgkmcnt(0)
	s_add_u32 s0, s16, s12
	s_addc_u32 s1, s17, s13
	s_load_dword s28, s[0:1], 0x0
	s_waitcnt lgkmcnt(0)
	s_sub_i32 s47, s28, s21
	v_add_u32_e32 v0, s47, v2
	v_cmp_ge_i32_e32 vcc, s33, v0
	s_and_saveexec_b64 s[2:3], vcc
	s_cbranch_execz .LBB68_16
; %bb.2:
	v_add_u32_e32 v2, s28, v2
	v_subrev_u32_e32 v2, s21, v2
	v_add_u32_e32 v2, 64, v2
	s_add_i32 s0, s33, 1
	v_max_i32_e32 v2, s0, v2
	v_not_b32_e32 v3, v11
	v_add3_u32 v2, v2, s21, v3
	v_add_u32_e32 v1, s28, v1
	v_sub_u32_e32 v1, v2, v1
	s_movk_i32 s0, 0x640
	v_cmp_gt_u32_e32 vcc, s0, v1
	s_movk_i32 s0, 0x63f
	v_cmp_lt_u32_e64 s[0:1], s0, v1
	s_and_saveexec_b64 s[6:7], s[0:1]
	s_cbranch_execz .LBB68_13
; %bb.3:
	v_and_b32_e32 v2, 0xffffffc0, v1
	v_add_u32_e32 v2, v0, v2
	v_cmp_ge_i32_e64 s[0:1], v2, v0
	s_mov_b64 s[24:25], -1
	s_and_saveexec_b64 s[22:23], s[0:1]
	s_cbranch_execz .LBB68_12
; %bb.4:
	v_lshrrev_b32_e32 v14, 6, v1
	v_add_u32_e32 v2, -1, v14
	v_add_u32_e32 v1, 64, v0
	v_lshrrev_b32_e32 v3, 1, v2
	v_add_u32_e32 v15, 1, v3
	v_cmp_lt_u32_e64 s[0:1], 13, v2
	v_pk_mov_b32 v[2:3], v[0:1], v[0:1] op_sel:[0,1]
	s_and_saveexec_b64 s[24:25], s[0:1]
	s_cbranch_execz .LBB68_8
; %bb.5:
	v_and_b32_e32 v16, -8, v15
	s_mov_b64 s[26:27], 0
	v_mov_b32_e32 v17, s19
	v_pk_mov_b32 v[2:3], v[0:1], v[0:1] op_sel:[0,1]
.LBB68_6:                               ; =>This Inner Loop Header: Depth=1
	v_ashrrev_i32_e32 v21, 31, v2
	v_mov_b32_e32 v20, v2
	v_lshlrev_b64 v[20:21], 2, v[20:21]
	v_ashrrev_i32_e32 v19, 31, v3
	v_mov_b32_e32 v18, v3
	v_add_co_u32_e64 v20, s[0:1], s18, v20
	v_add_u32_e32 v4, 0x80, v2
	v_lshlrev_b64 v[18:19], 2, v[18:19]
	v_addc_co_u32_e64 v21, s[0:1], v17, v21, s[0:1]
	v_ashrrev_i32_e32 v5, 31, v4
	v_add_co_u32_e64 v18, s[0:1], s18, v18
	v_add_u32_e32 v6, 0x80, v3
	v_addc_co_u32_e64 v19, s[0:1], v17, v19, s[0:1]
	v_lshlrev_b64 v[42:43], 2, v[4:5]
	v_ashrrev_i32_e32 v7, 31, v6
	global_load_dword v1, v[20:21], off
	global_load_dword v5, v[18:19], off
	v_add_co_u32_e64 v18, s[0:1], s18, v42
	v_add_u32_e32 v8, 0x100, v2
	v_lshlrev_b64 v[44:45], 2, v[6:7]
	v_addc_co_u32_e64 v19, s[0:1], v17, v43, s[0:1]
	v_ashrrev_i32_e32 v9, 31, v8
	v_add_co_u32_e64 v20, s[0:1], s18, v44
	v_add_u32_e32 v12, 0x100, v3
	v_lshlrev_b64 v[46:47], 2, v[8:9]
	v_addc_co_u32_e64 v21, s[0:1], v17, v45, s[0:1]
	v_ashrrev_i32_e32 v13, 31, v12
	;; [unrolled: 5-line block ×12, first 2 shown]
	v_add_co_u32_e64 v62, s[0:1], s18, v66
	v_lshlrev_b64 v[68:69], 2, v[40:41]
	v_addc_co_u32_e64 v63, s[0:1], v17, v67, s[0:1]
	v_add_co_u32_e64 v64, s[0:1], s18, v68
	v_addc_co_u32_e64 v65, s[0:1], v17, v69, s[0:1]
	global_load_dword v7, v[20:21], off
	global_load_dword v9, v[18:19], off
	;; [unrolled: 1-line block ×14, first 2 shown]
	v_subrev_u32_e32 v19, s47, v2
	v_add_u32_e32 v16, -8, v16
	v_subrev_u32_e32 v18, s47, v3
	v_lshlrev_b32_e32 v19, 2, v19
	v_subrev_u32_e32 v4, s47, v4
	v_cmp_eq_u32_e64 s[0:1], 0, v16
	s_waitcnt vmcnt(14)
	v_subrev_u32_e32 v5, s21, v5
	v_subrev_u32_e32 v1, s21, v1
	v_add_u32_e32 v3, 0x400, v3
	v_add_u32_e32 v2, 0x400, v2
	v_lshlrev_b32_e32 v18, 2, v18
	v_subrev_u32_e32 v6, s47, v6
	v_subrev_u32_e32 v12, s47, v12
	;; [unrolled: 1-line block ×13, first 2 shown]
	v_lshlrev_b32_e32 v4, 2, v4
	s_or_b64 s[26:27], s[0:1], s[26:27]
	ds_write_b32 v19, v1 offset:50944
	ds_write_b32 v18, v5 offset:50944
	v_lshlrev_b32_e32 v6, 2, v6
	v_lshlrev_b32_e32 v8, 2, v8
	;; [unrolled: 1-line block ×13, first 2 shown]
	s_waitcnt vmcnt(13)
	v_subrev_u32_e32 v1, s21, v7
	s_waitcnt vmcnt(12)
	v_subrev_u32_e32 v5, s21, v9
	s_waitcnt vmcnt(11)
	v_subrev_u32_e32 v7, s21, v13
	s_waitcnt vmcnt(10)
	v_subrev_u32_e32 v9, s21, v23
	s_waitcnt vmcnt(9)
	v_subrev_u32_e32 v13, s21, v25
	s_waitcnt vmcnt(8)
	v_subrev_u32_e32 v18, s21, v27
	s_waitcnt vmcnt(7)
	v_subrev_u32_e32 v19, s21, v29
	s_waitcnt vmcnt(6)
	v_subrev_u32_e32 v23, s21, v31
	s_waitcnt vmcnt(5)
	v_subrev_u32_e32 v25, s21, v33
	s_waitcnt vmcnt(4)
	v_subrev_u32_e32 v27, s21, v35
	s_waitcnt vmcnt(3)
	v_subrev_u32_e32 v29, s21, v37
	s_waitcnt vmcnt(2)
	v_subrev_u32_e32 v31, s21, v39
	s_waitcnt vmcnt(1)
	v_subrev_u32_e32 v33, s21, v41
	s_waitcnt vmcnt(0)
	v_subrev_u32_e32 v35, s21, v66
	ds_write_b32 v4, v5 offset:50944
	ds_write_b32 v6, v1 offset:50944
	;; [unrolled: 1-line block ×14, first 2 shown]
	s_andn2_b64 exec, exec, s[26:27]
	s_cbranch_execnz .LBB68_6
; %bb.7:
	s_or_b64 exec, exec, s[26:27]
.LBB68_8:
	s_or_b64 exec, exec, s[24:25]
	v_and_b32_e32 v1, 7, v15
	v_cmp_ne_u32_e64 s[0:1], 0, v1
	s_and_saveexec_b64 s[24:25], s[0:1]
	s_cbranch_execz .LBB68_11
; %bb.9:
	s_mov_b64 s[26:27], 0
	v_mov_b32_e32 v4, s19
.LBB68_10:                              ; =>This Inner Loop Header: Depth=1
	v_ashrrev_i32_e32 v9, 31, v2
	v_mov_b32_e32 v8, v2
	v_lshlrev_b64 v[8:9], 2, v[8:9]
	v_ashrrev_i32_e32 v7, 31, v3
	v_mov_b32_e32 v6, v3
	v_add_co_u32_e64 v8, s[0:1], s18, v8
	v_lshlrev_b64 v[6:7], 2, v[6:7]
	v_addc_co_u32_e64 v9, s[0:1], v4, v9, s[0:1]
	v_add_co_u32_e64 v6, s[0:1], s18, v6
	v_addc_co_u32_e64 v7, s[0:1], v4, v7, s[0:1]
	global_load_dword v5, v[6:7], off
	global_load_dword v12, v[8:9], off
	v_add_u32_e32 v1, -1, v1
	v_subrev_u32_e32 v7, s47, v2
	v_cmp_eq_u32_e64 s[0:1], 0, v1
	v_subrev_u32_e32 v6, s47, v3
	v_add_u32_e32 v3, 0x80, v3
	v_add_u32_e32 v2, 0x80, v2
	v_lshlrev_b32_e32 v7, 2, v7
	s_or_b64 s[26:27], s[0:1], s[26:27]
	v_lshlrev_b32_e32 v6, 2, v6
	s_waitcnt vmcnt(1)
	v_subrev_u32_e32 v5, s21, v5
	s_waitcnt vmcnt(0)
	v_subrev_u32_e32 v8, s21, v12
	ds_write_b32 v7, v8 offset:50944
	ds_write_b32 v6, v5 offset:50944
	s_andn2_b64 exec, exec, s[26:27]
	s_cbranch_execnz .LBB68_10
.LBB68_11:
	s_or_b64 exec, exec, s[24:25]
	v_add_u32_e32 v1, 1, v14
	v_and_b32_e32 v2, 0x7fffffe, v1
	v_cmp_ne_u32_e64 s[0:1], v1, v2
	v_lshl_add_u32 v0, v2, 6, v0
	s_orn2_b64 s[24:25], s[0:1], exec
.LBB68_12:
	s_or_b64 exec, exec, s[22:23]
	s_andn2_b64 s[0:1], vcc, exec
	s_and_b64 s[22:23], s[24:25], exec
	s_or_b64 vcc, s[0:1], s[22:23]
.LBB68_13:
	s_or_b64 exec, exec, s[6:7]
	s_and_b64 exec, exec, vcc
	s_cbranch_execz .LBB68_16
; %bb.14:
	v_add_u32_e32 v1, s21, v0
	v_subrev_u32_e32 v1, s28, v1
	v_mov_b32_e32 v2, 0xc700
	v_lshl_add_u32 v2, v1, 2, v2
	s_mov_b64 s[0:1], 0
	v_mov_b32_e32 v3, s19
.LBB68_15:                              ; =>This Inner Loop Header: Depth=1
	v_ashrrev_i32_e32 v1, 31, v0
	v_lshlrev_b64 v[4:5], 2, v[0:1]
	v_add_co_u32_e32 v4, vcc, s18, v4
	v_addc_co_u32_e32 v5, vcc, v3, v5, vcc
	global_load_dword v1, v[4:5], off
	v_add_u32_e32 v0, 64, v0
	v_cmp_lt_i32_e32 vcc, s33, v0
	s_or_b64 s[0:1], vcc, s[0:1]
	s_waitcnt vmcnt(0)
	v_subrev_u32_e32 v1, s21, v1
	ds_write_b32 v2, v1
	v_add_u32_e32 v2, 0x100, v2
	s_andn2_b64 exec, exec, s[0:1]
	s_cbranch_execnz .LBB68_15
.LBB68_16:
	s_or_b64 exec, exec, s[2:3]
	s_load_dwordx2 s[22:23], s[4:5], 0x20
	v_cmp_gt_u32_e32 vcc, 32, v11
	v_lshlrev_b32_e32 v22, 4, v11
	s_and_saveexec_b64 s[0:1], vcc
	s_cbranch_execz .LBB68_19
; %bb.17:
	v_mul_u32_u24_e32 v0, 0x210, v10
	s_mov_b32 s2, 0x8400
	v_add3_u32 v5, v0, v22, s2
	v_mov_b32_e32 v0, 0
	v_add_u32_e32 v4, -2, v11
	s_mov_b64 s[2:3], 0
	v_mov_b32_e32 v1, v0
	v_mov_b32_e32 v2, v0
	;; [unrolled: 1-line block ×3, first 2 shown]
.LBB68_18:                              ; =>This Inner Loop Header: Depth=1
	v_add_u32_e32 v4, 2, v4
	v_cmp_lt_u32_e32 vcc, 29, v4
	ds_write_b128 v5, v[0:3]
	s_or_b64 s[2:3], vcc, s[2:3]
	v_add_u32_e32 v5, 32, v5
	s_andn2_b64 exec, exec, s[2:3]
	s_cbranch_execnz .LBB68_18
.LBB68_19:
	s_or_b64 exec, exec, s[0:1]
	s_load_dword s46, s[4:5], 0x8
	s_load_dword s48, s[4:5], 0x0
	s_cmp_ge_i32 s47, s33
	s_waitcnt lgkmcnt(0)
	v_cmp_gt_i32_e64 s[0:1], s46, v11
	s_cbranch_scc1 .LBB68_92
; %bb.20:
	s_cmp_eq_u32 s48, 0
	v_or_b32_e32 v0, v11, v10
	s_mul_i32 s6, s46, s47
	s_cselect_b64 s[24:25], -1, 0
	s_cmp_lg_u32 s48, 0
	v_cmp_ne_u32_e64 s[4:5], 0, v0
	s_movk_i32 s50, 0x210
	v_add_u32_e32 v0, s6, v10
	s_cselect_b64 s[26:27], -1, 0
	s_cmp_gt_i32 s46, 0
	v_mad_u32_u24 v24, v10, s50, v22
	v_mul_lo_u32 v26, s46, v0
	v_mov_b32_e32 v0, 0x4200
	s_mul_i32 s49, s46, s46
	v_cmp_gt_i32_e64 s[2:3], s46, v10
	v_mul_lo_u32 v23, v10, s46
	v_mul_lo_u32 v25, v11, s46
	s_cselect_b64 s[28:29], -1, 0
	s_lshl_b32 s51, s46, 1
	v_mad_u32_u24 v27, v10, s50, v0
	v_mad_u32_u24 v28, v11, s50, v0
	v_add_u32_e32 v29, 0x8400, v24
	v_add_u32_e32 v30, 0x4200, v24
	v_mov_b32_e32 v0, 0
	v_mul_u32_u24_e32 v31, 0x210, v10
	v_mov_b32_e32 v32, 0x3ff00000
	s_mov_b32 s30, s47
	s_branch .LBB68_22
.LBB68_21:                              ;   in Loop: Header=BB68_22 Depth=1
	s_or_b64 exec, exec, s[6:7]
	s_add_i32 s30, s30, 1
	s_cmp_ge_i32 s30, s33
	s_waitcnt vmcnt(0)
	buffer_wbinvl1_vol
	v_add_u32_e32 v26, s49, v26
	s_cselect_b64 s[6:7], -1, 0
	s_and_b64 vcc, exec, s[6:7]
	s_cbranch_vccnz .LBB68_92
.LBB68_22:                              ; =>This Loop Header: Depth=1
                                        ;     Child Loop BB68_26 Depth 2
                                        ;     Child Loop BB68_39 Depth 2
	;; [unrolled: 1-line block ×4, first 2 shown]
                                        ;       Child Loop BB68_57 Depth 3
                                        ;     Child Loop BB68_70 Depth 2
                                        ;       Child Loop BB68_77 Depth 3
                                        ;       Child Loop BB68_81 Depth 3
                                        ;     Child Loop BB68_86 Depth 2
	s_ashr_i32 s31, s30, 31
	s_lshl_b64 s[6:7], s[30:31], 2
	s_add_u32 s6, s18, s6
	s_addc_u32 s7, s19, s7
	s_load_dword s52, s[6:7], 0x0
	s_waitcnt lgkmcnt(0)
	s_sub_i32 s34, s52, s21
	s_ashr_i32 s35, s34, 31
	s_lshl_b64 s[6:7], s[34:35], 2
	s_add_u32 s36, s8, s6
	s_addc_u32 s37, s9, s7
	s_load_dword s53, s[36:37], 0x0
	s_waitcnt lgkmcnt(0)
	s_cmp_eq_u32 s53, -1
	s_cbranch_scc1 .LBB68_91
; %bb.23:                               ;   in Loop: Header=BB68_22 Depth=1
	s_add_u32 s36, s16, s6
	s_addc_u32 s37, s17, s7
	s_load_dword s35, s[36:37], 0x0
	s_mul_i32 s31, s30, s46
	s_and_saveexec_b64 s[36:37], s[0:1]
	s_cbranch_execz .LBB68_36
; %bb.24:                               ;   in Loop: Header=BB68_22 Depth=1
	s_mov_b64 s[38:39], 0
	v_mov_b32_e32 v8, v24
	v_mov_b32_e32 v9, v11
	s_branch .LBB68_26
.LBB68_25:                              ;   in Loop: Header=BB68_26 Depth=2
	s_or_b64 exec, exec, s[42:43]
	v_add_u32_e32 v9, 2, v9
	s_waitcnt vmcnt(0)
	ds_write_b128 v8, v[2:5] offset:16896
	v_mov_b32_e32 v1, v0
	v_mov_b32_e32 v2, v0
	;; [unrolled: 1-line block ×3, first 2 shown]
	v_cmp_le_i32_e32 vcc, s46, v9
	ds_write_b128 v8, v[0:3]
	s_or_b64 s[38:39], vcc, s[38:39]
	v_add_u32_e32 v8, 32, v8
	s_andn2_b64 exec, exec, s[38:39]
	s_cbranch_execz .LBB68_36
.LBB68_26:                              ;   Parent Loop BB68_22 Depth=1
                                        ; =>  This Inner Loop Header: Depth=2
	s_and_b64 vcc, exec, s[26:27]
	s_cbranch_vccz .LBB68_30
; %bb.27:                               ;   in Loop: Header=BB68_26 Depth=2
	s_mov_b64 s[42:43], 0
	s_mov_b64 s[40:41], 0
                                        ; implicit-def: $vgpr6
	s_and_saveexec_b64 s[44:45], s[2:3]
	s_xor_b64 s[44:45], exec, s[44:45]
; %bb.28:                               ;   in Loop: Header=BB68_26 Depth=2
	v_add_u32_e32 v1, s31, v9
	s_mov_b64 s[40:41], exec
	v_mad_u64_u32 v[6:7], s[54:55], v1, s46, v[10:11]
; %bb.29:                               ;   in Loop: Header=BB68_26 Depth=2
	s_or_b64 exec, exec, s[44:45]
	s_and_b64 vcc, exec, s[42:43]
	s_cbranch_vccnz .LBB68_31
	s_branch .LBB68_34
.LBB68_30:                              ;   in Loop: Header=BB68_26 Depth=2
	s_mov_b64 s[42:43], -1
	s_mov_b64 s[40:41], 0
                                        ; implicit-def: $vgpr6
	s_cbranch_execz .LBB68_34
.LBB68_31:                              ;   in Loop: Header=BB68_26 Depth=2
                                        ; implicit-def: $vgpr6
	s_and_saveexec_b64 s[42:43], s[2:3]
; %bb.32:                               ;   in Loop: Header=BB68_26 Depth=2
	v_add_u32_e32 v6, v26, v9
	s_or_b64 s[40:41], s[40:41], exec
; %bb.33:                               ;   in Loop: Header=BB68_26 Depth=2
	s_or_b64 exec, exec, s[42:43]
	s_mov_b64 s[42:43], 0
.LBB68_34:                              ;   in Loop: Header=BB68_26 Depth=2
	v_pk_mov_b32 v[2:3], s[42:43], s[42:43] op_sel:[0,1]
	v_pk_mov_b32 v[4:5], s[42:43], s[42:43] op_sel:[0,1]
	s_and_saveexec_b64 s[42:43], s[40:41]
	s_cbranch_execz .LBB68_25
; %bb.35:                               ;   in Loop: Header=BB68_26 Depth=2
	v_ashrrev_i32_e32 v7, 31, v6
	v_lshlrev_b64 v[2:3], 4, v[6:7]
	v_mov_b32_e32 v1, s23
	v_add_co_u32_e32 v2, vcc, s22, v2
	v_addc_co_u32_e32 v3, vcc, v1, v3, vcc
	global_load_dwordx4 v[2:5], v[2:3], off
	s_branch .LBB68_25
.LBB68_36:                              ;   in Loop: Header=BB68_22 Depth=1
	s_or_b64 exec, exec, s[36:37]
; %bb.37:                               ;   in Loop: Header=BB68_22 Depth=1
	ds_read_b32 v1, v0 offset:50944
	s_waitcnt lgkmcnt(0)
	s_sub_i32 s36, s35, s21
	s_cmp_le_i32 s36, s53
	s_cselect_b64 s[38:39], -1, 0
	s_mov_b32 s37, 0
	v_cmp_ge_i32_e32 vcc, s34, v1
	s_and_b64 s[38:39], s[38:39], vcc
	s_andn2_b64 vcc, exec, s[38:39]
	s_cbranch_vccnz .LBB68_49
; %bb.38:                               ;   in Loop: Header=BB68_22 Depth=1
	s_mov_b32 s35, 0
	s_mov_b32 s40, 0
.LBB68_39:                              ;   Parent Loop BB68_22 Depth=1
                                        ; =>  This Inner Loop Header: Depth=2
	s_ashr_i32 s37, s36, 31
	s_lshl_b64 s[38:39], s[36:37], 2
	s_add_u32 s38, s18, s38
	s_addc_u32 s39, s19, s39
	s_load_dword s37, s[38:39], 0x0
	s_lshl_b32 s38, s40, 2
	v_mov_b32_e32 v1, s38
	ds_read_b32 v1, v1 offset:50944
	s_mov_b64 s[38:39], -1
	s_waitcnt lgkmcnt(0)
	s_sub_i32 s44, s37, s21
                                        ; implicit-def: $sgpr37
                                        ; implicit-def: $sgpr43
                                        ; implicit-def: $sgpr42
	v_cmp_ge_i32_e32 vcc, s44, v1
	v_readfirstlane_b32 s41, v1
	s_cbranch_vccz .LBB68_45
; %bb.40:                               ;   in Loop: Header=BB68_39 Depth=2
	s_cmp_le_i32 s44, s41
                                        ; implicit-def: $sgpr37
                                        ; implicit-def: $sgpr43
                                        ; implicit-def: $sgpr42
	s_cbranch_scc0 .LBB68_42
; %bb.41:                               ;   in Loop: Header=BB68_39 Depth=2
	s_add_i32 s37, s40, s47
	s_mul_i32 s37, s37, s49
	s_lshl_b32 s38, s35, 2
	v_mov_b32_e32 v1, s38
	v_mov_b32_e32 v2, s37
	s_mul_i32 s37, s36, s49
	v_mov_b32_e32 v3, s37
	v_add_u32_e32 v1, 0xc400, v1
	ds_write2_b32 v1, v3, v2 offset0:128 offset1:160
	s_add_i32 s42, s40, 1
	s_add_i32 s43, s36, 1
	;; [unrolled: 1-line block ×3, first 2 shown]
	s_mov_b64 s[38:39], 0
.LBB68_42:                              ;   in Loop: Header=BB68_39 Depth=2
	s_andn2_b64 vcc, exec, s[38:39]
	s_cbranch_vccnz .LBB68_44
; %bb.43:                               ;   in Loop: Header=BB68_39 Depth=2
	s_add_i32 s42, s40, 1
	s_mov_b32 s37, s35
	s_mov_b32 s43, s36
.LBB68_44:                              ;   in Loop: Header=BB68_39 Depth=2
	s_mov_b64 s[38:39], 0
.LBB68_45:                              ;   in Loop: Header=BB68_39 Depth=2
	s_andn2_b64 vcc, exec, s[38:39]
	s_cbranch_vccnz .LBB68_47
; %bb.46:                               ;   in Loop: Header=BB68_39 Depth=2
	s_add_i32 s43, s36, 1
	s_mov_b32 s42, s40
	s_mov_b32 s37, s35
.LBB68_47:                              ;   in Loop: Header=BB68_39 Depth=2
	s_cmp_le_i32 s43, s53
	s_cselect_b64 s[38:39], -1, 0
	s_cmp_le_i32 s41, s34
	s_cselect_b64 s[40:41], -1, 0
	s_and_b64 s[38:39], s[38:39], s[40:41]
	s_and_b64 vcc, exec, s[38:39]
	s_cbranch_vccz .LBB68_49
; %bb.48:                               ;   in Loop: Header=BB68_39 Depth=2
	s_mov_b32 s35, s37
	s_mov_b32 s36, s43
	;; [unrolled: 1-line block ×3, first 2 shown]
	s_branch .LBB68_39
.LBB68_49:                              ;   in Loop: Header=BB68_22 Depth=1
	s_add_u32 s6, s10, s6
	s_addc_u32 s7, s11, s7
	s_waitcnt lgkmcnt(0)
.LBB68_50:                              ;   Parent Loop BB68_22 Depth=1
                                        ; =>  This Inner Loop Header: Depth=2
	global_load_dword v1, v0, s[6:7] glc
	s_waitcnt vmcnt(0)
	v_cmp_eq_u32_e32 vcc, 0, v1
	s_cbranch_vccnz .LBB68_50
; %bb.51:                               ;   in Loop: Header=BB68_22 Depth=1
	s_cmp_lt_i32 s37, 2
	buffer_wbinvl1_vol
	s_cbranch_scc1 .LBB68_67
; %bb.52:                               ;   in Loop: Header=BB68_22 Depth=1
	s_add_i32 s40, s37, -2
	s_mov_b32 s41, 0
	s_branch .LBB68_54
.LBB68_53:                              ;   in Loop: Header=BB68_54 Depth=2
	s_or_b64 exec, exec, s[6:7]
	s_add_i32 s6, s41, 1
	s_cmp_eq_u32 s41, s40
	s_mov_b32 s41, s6
	s_cbranch_scc1 .LBB68_67
.LBB68_54:                              ;   Parent Loop BB68_22 Depth=1
                                        ; =>  This Loop Header: Depth=2
                                        ;       Child Loop BB68_57 Depth 3
	s_and_saveexec_b64 s[6:7], s[0:1]
	s_cbranch_execz .LBB68_53
; %bb.55:                               ;   in Loop: Header=BB68_54 Depth=2
	s_lshl_b32 s34, s41, 2
	v_mov_b32_e32 v1, s34
	v_add_u32_e32 v1, 0xc400, v1
	ds_read2_b32 v[2:3], v1 offset0:128 offset1:160
	s_mov_b64 s[34:35], 0
	v_mov_b32_e32 v36, v11
	s_waitcnt lgkmcnt(0)
	v_add_u32_e32 v1, v3, v23
	v_add_u32_e32 v33, v10, v3
	;; [unrolled: 1-line block ×4, first 2 shown]
	s_branch .LBB68_57
.LBB68_56:                              ;   in Loop: Header=BB68_57 Depth=3
	v_lshlrev_b32_e32 v4, 4, v36
	v_mad_u32_u24 v8, v10, s50, v4
	ds_read_b128 v[4:7], v8
	v_add_u32_e32 v36, 2, v36
	v_cmp_le_i32_e32 vcc, s46, v36
	v_add_u32_e32 v34, 2, v34
	s_or_b64 s[34:35], vcc, s[34:35]
	s_waitcnt lgkmcnt(0)
	v_add_f64 v[4:5], v[20:21], v[4:5]
	v_add_f64 v[6:7], v[2:3], v[6:7]
	v_add_u32_e32 v35, s51, v35
	ds_write_b128 v8, v[4:7]
	s_andn2_b64 exec, exec, s[34:35]
	s_cbranch_execz .LBB68_53
.LBB68_57:                              ;   Parent Loop BB68_22 Depth=1
                                        ;     Parent Loop BB68_54 Depth=2
                                        ; =>    This Inner Loop Header: Depth=3
	v_pk_mov_b32 v[16:17], 0, 0
	s_mov_b32 s42, 0
	v_mov_b32_e32 v12, v34
	v_mov_b32_e32 v14, v33
	v_pk_mov_b32 v[18:19], v[16:17], v[16:17] op_sel:[0,1]
	s_and_b64 vcc, exec, s[26:27]
	s_cbranch_vccz .LBB68_61
.LBB68_58:                              ;   in Loop: Header=BB68_57 Depth=3
	v_ashrrev_i32_e32 v13, 31, v12
	v_lshlrev_b64 v[2:3], 4, v[12:13]
	v_mov_b32_e32 v4, s23
	v_add_co_u32_e32 v2, vcc, s22, v2
	v_addc_co_u32_e32 v3, vcc, v4, v3, vcc
	global_load_dwordx4 v[2:5], v[2:3], off
	v_pk_mov_b32 v[6:7], 0, 0
	s_mov_b64 s[36:37], 0
	v_pk_mov_b32 v[8:9], v[6:7], v[6:7] op_sel:[0,1]
	s_and_saveexec_b64 s[38:39], s[2:3]
	s_cbranch_execz .LBB68_60
; %bb.59:                               ;   in Loop: Header=BB68_57 Depth=3
	v_ashrrev_i32_e32 v15, 31, v14
	v_lshlrev_b64 v[6:7], 4, v[14:15]
	v_mov_b32_e32 v8, s23
	v_add_co_u32_e32 v6, vcc, s22, v6
	v_addc_co_u32_e32 v7, vcc, v8, v7, vcc
	global_load_dwordx4 v[6:9], v[6:7], off
.LBB68_60:                              ;   in Loop: Header=BB68_57 Depth=3
	s_or_b64 exec, exec, s[38:39]
	s_waitcnt vmcnt(0)
	v_fma_f64 v[20:21], v[2:3], v[6:7], v[18:19]
	v_fmac_f64_e32 v[20:21], v[4:5], v[8:9]
	v_fma_f64 v[4:5], v[4:5], v[6:7], v[16:17]
	v_fma_f64 v[2:3], v[2:3], -v[8:9], v[4:5]
	s_and_b64 vcc, exec, s[36:37]
	s_cbranch_vccnz .LBB68_62
	s_branch .LBB68_65
.LBB68_61:                              ;   in Loop: Header=BB68_57 Depth=3
                                        ; implicit-def: $vgpr2_vgpr3
                                        ; implicit-def: $vgpr20_vgpr21
	s_cbranch_execz .LBB68_65
.LBB68_62:                              ;   in Loop: Header=BB68_57 Depth=3
	v_add_u32_e32 v2, s42, v35
	v_ashrrev_i32_e32 v3, 31, v2
	v_lshlrev_b64 v[2:3], 4, v[2:3]
	v_mov_b32_e32 v4, s23
	v_add_co_u32_e32 v2, vcc, s22, v2
	v_addc_co_u32_e32 v3, vcc, v4, v3, vcc
	global_load_dwordx4 v[2:5], v[2:3], off
	v_pk_mov_b32 v[6:7], 0, 0
	v_pk_mov_b32 v[8:9], v[6:7], v[6:7] op_sel:[0,1]
	s_and_saveexec_b64 s[36:37], s[2:3]
	s_cbranch_execz .LBB68_64
; %bb.63:                               ;   in Loop: Header=BB68_57 Depth=3
	v_add_u32_e32 v6, s42, v1
	v_ashrrev_i32_e32 v7, 31, v6
	v_lshlrev_b64 v[6:7], 4, v[6:7]
	v_mov_b32_e32 v8, s23
	v_add_co_u32_e32 v6, vcc, s22, v6
	v_addc_co_u32_e32 v7, vcc, v8, v7, vcc
	global_load_dwordx4 v[6:9], v[6:7], off
.LBB68_64:                              ;   in Loop: Header=BB68_57 Depth=3
	s_or_b64 exec, exec, s[36:37]
	s_waitcnt vmcnt(0)
	v_fmac_f64_e32 v[18:19], v[2:3], v[6:7]
	v_fmac_f64_e32 v[18:19], v[4:5], v[8:9]
	;; [unrolled: 1-line block ×3, first 2 shown]
	v_fma_f64 v[2:3], v[2:3], -v[8:9], v[16:17]
	v_pk_mov_b32 v[20:21], v[18:19], v[18:19] op_sel:[0,1]
.LBB68_65:                              ;   in Loop: Header=BB68_57 Depth=3
	s_add_i32 s42, s42, 1
	v_add_u32_e32 v14, s46, v14
	s_cmp_eq_u32 s46, s42
	v_add_u32_e32 v12, s46, v12
	s_cbranch_scc1 .LBB68_56
; %bb.66:                               ;   in Loop: Header=BB68_57 Depth=3
	v_pk_mov_b32 v[16:17], v[2:3], v[2:3] op_sel:[0,1]
	v_pk_mov_b32 v[18:19], v[20:21], v[20:21] op_sel:[0,1]
	s_and_b64 vcc, exec, s[26:27]
	s_cbranch_vccz .LBB68_61
	s_branch .LBB68_58
.LBB68_67:                              ;   in Loop: Header=BB68_22 Depth=1
	s_andn2_b64 vcc, exec, s[28:29]
	s_waitcnt lgkmcnt(0)
	s_cbranch_vccnz .LBB68_82
; %bb.68:                               ;   in Loop: Header=BB68_22 Depth=1
	s_mul_i32 s36, s49, s53
	s_mov_b32 s37, 0
	v_mov_b32_e32 v1, v28
	s_mov_b32 s38, s36
	s_branch .LBB68_70
.LBB68_69:                              ;   in Loop: Header=BB68_70 Depth=2
	s_or_b64 exec, exec, s[6:7]
	s_add_i32 s37, s37, 1
	s_add_i32 s38, s38, 1
	s_cmp_eq_u32 s37, s46
	v_add_u32_e32 v1, 16, v1
	s_waitcnt lgkmcnt(0)
	s_cbranch_scc1 .LBB68_82
.LBB68_70:                              ;   Parent Loop BB68_22 Depth=1
                                        ; =>  This Loop Header: Depth=2
                                        ;       Child Loop BB68_77 Depth 3
                                        ;       Child Loop BB68_81 Depth 3
	s_mul_i32 s39, s37, s46
	s_add_i32 s39, s39, s36
	s_add_i32 s6, s39, s37
	s_ashr_i32 s7, s6, 31
	s_lshl_b64 s[6:7], s[6:7], 4
	s_add_u32 s6, s22, s6
	s_addc_u32 s7, s23, s7
	global_load_dwordx4 v[6:9], v0, s[6:7]
	v_lshl_add_u32 v16, s37, 4, v31
	ds_read_b128 v[2:5], v16 offset:16896
	s_waitcnt vmcnt(0)
	v_cmp_neq_f64_e32 vcc, 0, v[6:7]
	v_cmp_neq_f64_e64 s[6:7], 0, v[8:9]
	s_or_b64 vcc, vcc, s[6:7]
	s_or_b64 s[6:7], vcc, s[4:5]
	v_cndmask_b32_e32 v13, v32, v7, vcc
	v_cndmask_b32_e32 v12, 0, v6, vcc
	;; [unrolled: 1-line block ×3, first 2 shown]
	s_xor_b64 s[34:35], s[6:7], -1
	v_cndmask_b32_e32 v14, 0, v8, vcc
	s_and_saveexec_b64 s[6:7], s[34:35]
	s_cbranch_execz .LBB68_74
; %bb.71:                               ;   in Loop: Header=BB68_70 Depth=2
	v_mbcnt_lo_u32_b32 v6, exec_lo, 0
	v_mbcnt_hi_u32_b32 v6, exec_hi, v6
	v_cmp_eq_u32_e32 vcc, 0, v6
	s_and_saveexec_b64 s[34:35], vcc
	s_cbranch_execz .LBB68_73
; %bb.72:                               ;   in Loop: Header=BB68_70 Depth=2
	v_mov_b32_e32 v6, s52
	global_atomic_smin v0, v6, s[14:15]
.LBB68_73:                              ;   in Loop: Header=BB68_70 Depth=2
	s_or_b64 exec, exec, s[34:35]
	v_mov_b32_e32 v12, 0
	v_mov_b32_e32 v13, 0x3ff00000
	v_pk_mov_b32 v[14:15], 0, 0
.LBB68_74:                              ;   in Loop: Header=BB68_70 Depth=2
	s_or_b64 exec, exec, s[6:7]
	ds_read_b128 v[6:9], v16
	s_cmp_eq_u32 s37, 0
	s_cbranch_scc1 .LBB68_79
; %bb.75:                               ;   in Loop: Header=BB68_70 Depth=2
	s_mov_b32 s34, 0
	s_mov_b32 s35, s38
	v_mov_b32_e32 v17, v27
	s_branch .LBB68_77
.LBB68_76:                              ;   in Loop: Header=BB68_77 Depth=3
	s_ashr_i32 s7, s6, 31
	s_lshl_b64 s[6:7], s[6:7], 4
	s_add_u32 s6, s22, s6
	s_addc_u32 s7, s23, s7
	global_load_dwordx4 v[18:21], v0, s[6:7]
	ds_read_b128 v[34:37], v17
	s_add_i32 s34, s34, 1
	s_add_i32 s35, s35, s46
	s_cmp_ge_u32 s34, s37
	v_add_u32_e32 v17, 16, v17
	s_waitcnt vmcnt(0) lgkmcnt(0)
	v_fmac_f64_e32 v[6:7], v[18:19], v[34:35]
	v_fmac_f64_e32 v[8:9], v[20:21], v[34:35]
	;; [unrolled: 1-line block ×3, first 2 shown]
	v_fma_f64 v[8:9], v[18:19], -v[36:37], v[8:9]
	s_cbranch_scc1 .LBB68_79
.LBB68_77:                              ;   Parent Loop BB68_22 Depth=1
                                        ;     Parent Loop BB68_70 Depth=2
                                        ; =>    This Inner Loop Header: Depth=3
	s_andn2_b64 vcc, exec, s[24:25]
	s_mov_b32 s6, s35
	s_cbranch_vccnz .LBB68_76
; %bb.78:                               ;   in Loop: Header=BB68_77 Depth=3
	s_add_i32 s6, s34, s39
	s_branch .LBB68_76
.LBB68_79:                              ;   in Loop: Header=BB68_70 Depth=2
	v_mul_f64 v[18:19], v[14:15], v[14:15]
	v_fmac_f64_e32 v[18:19], v[12:13], v[12:13]
	v_div_scale_f64 v[20:21], s[6:7], v[18:19], v[18:19], 1.0
	v_rcp_f64_e32 v[34:35], v[20:21]
	s_waitcnt lgkmcnt(0)
	v_add_f64 v[6:7], v[2:3], -v[6:7]
	v_add_f64 v[4:5], v[4:5], -v[8:9]
	v_add_u32_e32 v16, 0x4200, v16
	v_fma_f64 v[2:3], -v[20:21], v[34:35], 1.0
	v_fmac_f64_e32 v[34:35], v[34:35], v[2:3]
	v_fma_f64 v[2:3], -v[20:21], v[34:35], 1.0
	v_fmac_f64_e32 v[34:35], v[34:35], v[2:3]
	v_div_scale_f64 v[2:3], vcc, 1.0, v[18:19], 1.0
	v_mul_f64 v[8:9], v[2:3], v[34:35]
	v_fma_f64 v[2:3], -v[20:21], v[8:9], v[2:3]
	s_nop 1
	v_div_fmas_f64 v[2:3], v[2:3], v[34:35], v[8:9]
	v_div_fixup_f64 v[8:9], v[2:3], v[18:19], 1.0
	v_mul_f64 v[2:3], v[14:15], v[4:5]
	v_fmac_f64_e32 v[2:3], v[6:7], v[12:13]
	v_mul_f64 v[6:7], v[14:15], -v[6:7]
	v_fmac_f64_e32 v[6:7], v[4:5], v[12:13]
	v_mul_f64 v[2:3], v[8:9], v[2:3]
	v_mul_f64 v[4:5], v[8:9], v[6:7]
	ds_write_b128 v16, v[2:5]
	s_waitcnt lgkmcnt(0)
	s_and_saveexec_b64 s[6:7], s[0:1]
	s_cbranch_execz .LBB68_69
; %bb.80:                               ;   in Loop: Header=BB68_70 Depth=2
	s_mov_b64 s[34:35], 0
	v_mov_b32_e32 v6, v29
	v_mov_b32_e32 v7, v1
	;; [unrolled: 1-line block ×3, first 2 shown]
.LBB68_81:                              ;   Parent Loop BB68_22 Depth=1
                                        ;     Parent Loop BB68_70 Depth=2
                                        ; =>    This Inner Loop Header: Depth=3
	ds_read_b128 v[12:15], v7
	ds_read_b128 v[16:19], v6
	v_add_u32_e32 v8, 2, v8
	v_cmp_le_i32_e32 vcc, s46, v8
	v_add_u32_e32 v7, 0x420, v7
	s_or_b64 s[34:35], vcc, s[34:35]
	s_waitcnt lgkmcnt(0)
	v_fmac_f64_e32 v[16:17], v[2:3], v[12:13]
	v_fmac_f64_e32 v[18:19], v[4:5], v[12:13]
	;; [unrolled: 1-line block ×3, first 2 shown]
	v_fma_f64 v[18:19], v[2:3], -v[14:15], v[18:19]
	ds_write_b128 v6, v[16:19]
	v_add_u32_e32 v6, 32, v6
	s_andn2_b64 exec, exec, s[34:35]
	s_cbranch_execnz .LBB68_81
	s_branch .LBB68_69
.LBB68_82:                              ;   in Loop: Header=BB68_22 Depth=1
	s_and_saveexec_b64 s[6:7], s[0:1]
	s_cbranch_execz .LBB68_21
; %bb.83:                               ;   in Loop: Header=BB68_22 Depth=1
	s_mov_b64 s[34:35], 0
	v_mov_b32_e32 v1, v30
	v_mov_b32_e32 v4, v11
	s_branch .LBB68_86
.LBB68_84:                              ;   in Loop: Header=BB68_86 Depth=2
	ds_read2_b64 v[6:9], v1 offset1:1
	v_ashrrev_i32_e32 v3, 31, v2
	v_lshlrev_b64 v[2:3], 4, v[2:3]
	v_mov_b32_e32 v5, s23
	v_add_co_u32_e32 v2, vcc, s22, v2
	v_addc_co_u32_e32 v3, vcc, v5, v3, vcc
	s_waitcnt lgkmcnt(0)
	global_store_dwordx4 v[2:3], v[6:9], off
.LBB68_85:                              ;   in Loop: Header=BB68_86 Depth=2
	s_or_b64 exec, exec, s[36:37]
	v_add_u32_e32 v4, 2, v4
	v_cmp_le_i32_e32 vcc, s46, v4
	s_or_b64 s[34:35], vcc, s[34:35]
	v_add_u32_e32 v1, 32, v1
	s_andn2_b64 exec, exec, s[34:35]
	s_cbranch_execz .LBB68_21
.LBB68_86:                              ;   Parent Loop BB68_22 Depth=1
                                        ; =>  This Inner Loop Header: Depth=2
	s_and_saveexec_b64 s[36:37], s[2:3]
	s_cbranch_execz .LBB68_85
; %bb.87:                               ;   in Loop: Header=BB68_86 Depth=2
	s_and_b64 vcc, exec, s[26:27]
	s_cbranch_vccz .LBB68_89
; %bb.88:                               ;   in Loop: Header=BB68_86 Depth=2
	v_add_u32_e32 v2, s31, v4
	v_mad_u64_u32 v[2:3], s[38:39], v2, s46, v[10:11]
	s_cbranch_execnz .LBB68_84
	s_branch .LBB68_90
.LBB68_89:                              ;   in Loop: Header=BB68_86 Depth=2
                                        ; implicit-def: $vgpr2
.LBB68_90:                              ;   in Loop: Header=BB68_86 Depth=2
	v_add_u32_e32 v2, v26, v4
	s_branch .LBB68_84
.LBB68_91:                              ;   in Loop: Header=BB68_22 Depth=1
                                        ; implicit-def: $sgpr30
                                        ; implicit-def: $vgpr26
	s_cbranch_execz .LBB68_22
.LBB68_92:
	v_cmp_gt_i32_e64 s[0:1], s46, v11
	s_and_saveexec_b64 s[4:5], s[0:1]
	s_cbranch_execz .LBB68_105
; %bb.93:
	s_mul_i32 s26, s33, s46
	v_add_u32_e32 v0, s26, v10
	s_cmp_lg_u32 s48, 0
	v_mul_lo_u32 v6, v0, s46
	v_mul_u32_u24_e32 v0, 0x210, v10
	s_movk_i32 s8, 0x4200
	s_cselect_b64 s[6:7], -1, 0
	v_cmp_gt_i32_e64 s[2:3], s46, v10
	v_add3_u32 v7, v0, v22, s8
	s_mov_b64 s[8:9], 0
	v_mov_b32_e32 v8, v11
	s_branch .LBB68_95
.LBB68_94:                              ;   in Loop: Header=BB68_95 Depth=1
	s_or_b64 exec, exec, s[18:19]
	v_add_u32_e32 v8, 2, v8
	v_cmp_le_i32_e32 vcc, s46, v8
	s_waitcnt vmcnt(0)
	ds_write_b128 v7, v[0:3]
	s_or_b64 s[8:9], vcc, s[8:9]
	v_add_u32_e32 v7, 32, v7
	s_andn2_b64 exec, exec, s[8:9]
	s_cbranch_execz .LBB68_105
.LBB68_95:                              ; =>This Inner Loop Header: Depth=1
	s_and_b64 vcc, exec, s[6:7]
	s_cbranch_vccz .LBB68_100
; %bb.96:                               ;   in Loop: Header=BB68_95 Depth=1
	s_mov_b64 s[18:19], 0
	s_mov_b64 s[16:17], 0
                                        ; implicit-def: $vgpr4
	s_and_saveexec_b64 s[24:25], s[2:3]
	s_xor_b64 s[24:25], exec, s[24:25]
; %bb.97:                               ;   in Loop: Header=BB68_95 Depth=1
	v_add_u32_e32 v0, s26, v8
	s_mov_b64 s[16:17], exec
	v_mad_u64_u32 v[4:5], s[28:29], v0, s46, v[10:11]
; %bb.98:                               ;   in Loop: Header=BB68_95 Depth=1
	s_or_b64 exec, exec, s[24:25]
	s_and_b64 vcc, exec, s[18:19]
	s_cbranch_vccnz .LBB68_101
.LBB68_99:                              ;   in Loop: Header=BB68_95 Depth=1
	v_pk_mov_b32 v[0:1], s[18:19], s[18:19] op_sel:[0,1]
	v_pk_mov_b32 v[2:3], s[18:19], s[18:19] op_sel:[0,1]
	s_and_saveexec_b64 s[18:19], s[16:17]
	s_cbranch_execz .LBB68_94
	s_branch .LBB68_104
.LBB68_100:                             ;   in Loop: Header=BB68_95 Depth=1
	s_mov_b64 s[18:19], -1
	s_mov_b64 s[16:17], 0
                                        ; implicit-def: $vgpr4
	s_cbranch_execz .LBB68_99
.LBB68_101:                             ;   in Loop: Header=BB68_95 Depth=1
                                        ; implicit-def: $vgpr4
	s_and_saveexec_b64 s[18:19], s[2:3]
; %bb.102:                              ;   in Loop: Header=BB68_95 Depth=1
	v_add_u32_e32 v4, v6, v8
	s_or_b64 s[16:17], s[16:17], exec
; %bb.103:                              ;   in Loop: Header=BB68_95 Depth=1
	s_or_b64 exec, exec, s[18:19]
	s_mov_b64 s[18:19], 0
	v_pk_mov_b32 v[0:1], s[18:19], s[18:19] op_sel:[0,1]
	v_pk_mov_b32 v[2:3], s[18:19], s[18:19] op_sel:[0,1]
	s_and_saveexec_b64 s[18:19], s[16:17]
	s_cbranch_execz .LBB68_94
.LBB68_104:                             ;   in Loop: Header=BB68_95 Depth=1
	v_ashrrev_i32_e32 v5, 31, v4
	v_lshlrev_b64 v[0:1], 4, v[4:5]
	v_mov_b32_e32 v2, s23
	v_add_co_u32_e32 v0, vcc, s22, v0
	v_addc_co_u32_e32 v1, vcc, v2, v1, vcc
	global_load_dwordx4 v[0:3], v[0:1], off
	s_branch .LBB68_94
.LBB68_105:
	s_or_b64 exec, exec, s[4:5]
; %bb.106:
	s_cmp_lt_i32 s46, 1
	s_waitcnt lgkmcnt(0)
	s_cbranch_scc1 .LBB68_125
; %bb.107:
	v_or_b32_e32 v0, v11, v10
	v_cmp_ne_u32_e64 s[2:3], 0, v0
	v_lshlrev_b32_e32 v0, 4, v10
	s_movk_i32 s24, 0x210
	v_mad_u32_u24 v0, v10, s24, v0
	v_add_u32_e32 v12, 0x4200, v0
	v_mul_u32_u24_e32 v13, 0x210, v10
	s_mov_b32 s4, 0x8400
	v_add_u32_e32 v14, 0x8400, v0
	v_mov_b32_e32 v0, 0x4200
	s_mov_b32 s6, 0
	s_mov_b32 s18, 0
	s_add_i32 s19, s20, s21
	v_mad_u32_u24 v15, v11, s24, v0
	v_add3_u32 v16, v13, v22, s4
	s_brev_b32 s7, 8
	v_mov_b32_e32 v17, 0x260
	v_mov_b32_e32 v18, 0x3ff00000
	v_mov_b32_e32 v2, 0
	v_mov_b32_e32 v19, 0xffffff80
	s_branch .LBB68_109
.LBB68_108:                             ;   in Loop: Header=BB68_109 Depth=1
	s_or_b64 exec, exec, s[4:5]
	s_add_i32 s18, s18, 1
	s_cmp_eq_u32 s18, s46
	v_add_u32_e32 v15, 16, v15
	s_waitcnt lgkmcnt(0)
	s_cbranch_scc1 .LBB68_125
.LBB68_109:                             ; =>This Loop Header: Depth=1
                                        ;     Child Loop BB68_124 Depth 2
	v_cmp_eq_u32_e32 vcc, s18, v10
	s_and_saveexec_b64 s[4:5], vcc
	s_cbranch_execz .LBB68_117
; %bb.110:                              ;   in Loop: Header=BB68_109 Depth=1
	ds_read_b128 v[4:7], v14
	ds_read_b128 v[24:27], v12
	s_waitcnt lgkmcnt(0)
	v_add_f64 v[0:1], v[24:25], -v[4:5]
	v_add_f64 v[8:9], v[26:27], -v[6:7]
	v_xor_b32_e32 v3, 0x80000000, v1
	v_cmp_gt_f64_e32 vcc, 0, v[0:1]
	v_cndmask_b32_e32 v1, v1, v3, vcc
	v_cndmask_b32_e32 v0, v0, v0, vcc
	v_xor_b32_e32 v3, 0x80000000, v9
	v_cmp_gt_f64_e32 vcc, 0, v[8:9]
	v_cndmask_b32_e32 v5, v9, v3, vcc
	v_cndmask_b32_e32 v4, v8, v8, vcc
	v_cmp_ngt_f64_e32 vcc, v[0:1], v[4:5]
                                        ; implicit-def: $vgpr6_vgpr7
	s_and_saveexec_b64 s[8:9], vcc
	s_xor_b64 s[8:9], exec, s[8:9]
	s_cbranch_execz .LBB68_114
; %bb.111:                              ;   in Loop: Header=BB68_109 Depth=1
	v_cmp_neq_f64_e32 vcc, 0, v[8:9]
	v_pk_mov_b32 v[6:7], 0, 0
	s_and_saveexec_b64 s[16:17], vcc
	s_cbranch_execz .LBB68_113
; %bb.112:                              ;   in Loop: Header=BB68_109 Depth=1
	v_div_scale_f64 v[6:7], s[26:27], v[4:5], v[4:5], v[0:1]
	v_rcp_f64_e32 v[8:9], v[6:7]
	v_div_scale_f64 v[20:21], vcc, v[0:1], v[4:5], v[0:1]
	v_fma_f64 v[24:25], -v[6:7], v[8:9], 1.0
	v_fmac_f64_e32 v[8:9], v[8:9], v[24:25]
	v_fma_f64 v[24:25], -v[6:7], v[8:9], 1.0
	v_fmac_f64_e32 v[8:9], v[8:9], v[24:25]
	v_mul_f64 v[24:25], v[20:21], v[8:9]
	v_fma_f64 v[6:7], -v[6:7], v[24:25], v[20:21]
	v_div_fmas_f64 v[6:7], v[6:7], v[8:9], v[24:25]
	v_div_fixup_f64 v[0:1], v[6:7], v[4:5], v[0:1]
	v_fma_f64 v[0:1], v[0:1], v[0:1], 1.0
	v_cmp_gt_f64_e32 vcc, s[6:7], v[0:1]
	v_cndmask_b32_e64 v3, 0, 1, vcc
	v_lshlrev_b32_e32 v3, 8, v3
	v_ldexp_f64 v[0:1], v[0:1], v3
	v_rsq_f64_e32 v[6:7], v[0:1]
	v_cndmask_b32_e32 v3, 0, v19, vcc
	v_cmp_class_f64_e32 vcc, v[0:1], v17
	v_mul_f64 v[8:9], v[0:1], v[6:7]
	v_mul_f64 v[6:7], v[6:7], 0.5
	v_fma_f64 v[20:21], -v[6:7], v[8:9], 0.5
	v_fmac_f64_e32 v[8:9], v[8:9], v[20:21]
	v_fma_f64 v[24:25], -v[8:9], v[8:9], v[0:1]
	v_fmac_f64_e32 v[6:7], v[6:7], v[20:21]
	v_fmac_f64_e32 v[8:9], v[24:25], v[6:7]
	v_fma_f64 v[20:21], -v[8:9], v[8:9], v[0:1]
	v_fmac_f64_e32 v[8:9], v[20:21], v[6:7]
	v_ldexp_f64 v[6:7], v[8:9], v3
	v_cndmask_b32_e32 v1, v7, v1, vcc
	v_cndmask_b32_e32 v0, v6, v0, vcc
	v_mul_f64 v[6:7], v[4:5], v[0:1]
.LBB68_113:                             ;   in Loop: Header=BB68_109 Depth=1
	s_or_b64 exec, exec, s[16:17]
                                        ; implicit-def: $vgpr0_vgpr1
                                        ; implicit-def: $vgpr4_vgpr5
.LBB68_114:                             ;   in Loop: Header=BB68_109 Depth=1
	s_andn2_saveexec_b64 s[8:9], s[8:9]
	s_cbranch_execz .LBB68_116
; %bb.115:                              ;   in Loop: Header=BB68_109 Depth=1
	v_div_scale_f64 v[6:7], s[16:17], v[0:1], v[0:1], v[4:5]
	v_rcp_f64_e32 v[8:9], v[6:7]
	v_div_scale_f64 v[20:21], vcc, v[4:5], v[0:1], v[4:5]
	v_fma_f64 v[24:25], -v[6:7], v[8:9], 1.0
	v_fmac_f64_e32 v[8:9], v[8:9], v[24:25]
	v_fma_f64 v[24:25], -v[6:7], v[8:9], 1.0
	v_fmac_f64_e32 v[8:9], v[8:9], v[24:25]
	v_mul_f64 v[24:25], v[20:21], v[8:9]
	v_fma_f64 v[6:7], -v[6:7], v[24:25], v[20:21]
	v_div_fmas_f64 v[6:7], v[6:7], v[8:9], v[24:25]
	v_div_fixup_f64 v[4:5], v[6:7], v[0:1], v[4:5]
	v_fma_f64 v[4:5], v[4:5], v[4:5], 1.0
	v_cmp_gt_f64_e32 vcc, s[6:7], v[4:5]
	v_cndmask_b32_e64 v3, 0, 1, vcc
	v_lshlrev_b32_e32 v3, 8, v3
	v_ldexp_f64 v[4:5], v[4:5], v3
	v_rsq_f64_e32 v[6:7], v[4:5]
	v_cndmask_b32_e32 v3, 0, v19, vcc
	v_cmp_class_f64_e32 vcc, v[4:5], v17
	v_mul_f64 v[8:9], v[4:5], v[6:7]
	v_mul_f64 v[6:7], v[6:7], 0.5
	v_fma_f64 v[20:21], -v[6:7], v[8:9], 0.5
	v_fmac_f64_e32 v[8:9], v[8:9], v[20:21]
	v_fma_f64 v[24:25], -v[8:9], v[8:9], v[4:5]
	v_fmac_f64_e32 v[6:7], v[6:7], v[20:21]
	v_fmac_f64_e32 v[8:9], v[24:25], v[6:7]
	v_fma_f64 v[20:21], -v[8:9], v[8:9], v[4:5]
	v_fmac_f64_e32 v[8:9], v[20:21], v[6:7]
	v_ldexp_f64 v[6:7], v[8:9], v3
	v_cndmask_b32_e32 v5, v7, v5, vcc
	v_cndmask_b32_e32 v4, v6, v4, vcc
	v_mul_f64 v[6:7], v[0:1], v[4:5]
.LBB68_116:                             ;   in Loop: Header=BB68_109 Depth=1
	s_or_b64 exec, exec, s[8:9]
	v_cmp_gt_f64_e32 vcc, s[6:7], v[6:7]
	v_cndmask_b32_e64 v0, 0, 1, vcc
	v_lshlrev_b32_e32 v0, 8, v0
	v_ldexp_f64 v[0:1], v[6:7], v0
	v_rsq_f64_e32 v[4:5], v[0:1]
	v_cndmask_b32_e32 v3, 0, v19, vcc
	v_cmp_class_f64_e32 vcc, v[0:1], v17
	v_mul_f64 v[6:7], v[0:1], v[4:5]
	v_mul_f64 v[4:5], v[4:5], 0.5
	v_fma_f64 v[8:9], -v[4:5], v[6:7], 0.5
	v_fmac_f64_e32 v[6:7], v[6:7], v[8:9]
	v_fmac_f64_e32 v[4:5], v[4:5], v[8:9]
	v_fma_f64 v[8:9], -v[6:7], v[6:7], v[0:1]
	v_fmac_f64_e32 v[6:7], v[8:9], v[4:5]
	v_fma_f64 v[8:9], -v[6:7], v[6:7], v[0:1]
	v_fmac_f64_e32 v[6:7], v[8:9], v[4:5]
	v_ldexp_f64 v[4:5], v[6:7], v3
	v_cndmask_b32_e32 v1, v5, v1, vcc
	v_cndmask_b32_e32 v0, v4, v0, vcc
	v_mov_b32_e32 v3, v2
	ds_write_b128 v12, v[0:3]
.LBB68_117:                             ;   in Loop: Header=BB68_109 Depth=1
	s_or_b64 exec, exec, s[4:5]
	s_lshl_b32 s4, s18, 4
	s_mul_i32 s5, s18, 0x210
	s_add_i32 s5, s5, s4
	v_mov_b32_e32 v0, s5
	s_waitcnt lgkmcnt(0)
	ds_read_b128 v[24:27], v0 offset:16896
	v_mov_b32_e32 v0, s4
	v_mad_u32_u24 v3, v10, s24, v0
	ds_read_b128 v[4:7], v3 offset:16896
	s_waitcnt lgkmcnt(1)
	v_cmp_neq_f64_e32 vcc, 0, v[24:25]
	v_cmp_neq_f64_e64 s[4:5], 0, v[26:27]
	s_or_b64 vcc, vcc, s[4:5]
	s_or_b64 s[4:5], vcc, s[2:3]
	v_cndmask_b32_e32 v1, 0, v27, vcc
	s_xor_b64 s[8:9], s[4:5], -1
	v_cndmask_b32_e32 v0, 0, v26, vcc
	v_cndmask_b32_e32 v9, v18, v25, vcc
	v_cndmask_b32_e32 v8, 0, v24, vcc
	s_and_saveexec_b64 s[4:5], s[8:9]
	s_cbranch_execz .LBB68_121
; %bb.118:                              ;   in Loop: Header=BB68_109 Depth=1
	v_mbcnt_lo_u32_b32 v0, exec_lo, 0
	v_mbcnt_hi_u32_b32 v0, exec_hi, v0
	v_cmp_eq_u32_e32 vcc, 0, v0
	s_and_saveexec_b64 s[8:9], vcc
	s_cbranch_execz .LBB68_120
; %bb.119:                              ;   in Loop: Header=BB68_109 Depth=1
	v_mov_b32_e32 v0, s19
	global_atomic_smin v2, v0, s[14:15]
.LBB68_120:                             ;   in Loop: Header=BB68_109 Depth=1
	s_or_b64 exec, exec, s[8:9]
	v_mov_b32_e32 v8, 0
	v_pk_mov_b32 v[0:1], 0, 0
	v_mov_b32_e32 v9, 0x3ff00000
.LBB68_121:                             ;   in Loop: Header=BB68_109 Depth=1
	s_or_b64 exec, exec, s[4:5]
	v_cmp_lt_u32_e32 vcc, s18, v10
	s_and_saveexec_b64 s[4:5], vcc
	s_cbranch_execz .LBB68_108
; %bb.122:                              ;   in Loop: Header=BB68_109 Depth=1
	v_lshl_add_u32 v20, s18, 4, v13
	ds_read_b128 v[24:27], v20 offset:33792
	v_mul_f64 v[20:21], v[0:1], v[0:1]
	v_fmac_f64_e32 v[20:21], v[8:9], v[8:9]
	v_div_scale_f64 v[28:29], s[8:9], v[20:21], v[20:21], 1.0
	v_rcp_f64_e32 v[30:31], v[28:29]
	s_waitcnt lgkmcnt(0)
	v_add_f64 v[24:25], v[4:5], -v[24:25]
	v_add_f64 v[6:7], v[6:7], -v[26:27]
	v_add_u32_e32 v3, 0x4200, v3
	v_fma_f64 v[4:5], -v[28:29], v[30:31], 1.0
	v_fmac_f64_e32 v[30:31], v[30:31], v[4:5]
	v_fma_f64 v[4:5], -v[28:29], v[30:31], 1.0
	v_fmac_f64_e32 v[30:31], v[30:31], v[4:5]
	v_div_scale_f64 v[4:5], vcc, 1.0, v[20:21], 1.0
	v_mul_f64 v[26:27], v[4:5], v[30:31]
	v_fma_f64 v[4:5], -v[28:29], v[26:27], v[4:5]
	s_nop 1
	v_div_fmas_f64 v[4:5], v[4:5], v[30:31], v[26:27]
	v_div_fixup_f64 v[20:21], v[4:5], v[20:21], 1.0
	v_mul_f64 v[4:5], v[0:1], v[6:7]
	v_mul_f64 v[0:1], v[0:1], -v[24:25]
	v_fmac_f64_e32 v[4:5], v[24:25], v[8:9]
	v_fmac_f64_e32 v[0:1], v[6:7], v[8:9]
	v_mul_f64 v[4:5], v[20:21], v[4:5]
	v_mul_f64 v[6:7], v[20:21], v[0:1]
	ds_write_b128 v3, v[4:7]
	s_waitcnt lgkmcnt(0)
	s_and_b64 exec, exec, s[0:1]
	s_cbranch_execz .LBB68_108
; %bb.123:                              ;   in Loop: Header=BB68_109 Depth=1
	s_mov_b64 s[8:9], 0
	v_mov_b32_e32 v0, v16
	v_mov_b32_e32 v1, v15
	;; [unrolled: 1-line block ×3, first 2 shown]
.LBB68_124:                             ;   Parent Loop BB68_109 Depth=1
                                        ; =>  This Inner Loop Header: Depth=2
	ds_read_b128 v[24:27], v1
	ds_read_b128 v[28:31], v0
	v_add_u32_e32 v3, 2, v3
	v_cmp_le_i32_e32 vcc, s46, v3
	v_add_u32_e32 v1, 0x420, v1
	s_or_b64 s[8:9], vcc, s[8:9]
	s_waitcnt lgkmcnt(0)
	v_fmac_f64_e32 v[28:29], v[4:5], v[24:25]
	v_fmac_f64_e32 v[30:31], v[6:7], v[24:25]
	;; [unrolled: 1-line block ×3, first 2 shown]
	v_fma_f64 v[30:31], v[4:5], -v[26:27], v[30:31]
	ds_write_b128 v0, v[28:31]
	v_add_u32_e32 v0, 32, v0
	s_andn2_b64 exec, exec, s[8:9]
	s_cbranch_execnz .LBB68_124
	s_branch .LBB68_108
.LBB68_125:
	s_and_saveexec_b64 s[2:3], s[0:1]
	s_cbranch_execz .LBB68_134
; %bb.126:
	s_mul_i32 s33, s33, s46
	v_add_u32_e32 v0, s33, v10
	s_cmp_lg_u32 s48, 0
	v_mul_lo_u32 v2, v0, s46
	v_mul_u32_u24_e32 v0, 0x210, v10
	s_movk_i32 s6, 0x4200
	v_cmp_gt_i32_e64 s[0:1], s46, v10
	s_cselect_b64 s[4:5], -1, 0
	v_add3_u32 v3, v0, v22, s6
	s_mov_b64 s[6:7], 0
	v_mov_b32_e32 v4, v11
	s_branch .LBB68_129
.LBB68_127:                             ;   in Loop: Header=BB68_129 Depth=1
	ds_read2_b64 v[6:9], v3 offset1:1
	v_ashrrev_i32_e32 v1, 31, v0
	v_lshlrev_b64 v[0:1], 4, v[0:1]
	v_mov_b32_e32 v5, s23
	v_add_co_u32_e32 v0, vcc, s22, v0
	v_addc_co_u32_e32 v1, vcc, v5, v1, vcc
	s_waitcnt lgkmcnt(0)
	global_store_dwordx4 v[0:1], v[6:9], off
.LBB68_128:                             ;   in Loop: Header=BB68_129 Depth=1
	s_or_b64 exec, exec, s[8:9]
	v_add_u32_e32 v4, 2, v4
	v_cmp_le_i32_e32 vcc, s46, v4
	s_or_b64 s[6:7], vcc, s[6:7]
	v_add_u32_e32 v3, 32, v3
	s_andn2_b64 exec, exec, s[6:7]
	s_cbranch_execz .LBB68_134
.LBB68_129:                             ; =>This Inner Loop Header: Depth=1
	s_and_saveexec_b64 s[8:9], s[0:1]
	s_cbranch_execz .LBB68_128
; %bb.130:                              ;   in Loop: Header=BB68_129 Depth=1
	s_and_b64 vcc, exec, s[4:5]
	s_cbranch_vccz .LBB68_132
; %bb.131:                              ;   in Loop: Header=BB68_129 Depth=1
	v_add_u32_e32 v0, s33, v4
	v_mad_u64_u32 v[0:1], s[16:17], v0, s46, v[10:11]
	s_cbranch_execnz .LBB68_127
	s_branch .LBB68_133
.LBB68_132:                             ;   in Loop: Header=BB68_129 Depth=1
                                        ; implicit-def: $vgpr0
.LBB68_133:                             ;   in Loop: Header=BB68_129 Depth=1
	v_add_u32_e32 v0, v2, v4
	s_branch .LBB68_127
.LBB68_134:
	s_or_b64 exec, exec, s[2:3]
	v_or_b32_e32 v0, v11, v10
	v_cmp_eq_u32_e64 s[0:1], 0, v0
.LBB68_135:
	s_and_saveexec_b64 s[2:3], s[0:1]
	s_cbranch_execnz .LBB68_143
.LBB68_136:
	s_endpgm
.LBB68_137:
	s_mov_b64 s[0:1], 0
	s_cbranch_execz .LBB68_135
; %bb.138:
	v_or_b32_e32 v0, v11, v10
	v_cmp_eq_u32_e32 vcc, 0, v0
	s_and_saveexec_b64 s[2:3], vcc
	s_cbranch_execz .LBB68_142
; %bb.139:
	v_mbcnt_lo_u32_b32 v0, exec_lo, 0
	v_mbcnt_hi_u32_b32 v0, exec_hi, v0
	v_cmp_eq_u32_e32 vcc, 0, v0
	s_and_saveexec_b64 s[4:5], vcc
	s_cbranch_execz .LBB68_141
; %bb.140:
	s_add_i32 s6, s20, s21
	v_mov_b32_e32 v0, 0
	v_mov_b32_e32 v1, s6
	global_atomic_smin v0, v1, s[14:15]
.LBB68_141:
	s_or_b64 exec, exec, s[4:5]
	s_or_b64 s[0:1], s[0:1], exec
.LBB68_142:
	s_or_b64 exec, exec, s[2:3]
	s_and_saveexec_b64 s[2:3], s[0:1]
	s_cbranch_execz .LBB68_136
.LBB68_143:
	s_add_u32 s0, s10, s12
	s_addc_u32 s1, s11, s13
	v_mov_b32_e32 v0, 0
	v_mov_b32_e32 v1, 1
	s_waitcnt vmcnt(0)
	global_store_dword v0, v1, s[0:1]
	s_endpgm
	.section	.rodata,"a",@progbits
	.p2align	6, 0x0
	.amdhsa_kernel _ZN9rocsparseL19bsric0_17_32_kernelILi64ELi32ELi32E21rocsparse_complex_numIdEEEv20rocsparse_direction_iiPKiS5_PT2_S5_PiS5_S8_21rocsparse_index_base_
		.amdhsa_group_segment_fixed_size 51072
		.amdhsa_private_segment_fixed_size 0
		.amdhsa_kernarg_size 76
		.amdhsa_user_sgpr_count 6
		.amdhsa_user_sgpr_private_segment_buffer 1
		.amdhsa_user_sgpr_dispatch_ptr 0
		.amdhsa_user_sgpr_queue_ptr 0
		.amdhsa_user_sgpr_kernarg_segment_ptr 1
		.amdhsa_user_sgpr_dispatch_id 0
		.amdhsa_user_sgpr_flat_scratch_init 0
		.amdhsa_user_sgpr_kernarg_preload_length 0
		.amdhsa_user_sgpr_kernarg_preload_offset 0
		.amdhsa_user_sgpr_private_segment_size 0
		.amdhsa_uses_dynamic_stack 0
		.amdhsa_system_sgpr_private_segment_wavefront_offset 0
		.amdhsa_system_sgpr_workgroup_id_x 1
		.amdhsa_system_sgpr_workgroup_id_y 0
		.amdhsa_system_sgpr_workgroup_id_z 0
		.amdhsa_system_sgpr_workgroup_info 0
		.amdhsa_system_vgpr_workitem_id 1
		.amdhsa_next_free_vgpr 70
		.amdhsa_next_free_sgpr 56
		.amdhsa_accum_offset 72
		.amdhsa_reserve_vcc 1
		.amdhsa_reserve_flat_scratch 0
		.amdhsa_float_round_mode_32 0
		.amdhsa_float_round_mode_16_64 0
		.amdhsa_float_denorm_mode_32 3
		.amdhsa_float_denorm_mode_16_64 3
		.amdhsa_dx10_clamp 1
		.amdhsa_ieee_mode 1
		.amdhsa_fp16_overflow 0
		.amdhsa_tg_split 0
		.amdhsa_exception_fp_ieee_invalid_op 0
		.amdhsa_exception_fp_denorm_src 0
		.amdhsa_exception_fp_ieee_div_zero 0
		.amdhsa_exception_fp_ieee_overflow 0
		.amdhsa_exception_fp_ieee_underflow 0
		.amdhsa_exception_fp_ieee_inexact 0
		.amdhsa_exception_int_div_zero 0
	.end_amdhsa_kernel
	.section	.text._ZN9rocsparseL19bsric0_17_32_kernelILi64ELi32ELi32E21rocsparse_complex_numIdEEEv20rocsparse_direction_iiPKiS5_PT2_S5_PiS5_S8_21rocsparse_index_base_,"axG",@progbits,_ZN9rocsparseL19bsric0_17_32_kernelILi64ELi32ELi32E21rocsparse_complex_numIdEEEv20rocsparse_direction_iiPKiS5_PT2_S5_PiS5_S8_21rocsparse_index_base_,comdat
.Lfunc_end68:
	.size	_ZN9rocsparseL19bsric0_17_32_kernelILi64ELi32ELi32E21rocsparse_complex_numIdEEEv20rocsparse_direction_iiPKiS5_PT2_S5_PiS5_S8_21rocsparse_index_base_, .Lfunc_end68-_ZN9rocsparseL19bsric0_17_32_kernelILi64ELi32ELi32E21rocsparse_complex_numIdEEEv20rocsparse_direction_iiPKiS5_PT2_S5_PiS5_S8_21rocsparse_index_base_
                                        ; -- End function
	.section	.AMDGPU.csdata,"",@progbits
; Kernel info:
; codeLenInByte = 6072
; NumSgprs: 60
; NumVgprs: 70
; NumAgprs: 0
; TotalNumVgprs: 70
; ScratchSize: 0
; MemoryBound: 1
; FloatMode: 240
; IeeeMode: 1
; LDSByteSize: 51072 bytes/workgroup (compile time only)
; SGPRBlocks: 7
; VGPRBlocks: 8
; NumSGPRsForWavesPerEU: 60
; NumVGPRsForWavesPerEU: 70
; AccumOffset: 72
; Occupancy: 1
; WaveLimiterHint : 1
; COMPUTE_PGM_RSRC2:SCRATCH_EN: 0
; COMPUTE_PGM_RSRC2:USER_SGPR: 6
; COMPUTE_PGM_RSRC2:TRAP_HANDLER: 0
; COMPUTE_PGM_RSRC2:TGID_X_EN: 1
; COMPUTE_PGM_RSRC2:TGID_Y_EN: 0
; COMPUTE_PGM_RSRC2:TGID_Z_EN: 0
; COMPUTE_PGM_RSRC2:TIDIG_COMP_CNT: 1
; COMPUTE_PGM_RSRC3_GFX90A:ACCUM_OFFSET: 17
; COMPUTE_PGM_RSRC3_GFX90A:TG_SPLIT: 0
	.section	.text._ZN9rocsparseL23bsric0_binsearch_kernelILj64ELj64ELb0E21rocsparse_complex_numIdEEEv20rocsparse_direction_iiPKiS5_PT2_S5_PiS5_S8_21rocsparse_index_base_,"axG",@progbits,_ZN9rocsparseL23bsric0_binsearch_kernelILj64ELj64ELb0E21rocsparse_complex_numIdEEEv20rocsparse_direction_iiPKiS5_PT2_S5_PiS5_S8_21rocsparse_index_base_,comdat
	.globl	_ZN9rocsparseL23bsric0_binsearch_kernelILj64ELj64ELb0E21rocsparse_complex_numIdEEEv20rocsparse_direction_iiPKiS5_PT2_S5_PiS5_S8_21rocsparse_index_base_ ; -- Begin function _ZN9rocsparseL23bsric0_binsearch_kernelILj64ELj64ELb0E21rocsparse_complex_numIdEEEv20rocsparse_direction_iiPKiS5_PT2_S5_PiS5_S8_21rocsparse_index_base_
	.p2align	8
	.type	_ZN9rocsparseL23bsric0_binsearch_kernelILj64ELj64ELb0E21rocsparse_complex_numIdEEEv20rocsparse_direction_iiPKiS5_PT2_S5_PiS5_S8_21rocsparse_index_base_,@function
_ZN9rocsparseL23bsric0_binsearch_kernelILj64ELj64ELb0E21rocsparse_complex_numIdEEEv20rocsparse_direction_iiPKiS5_PT2_S5_PiS5_S8_21rocsparse_index_base_: ; @_ZN9rocsparseL23bsric0_binsearch_kernelILj64ELj64ELb0E21rocsparse_complex_numIdEEEv20rocsparse_direction_iiPKiS5_PT2_S5_PiS5_S8_21rocsparse_index_base_
; %bb.0:
	s_load_dwordx8 s[16:23], s[4:5], 0x28
	s_ashr_i32 s7, s6, 31
	s_lshl_b64 s[0:1], s[6:7], 2
	s_waitcnt lgkmcnt(0)
	s_add_u32 s0, s20, s0
	s_addc_u32 s1, s21, s1
	s_load_dword s14, s[0:1], 0x0
	s_waitcnt lgkmcnt(0)
	s_ashr_i32 s15, s14, 31
	s_lshl_b64 s[0:1], s[14:15], 2
	s_add_u32 s0, s16, s0
	s_addc_u32 s1, s17, s1
	s_load_dword s54, s[0:1], 0x0
	s_load_dword s33, s[4:5], 0x48
	v_pk_mov_b32 v[2:3], s[14:15], s[14:15] op_sel:[0,1]
	s_mov_b64 s[0:1], 0
	s_waitcnt lgkmcnt(0)
	s_cmp_lg_u32 s54, -1
	s_cselect_b64 s[2:3], -1, 0
	s_and_saveexec_b64 s[6:7], s[2:3]
	s_xor_b64 s[20:21], exec, s[6:7]
	s_cbranch_execnz .LBB69_4
; %bb.1:
	s_andn2_saveexec_b64 s[2:3], s[20:21]
	s_cbranch_execnz .LBB69_77
.LBB69_2:
	s_or_b64 exec, exec, s[2:3]
	s_and_saveexec_b64 s[2:3], s[0:1]
	s_cbranch_execnz .LBB69_84
.LBB69_3:
	s_endpgm
.LBB69_4:
	s_load_dword s55, s[4:5], 0x8
	s_waitcnt lgkmcnt(0)
	v_cmp_gt_i32_e32 vcc, s55, v0
	s_and_saveexec_b64 s[28:29], vcc
	s_cbranch_execz .LBB69_76
; %bb.5:
	s_load_dwordx4 s[24:27], s[4:5], 0x10
	s_load_dword s6, s[4:5], 0x0
	v_lshlrev_b64 v[4:5], 2, s[14:15]
	v_add_u32_e32 v34, s33, v2
	s_load_dwordx2 s[30:31], s[4:5], 0x20
	s_waitcnt lgkmcnt(0)
	v_mov_b32_e32 v1, s25
	v_add_co_u32_e32 v4, vcc, s24, v4
	v_addc_co_u32_e32 v5, vcc, v1, v5, vcc
	global_load_dwordx2 v[6:7], v[4:5], off
	v_mov_b32_e32 v3, s54
	s_mul_i32 s25, s55, s55
	v_mul_lo_u32 v38, v3, s25
	s_cmp_eq_u32 s6, 0
	s_mov_b32 s36, 0
	v_mov_b32_e32 v39, s27
	s_cselect_b64 s[2:3], -1, 0
	s_cmp_lg_u32 s6, 0
	v_cmp_ne_u32_e64 s[0:1], 0, v0
	s_mov_b64 s[34:35], 0
	v_mov_b32_e32 v4, 0
	s_brev_b32 s37, 8
	v_mov_b32_e32 v35, 0x260
	v_mov_b32_e32 v36, 0x3ff00000
	;; [unrolled: 1-line block ×3, first 2 shown]
	s_cselect_b64 s[38:39], -1, 0
	s_waitcnt vmcnt(0)
	v_subrev_u32_e32 v40, s33, v6
	v_xad_u32 v41, s33, -1, v7
	v_add_u32_e32 v2, v41, v40
	v_ashrrev_i32_e32 v10, 1, v2
	v_ashrrev_i32_e32 v11, 31, v10
	v_lshlrev_b64 v[2:3], 2, v[10:11]
	v_mul_lo_u32 v42, s25, v40
	v_add_co_u32_e32 v12, vcc, s26, v2
	v_cmp_gt_i32_e64 s[4:5], s54, v40
	v_cmp_le_i32_e64 s[6:7], s54, v40
	v_cmp_lt_i32_e64 s[8:9], v40, v41
	v_add_u32_e32 v43, v42, v0
	v_addc_co_u32_e32 v13, vcc, v39, v3, vcc
	v_mov_b32_e32 v11, v0
	s_branch .LBB69_7
.LBB69_6:                               ;   in Loop: Header=BB69_7 Depth=1
	v_add_u32_e32 v11, 64, v11
	v_cmp_le_i32_e32 vcc, s55, v11
	s_or_b64 s[34:35], vcc, s[34:35]
	v_add_u32_e32 v43, 64, v43
	s_andn2_b64 exec, exec, s[34:35]
	s_cbranch_execz .LBB69_76
.LBB69_7:                               ; =>This Loop Header: Depth=1
                                        ;     Child Loop BB69_13 Depth 2
                                        ;       Child Loop BB69_16 Depth 3
                                        ;       Child Loop BB69_20 Depth 3
                                        ;         Child Loop BB69_22 Depth 4
                                        ;         Child Loop BB69_29 Depth 4
                                        ;           Child Loop BB69_31 Depth 5
                                        ;           Child Loop BB69_37 Depth 5
                                        ;     Child Loop BB69_44 Depth 2
                                        ;       Child Loop BB69_54 Depth 3
                                        ;       Child Loop BB69_62 Depth 3
                                        ;         Child Loop BB69_64 Depth 4
                                        ;       Child Loop BB69_72 Depth 3
	v_mul_lo_u32 v44, v11, s55
                                        ; implicit-def: $sgpr10_sgpr11
	s_and_saveexec_b64 s[12:13], s[6:7]
	s_xor_b64 s[12:13], exec, s[12:13]
; %bb.8:                                ;   in Loop: Header=BB69_7 Depth=1
	v_mul_lo_u32 v44, v11, s55
	s_mov_b64 s[10:11], 0
; %bb.9:                                ;   in Loop: Header=BB69_7 Depth=1
	s_or_saveexec_b64 s[40:41], s[12:13]
	v_pk_mov_b32 v[14:15], s[10:11], s[10:11] op_sel:[0,1]
	v_pk_mov_b32 v[16:17], s[10:11], s[10:11] op_sel:[0,1]
	s_xor_b64 exec, exec, s[40:41]
	s_cbranch_execz .LBB69_41
; %bb.10:                               ;   in Loop: Header=BB69_7 Depth=1
	v_pk_mov_b32 v[14:15], 0, 0
	s_mov_b64 s[42:43], 0
	v_mov_b32_e32 v2, v40
	v_pk_mov_b32 v[16:17], v[14:15], v[14:15] op_sel:[0,1]
                                        ; implicit-def: $sgpr44_sgpr45
	s_branch .LBB69_13
.LBB69_11:                              ;   in Loop: Header=BB69_13 Depth=2
	v_add_u32_e32 v2, 1, v2
	v_cmp_le_i32_e32 vcc, s54, v2
	s_andn2_b64 s[10:11], s[44:45], exec
	s_and_b64 s[12:13], vcc, exec
	s_or_b64 s[44:45], s[10:11], s[12:13]
.LBB69_12:                              ;   in Loop: Header=BB69_13 Depth=2
	s_or_b64 exec, exec, s[46:47]
	s_and_b64 s[10:11], exec, s[44:45]
	s_or_b64 s[42:43], s[10:11], s[42:43]
	s_andn2_b64 exec, exec, s[42:43]
	s_cbranch_execz .LBB69_40
.LBB69_13:                              ;   Parent Loop BB69_7 Depth=1
                                        ; =>  This Loop Header: Depth=2
                                        ;       Child Loop BB69_16 Depth 3
                                        ;       Child Loop BB69_20 Depth 3
                                        ;         Child Loop BB69_22 Depth 4
                                        ;         Child Loop BB69_29 Depth 4
                                        ;           Child Loop BB69_31 Depth 5
                                        ;           Child Loop BB69_37 Depth 5
	v_ashrrev_i32_e32 v3, 31, v2
	v_lshlrev_b64 v[6:7], 2, v[2:3]
	v_add_co_u32_e32 v6, vcc, s26, v6
	v_addc_co_u32_e32 v7, vcc, v39, v7, vcc
	global_load_dword v3, v[6:7], off
	v_mov_b32_e32 v5, s17
	s_or_b64 s[44:45], s[44:45], exec
	s_waitcnt vmcnt(0)
	v_subrev_u32_e32 v6, s33, v3
	v_ashrrev_i32_e32 v7, 31, v6
	v_lshlrev_b64 v[8:9], 2, v[6:7]
	v_add_co_u32_e32 v18, vcc, s16, v8
	v_addc_co_u32_e32 v19, vcc, v5, v9, vcc
	global_load_dword v5, v[18:19], off
	s_waitcnt vmcnt(0)
	v_cmp_ne_u32_e32 vcc, -1, v5
	s_and_saveexec_b64 s[46:47], vcc
	s_cbranch_execz .LBB69_12
; %bb.14:                               ;   in Loop: Header=BB69_13 Depth=2
	v_add_co_u32_e32 v18, vcc, s24, v8
	v_addc_co_u32_e32 v19, vcc, v1, v9, vcc
	global_load_dword v7, v[18:19], off
	v_mov_b32_e32 v18, s19
	v_add_co_u32_e32 v8, vcc, s18, v8
	v_addc_co_u32_e32 v9, vcc, v18, v9, vcc
	global_load_dword v18, v[8:9], off glc
	s_waitcnt vmcnt(0)
	v_cmp_eq_u32_e32 vcc, 0, v18
	s_and_saveexec_b64 s[10:11], vcc
	s_cbranch_execz .LBB69_17
; %bb.15:                               ;   in Loop: Header=BB69_13 Depth=2
	s_mov_b64 s[12:13], 0
.LBB69_16:                              ;   Parent Loop BB69_7 Depth=1
                                        ;     Parent Loop BB69_13 Depth=2
                                        ; =>    This Inner Loop Header: Depth=3
	global_load_dword v18, v[8:9], off glc
	s_waitcnt vmcnt(0)
	v_cmp_ne_u32_e32 vcc, 0, v18
	s_or_b64 s[12:13], vcc, s[12:13]
	s_andn2_b64 exec, exec, s[12:13]
	s_cbranch_execnz .LBB69_16
.LBB69_17:                              ;   in Loop: Header=BB69_13 Depth=2
	s_or_b64 exec, exec, s[10:11]
	v_subrev_u32_e32 v45, s33, v7
	v_mul_lo_u32 v46, v6, s55
	v_mul_lo_u32 v6, v2, s25
	;; [unrolled: 1-line block ×3, first 2 shown]
	v_add_u32_e32 v48, v6, v11
	v_add_u32_e32 v49, v6, v44
	v_cmp_le_i32_e64 s[10:11], v45, v5
	v_mul_lo_u32 v50, s25, v45
	s_mov_b32 s56, 0
	buffer_wbinvl1_vol
	s_branch .LBB69_20
.LBB69_18:                              ;   in Loop: Header=BB69_20 Depth=3
	s_or_b64 exec, exec, s[48:49]
.LBB69_19:                              ;   in Loop: Header=BB69_20 Depth=3
	s_or_b64 exec, exec, s[12:13]
	v_mul_f64 v[28:29], v[20:21], v[20:21]
	v_fmac_f64_e32 v[28:29], v[18:19], v[18:19]
	v_div_scale_f64 v[30:31], s[12:13], v[28:29], v[28:29], 1.0
	v_rcp_f64_e32 v[32:33], v[30:31]
	s_waitcnt vmcnt(0)
	v_add_f64 v[26:27], v[6:7], -v[26:27]
	v_add_f64 v[8:9], v[8:9], -v[24:25]
	s_add_i32 s56, s56, 1
	v_fma_f64 v[6:7], -v[30:31], v[32:33], 1.0
	v_fmac_f64_e32 v[32:33], v[32:33], v[6:7]
	v_fma_f64 v[6:7], -v[30:31], v[32:33], 1.0
	v_fmac_f64_e32 v[32:33], v[32:33], v[6:7]
	v_div_scale_f64 v[6:7], vcc, 1.0, v[28:29], 1.0
	v_mul_f64 v[24:25], v[6:7], v[32:33]
	v_fma_f64 v[6:7], -v[30:31], v[24:25], v[6:7]
	s_cmp_eq_u32 s56, s55
	s_nop 0
	v_div_fmas_f64 v[6:7], v[6:7], v[32:33], v[24:25]
	v_div_fixup_f64 v[24:25], v[6:7], v[28:29], 1.0
	v_mul_f64 v[6:7], v[20:21], v[8:9]
	v_mul_f64 v[20:21], v[20:21], -v[26:27]
	v_fmac_f64_e32 v[6:7], v[26:27], v[18:19]
	v_fmac_f64_e32 v[20:21], v[8:9], v[18:19]
	v_mul_f64 v[6:7], v[24:25], v[6:7]
	v_mul_f64 v[8:9], v[24:25], v[20:21]
	v_fmac_f64_e32 v[16:17], v[6:7], v[6:7]
	v_fmac_f64_e32 v[14:15], v[8:9], v[6:7]
	v_fmac_f64_e32 v[16:17], v[8:9], v[8:9]
	v_fma_f64 v[14:15], v[6:7], -v[8:9], v[14:15]
	v_add_u32_e32 v50, 1, v50
	global_store_dwordx4 v[22:23], v[6:9], off
	s_cbranch_scc1 .LBB69_11
.LBB69_20:                              ;   Parent Loop BB69_7 Depth=1
                                        ;     Parent Loop BB69_13 Depth=2
                                        ; =>    This Loop Header: Depth=3
                                        ;         Child Loop BB69_22 Depth 4
                                        ;         Child Loop BB69_29 Depth 4
                                        ;           Child Loop BB69_31 Depth 5
                                        ;           Child Loop BB69_37 Depth 5
	s_mul_i32 s57, s56, s55
	s_add_i32 s12, s57, s56
	v_add_u32_e32 v6, s12, v47
	v_ashrrev_i32_e32 v7, 31, v6
	v_lshlrev_b64 v[6:7], 4, v[6:7]
	v_mov_b32_e32 v8, s31
	v_add_co_u32_e32 v6, vcc, s30, v6
	v_addc_co_u32_e32 v7, vcc, v8, v7, vcc
	global_load_dwordx4 v[6:9], v[6:7], off
	s_waitcnt vmcnt(0)
	v_cmp_neq_f64_e32 vcc, 0, v[6:7]
	v_cmp_neq_f64_e64 s[12:13], 0, v[8:9]
	s_or_b64 vcc, vcc, s[12:13]
	s_or_b64 s[12:13], vcc, s[0:1]
	v_cndmask_b32_e32 v19, v36, v7, vcc
	v_cndmask_b32_e32 v18, 0, v6, vcc
	;; [unrolled: 1-line block ×3, first 2 shown]
	s_xor_b64 s[48:49], s[12:13], -1
	v_cndmask_b32_e32 v20, 0, v8, vcc
	s_and_saveexec_b64 s[12:13], s[48:49]
	s_cbranch_execz .LBB69_26
; %bb.21:                               ;   in Loop: Header=BB69_20 Depth=3
	s_mov_b64 s[48:49], exec
	s_brev_b32 s50, -2
.LBB69_22:                              ;   Parent Loop BB69_7 Depth=1
                                        ;     Parent Loop BB69_13 Depth=2
                                        ;       Parent Loop BB69_20 Depth=3
                                        ; =>      This Inner Loop Header: Depth=4
	s_ff1_i32_b64 s51, s[48:49]
	v_readlane_b32 s58, v3, s51
	s_lshl_b64 s[52:53], 1, s51
	s_min_i32 s50, s50, s58
	s_andn2_b64 s[48:49], s[48:49], s[52:53]
	s_cmp_lg_u64 s[48:49], 0
	s_cbranch_scc1 .LBB69_22
; %bb.23:                               ;   in Loop: Header=BB69_20 Depth=3
	v_mbcnt_lo_u32_b32 v6, exec_lo, 0
	v_mbcnt_hi_u32_b32 v6, exec_hi, v6
	v_cmp_eq_u32_e32 vcc, 0, v6
	s_and_saveexec_b64 s[48:49], vcc
	s_xor_b64 s[48:49], exec, s[48:49]
	s_cbranch_execz .LBB69_25
; %bb.24:                               ;   in Loop: Header=BB69_20 Depth=3
	v_mov_b32_e32 v6, s50
	global_atomic_smin v4, v6, s[22:23]
.LBB69_25:                              ;   in Loop: Header=BB69_20 Depth=3
	s_or_b64 exec, exec, s[48:49]
	v_mov_b32_e32 v18, 0
	v_pk_mov_b32 v[20:21], 0, 0
	v_mov_b32_e32 v19, 0x3ff00000
.LBB69_26:                              ;   in Loop: Header=BB69_20 Depth=3
	s_or_b64 exec, exec, s[12:13]
	v_add_u32_e32 v6, s56, v49
	v_add_u32_e32 v7, s57, v48
	v_cndmask_b32_e64 v6, v7, v6, s[2:3]
	v_ashrrev_i32_e32 v7, 31, v6
	v_lshlrev_b64 v[6:7], 4, v[6:7]
	v_mov_b32_e32 v8, s31
	v_add_co_u32_e32 v22, vcc, s30, v6
	v_addc_co_u32_e32 v23, vcc, v8, v7, vcc
	global_load_dwordx4 v[6:9], v[22:23], off
	v_pk_mov_b32 v[24:25], 0, 0
	v_pk_mov_b32 v[26:27], v[24:25], v[24:25] op_sel:[0,1]
	s_and_saveexec_b64 s[12:13], s[10:11]
	s_cbranch_execz .LBB69_19
; %bb.27:                               ;   in Loop: Header=BB69_20 Depth=3
	global_load_dword v51, v[12:13], off
	v_pk_mov_b32 v[24:25], 0, 0
	v_add_u32_e32 v52, s56, v46
	s_mov_b64 s[48:49], 0
	v_mov_b32_e32 v53, v50
	v_mov_b32_e32 v28, v45
	v_pk_mov_b32 v[26:27], v[24:25], v[24:25] op_sel:[0,1]
	s_branch .LBB69_29
.LBB69_28:                              ;   in Loop: Header=BB69_29 Depth=4
	s_or_b64 exec, exec, s[50:51]
	v_add_u32_e32 v29, 1, v28
	v_cmp_ge_i32_e32 vcc, v28, v5
	v_add_u32_e32 v53, s25, v53
	s_or_b64 s[48:49], vcc, s[48:49]
	v_mov_b32_e32 v28, v29
	s_andn2_b64 exec, exec, s[48:49]
	s_cbranch_execz .LBB69_18
.LBB69_29:                              ;   Parent Loop BB69_7 Depth=1
                                        ;     Parent Loop BB69_13 Depth=2
                                        ;       Parent Loop BB69_20 Depth=3
                                        ; =>      This Loop Header: Depth=4
                                        ;           Child Loop BB69_31 Depth 5
                                        ;           Child Loop BB69_37 Depth 5
	v_ashrrev_i32_e32 v29, 31, v28
	v_lshlrev_b64 v[30:31], 2, v[28:29]
	v_mov_b32_e32 v29, s27
	v_add_co_u32_e32 v30, vcc, s26, v30
	v_addc_co_u32_e32 v31, vcc, v29, v31, vcc
	global_load_dword v29, v[30:31], off
	s_waitcnt vmcnt(1)
	v_mov_b32_e32 v31, v51
	v_mov_b32_e32 v30, v10
	s_and_saveexec_b64 s[50:51], s[8:9]
	s_cbranch_execz .LBB69_33
; %bb.30:                               ;   in Loop: Header=BB69_29 Depth=4
	s_mov_b64 s[52:53], 0
	v_mov_b32_e32 v31, v51
	v_mov_b32_e32 v30, v10
	;; [unrolled: 1-line block ×4, first 2 shown]
.LBB69_31:                              ;   Parent Loop BB69_7 Depth=1
                                        ;     Parent Loop BB69_13 Depth=2
                                        ;       Parent Loop BB69_20 Depth=3
                                        ;         Parent Loop BB69_29 Depth=4
                                        ; =>        This Inner Loop Header: Depth=5
	v_add_u32_e32 v54, 1, v30
	s_waitcnt vmcnt(0)
	v_cmp_lt_i32_e32 vcc, v31, v29
	v_cndmask_b32_e32 v33, v30, v33, vcc
	v_cndmask_b32_e32 v32, v32, v54, vcc
	v_add_u32_e32 v30, v33, v32
	v_ashrrev_i32_e32 v30, 1, v30
	v_ashrrev_i32_e32 v31, 31, v30
	v_lshlrev_b64 v[54:55], 2, v[30:31]
	v_mov_b32_e32 v31, s27
	v_add_co_u32_e32 v54, vcc, s26, v54
	v_addc_co_u32_e32 v55, vcc, v31, v55, vcc
	global_load_dword v31, v[54:55], off
	v_cmp_ge_i32_e32 vcc, v32, v33
	s_or_b64 s[52:53], vcc, s[52:53]
	s_andn2_b64 exec, exec, s[52:53]
	s_cbranch_execnz .LBB69_31
; %bb.32:                               ;   in Loop: Header=BB69_29 Depth=4
	s_or_b64 exec, exec, s[52:53]
.LBB69_33:                              ;   in Loop: Header=BB69_29 Depth=4
	s_or_b64 exec, exec, s[50:51]
	s_waitcnt vmcnt(0)
	v_cmp_eq_u32_e32 vcc, v31, v29
	s_and_saveexec_b64 s[50:51], vcc
	s_cbranch_execz .LBB69_28
; %bb.34:                               ;   in Loop: Header=BB69_29 Depth=4
	v_subrev_u32_e32 v29, s33, v29
	v_mul_lo_u32 v31, v28, s25
	v_mul_lo_u32 v30, v30, s25
	;; [unrolled: 1-line block ×3, first 2 shown]
	v_add_u32_e32 v54, s57, v31
	v_add_u32_e32 v55, v30, v44
	;; [unrolled: 1-line block ×3, first 2 shown]
	s_mov_b32 s58, 0
	v_mov_b32_e32 v57, v53
	s_branch .LBB69_37
.LBB69_35:                              ;   in Loop: Header=BB69_37 Depth=5
	v_ashrrev_i32_e32 v33, 31, v32
	v_lshlrev_b64 v[32:33], 4, v[32:33]
	v_mov_b32_e32 v59, s31
	v_add_co_u32_e32 v32, vcc, s30, v32
	v_ashrrev_i32_e32 v31, 31, v30
	v_addc_co_u32_e32 v33, vcc, v59, v33, vcc
	v_lshlrev_b64 v[30:31], 4, v[30:31]
	v_add_co_u32_e32 v58, vcc, s30, v30
	v_addc_co_u32_e32 v59, vcc, v59, v31, vcc
	global_load_dwordx4 v[30:33], v[32:33], off
	s_nop 0
	global_load_dwordx4 v[58:61], v[58:59], off
	s_waitcnt vmcnt(0)
	v_fmac_f64_e32 v[26:27], v[30:31], v[58:59]
	v_fmac_f64_e32 v[24:25], v[32:33], v[58:59]
	;; [unrolled: 1-line block ×3, first 2 shown]
	v_fma_f64 v[24:25], v[30:31], -v[60:61], v[24:25]
.LBB69_36:                              ;   in Loop: Header=BB69_37 Depth=5
	s_or_b64 exec, exec, s[52:53]
	s_add_i32 s58, s58, 1
	v_add_u32_e32 v56, s55, v56
	s_cmp_lg_u32 s55, s58
	v_add_u32_e32 v57, s55, v57
	s_cbranch_scc0 .LBB69_28
.LBB69_37:                              ;   Parent Loop BB69_7 Depth=1
                                        ;     Parent Loop BB69_13 Depth=2
                                        ;       Parent Loop BB69_20 Depth=3
                                        ;         Parent Loop BB69_29 Depth=4
                                        ; =>        This Inner Loop Header: Depth=5
	v_add_u32_e32 v30, s58, v29
	v_cmp_lt_i32_e32 vcc, v30, v52
	s_and_saveexec_b64 s[52:53], vcc
	s_cbranch_execz .LBB69_36
; %bb.38:                               ;   in Loop: Header=BB69_37 Depth=5
	s_andn2_b64 vcc, exec, s[2:3]
	v_mov_b32_e32 v30, v56
	v_mov_b32_e32 v32, v57
	s_cbranch_vccnz .LBB69_35
; %bb.39:                               ;   in Loop: Header=BB69_37 Depth=5
	v_add_u32_e32 v32, s58, v54
	v_add_u32_e32 v30, s58, v55
	s_branch .LBB69_35
.LBB69_40:                              ;   in Loop: Header=BB69_7 Depth=1
	s_or_b64 exec, exec, s[42:43]
.LBB69_41:                              ;   in Loop: Header=BB69_7 Depth=1
	s_or_b64 exec, exec, s[40:41]
	v_add_u32_e32 v30, v44, v38
	s_mov_b32 s44, 0
	v_mov_b32_e32 v31, v42
	s_branch .LBB69_44
.LBB69_42:                              ;   in Loop: Header=BB69_44 Depth=2
	v_mul_f64 v[26:27], v[2:3], v[2:3]
	v_fmac_f64_e32 v[26:27], v[18:19], v[18:19]
	v_div_scale_f64 v[28:29], s[12:13], v[26:27], v[26:27], 1.0
	v_rcp_f64_e32 v[32:33], v[28:29]
	s_waitcnt vmcnt(0)
	v_add_f64 v[22:23], v[6:7], -v[22:23]
	v_add_f64 v[8:9], v[8:9], -v[24:25]
	v_fma_f64 v[6:7], -v[28:29], v[32:33], 1.0
	v_fmac_f64_e32 v[32:33], v[32:33], v[6:7]
	v_fma_f64 v[6:7], -v[28:29], v[32:33], 1.0
	v_fmac_f64_e32 v[32:33], v[32:33], v[6:7]
	v_div_scale_f64 v[6:7], vcc, 1.0, v[26:27], 1.0
	v_mul_f64 v[24:25], v[6:7], v[32:33]
	v_fma_f64 v[6:7], -v[28:29], v[24:25], v[6:7]
	s_nop 1
	v_div_fmas_f64 v[6:7], v[6:7], v[32:33], v[24:25]
	v_div_fixup_f64 v[24:25], v[6:7], v[26:27], 1.0
	v_mul_f64 v[6:7], v[2:3], v[8:9]
	v_mul_f64 v[2:3], v[2:3], -v[22:23]
	v_fmac_f64_e32 v[6:7], v[22:23], v[18:19]
	v_fmac_f64_e32 v[2:3], v[8:9], v[18:19]
	v_mul_f64 v[6:7], v[24:25], v[6:7]
	v_mul_f64 v[8:9], v[24:25], v[2:3]
	v_fmac_f64_e32 v[16:17], v[6:7], v[6:7]
	v_fmac_f64_e32 v[14:15], v[8:9], v[6:7]
	;; [unrolled: 1-line block ×3, first 2 shown]
	v_fma_f64 v[14:15], v[6:7], -v[8:9], v[14:15]
	global_store_dwordx4 v[20:21], v[6:9], off
.LBB69_43:                              ;   in Loop: Header=BB69_44 Depth=2
	s_or_b64 exec, exec, s[10:11]
	s_add_i32 s44, s44, 1
	s_cmp_eq_u32 s44, s55
	v_add_u32_e32 v31, 1, v31
	s_waitcnt vmcnt(0)
	buffer_wbinvl1_vol
	s_cbranch_scc1 .LBB69_6
.LBB69_44:                              ;   Parent Loop BB69_7 Depth=1
                                        ; =>  This Loop Header: Depth=2
                                        ;       Child Loop BB69_54 Depth 3
                                        ;       Child Loop BB69_62 Depth 3
                                        ;         Child Loop BB69_64 Depth 4
                                        ;       Child Loop BB69_72 Depth 3
	s_mul_i32 s45, s44, s55
	v_add_u32_e32 v32, s45, v38
	v_add_u32_e32 v2, s44, v32
	v_ashrrev_i32_e32 v3, 31, v2
	v_cmp_eq_u32_e32 vcc, s44, v11
	v_lshlrev_b64 v[6:7], 4, v[2:3]
	s_and_saveexec_b64 s[10:11], vcc
	s_cbranch_execz .LBB69_52
; %bb.45:                               ;   in Loop: Header=BB69_44 Depth=2
	v_mov_b32_e32 v2, s31
	v_add_co_u32_e32 v8, vcc, s30, v6
	v_addc_co_u32_e32 v9, vcc, v2, v7, vcc
	global_load_dwordx4 v[18:21], v[8:9], off
	s_waitcnt vmcnt(0)
	v_add_f64 v[2:3], v[18:19], -v[16:17]
	v_add_f64 v[22:23], v[20:21], -v[14:15]
	v_xor_b32_e32 v5, 0x80000000, v3
	v_cmp_gt_f64_e32 vcc, 0, v[2:3]
	v_xor_b32_e32 v18, 0x80000000, v23
	v_cndmask_b32_e32 v3, v3, v5, vcc
	v_cndmask_b32_e32 v2, v2, v2, vcc
	v_cmp_gt_f64_e32 vcc, 0, v[22:23]
	v_cndmask_b32_e32 v19, v23, v18, vcc
	v_cndmask_b32_e32 v18, v22, v22, vcc
	v_cmp_ngt_f64_e32 vcc, v[2:3], v[18:19]
                                        ; implicit-def: $vgpr20_vgpr21
	s_and_saveexec_b64 s[12:13], vcc
	s_xor_b64 s[12:13], exec, s[12:13]
	s_cbranch_execz .LBB69_49
; %bb.46:                               ;   in Loop: Header=BB69_44 Depth=2
	v_cmp_neq_f64_e32 vcc, 0, v[22:23]
	v_pk_mov_b32 v[20:21], 0, 0
	s_and_saveexec_b64 s[40:41], vcc
	s_cbranch_execz .LBB69_48
; %bb.47:                               ;   in Loop: Header=BB69_44 Depth=2
	v_div_scale_f64 v[20:21], s[42:43], v[18:19], v[18:19], v[2:3]
	v_rcp_f64_e32 v[22:23], v[20:21]
	v_div_scale_f64 v[24:25], vcc, v[2:3], v[18:19], v[2:3]
	v_fma_f64 v[26:27], -v[20:21], v[22:23], 1.0
	v_fmac_f64_e32 v[22:23], v[22:23], v[26:27]
	v_fma_f64 v[26:27], -v[20:21], v[22:23], 1.0
	v_fmac_f64_e32 v[22:23], v[22:23], v[26:27]
	v_mul_f64 v[26:27], v[24:25], v[22:23]
	v_fma_f64 v[20:21], -v[20:21], v[26:27], v[24:25]
	v_div_fmas_f64 v[20:21], v[20:21], v[22:23], v[26:27]
	v_div_fixup_f64 v[2:3], v[20:21], v[18:19], v[2:3]
	v_fma_f64 v[2:3], v[2:3], v[2:3], 1.0
	v_cmp_gt_f64_e32 vcc, s[36:37], v[2:3]
	v_cndmask_b32_e64 v5, 0, 1, vcc
	v_lshlrev_b32_e32 v5, 8, v5
	v_ldexp_f64 v[2:3], v[2:3], v5
	v_rsq_f64_e32 v[20:21], v[2:3]
	v_cndmask_b32_e32 v5, 0, v37, vcc
	v_cmp_class_f64_e32 vcc, v[2:3], v35
	v_mul_f64 v[22:23], v[2:3], v[20:21]
	v_mul_f64 v[20:21], v[20:21], 0.5
	v_fma_f64 v[24:25], -v[20:21], v[22:23], 0.5
	v_fmac_f64_e32 v[22:23], v[22:23], v[24:25]
	v_fma_f64 v[26:27], -v[22:23], v[22:23], v[2:3]
	v_fmac_f64_e32 v[20:21], v[20:21], v[24:25]
	v_fmac_f64_e32 v[22:23], v[26:27], v[20:21]
	v_fma_f64 v[24:25], -v[22:23], v[22:23], v[2:3]
	v_fmac_f64_e32 v[22:23], v[24:25], v[20:21]
	v_ldexp_f64 v[20:21], v[22:23], v5
	v_cndmask_b32_e32 v3, v21, v3, vcc
	v_cndmask_b32_e32 v2, v20, v2, vcc
	v_mul_f64 v[20:21], v[18:19], v[2:3]
.LBB69_48:                              ;   in Loop: Header=BB69_44 Depth=2
	s_or_b64 exec, exec, s[40:41]
                                        ; implicit-def: $vgpr2_vgpr3
                                        ; implicit-def: $vgpr18_vgpr19
.LBB69_49:                              ;   in Loop: Header=BB69_44 Depth=2
	s_andn2_saveexec_b64 s[12:13], s[12:13]
	s_cbranch_execz .LBB69_51
; %bb.50:                               ;   in Loop: Header=BB69_44 Depth=2
	v_div_scale_f64 v[20:21], s[40:41], v[2:3], v[2:3], v[18:19]
	v_rcp_f64_e32 v[22:23], v[20:21]
	v_div_scale_f64 v[24:25], vcc, v[18:19], v[2:3], v[18:19]
	v_fma_f64 v[26:27], -v[20:21], v[22:23], 1.0
	v_fmac_f64_e32 v[22:23], v[22:23], v[26:27]
	v_fma_f64 v[26:27], -v[20:21], v[22:23], 1.0
	v_fmac_f64_e32 v[22:23], v[22:23], v[26:27]
	v_mul_f64 v[26:27], v[24:25], v[22:23]
	v_fma_f64 v[20:21], -v[20:21], v[26:27], v[24:25]
	v_div_fmas_f64 v[20:21], v[20:21], v[22:23], v[26:27]
	v_div_fixup_f64 v[18:19], v[20:21], v[2:3], v[18:19]
	v_fma_f64 v[18:19], v[18:19], v[18:19], 1.0
	v_cmp_gt_f64_e32 vcc, s[36:37], v[18:19]
	v_cndmask_b32_e64 v5, 0, 1, vcc
	v_lshlrev_b32_e32 v5, 8, v5
	v_ldexp_f64 v[18:19], v[18:19], v5
	v_rsq_f64_e32 v[20:21], v[18:19]
	v_cndmask_b32_e32 v5, 0, v37, vcc
	v_cmp_class_f64_e32 vcc, v[18:19], v35
	v_mul_f64 v[22:23], v[18:19], v[20:21]
	v_mul_f64 v[20:21], v[20:21], 0.5
	v_fma_f64 v[24:25], -v[20:21], v[22:23], 0.5
	v_fmac_f64_e32 v[22:23], v[22:23], v[24:25]
	v_fma_f64 v[26:27], -v[22:23], v[22:23], v[18:19]
	v_fmac_f64_e32 v[20:21], v[20:21], v[24:25]
	v_fmac_f64_e32 v[22:23], v[26:27], v[20:21]
	v_fma_f64 v[24:25], -v[22:23], v[22:23], v[18:19]
	v_fmac_f64_e32 v[22:23], v[24:25], v[20:21]
	v_ldexp_f64 v[20:21], v[22:23], v5
	v_cndmask_b32_e32 v19, v21, v19, vcc
	v_cndmask_b32_e32 v18, v20, v18, vcc
	v_mul_f64 v[20:21], v[2:3], v[18:19]
.LBB69_51:                              ;   in Loop: Header=BB69_44 Depth=2
	s_or_b64 exec, exec, s[12:13]
	v_cmp_gt_f64_e32 vcc, s[36:37], v[20:21]
	v_cndmask_b32_e64 v2, 0, 1, vcc
	v_lshlrev_b32_e32 v2, 8, v2
	v_ldexp_f64 v[2:3], v[20:21], v2
	v_rsq_f64_e32 v[18:19], v[2:3]
	v_cndmask_b32_e32 v5, 0, v37, vcc
	v_cmp_class_f64_e32 vcc, v[2:3], v35
	v_mul_f64 v[20:21], v[2:3], v[18:19]
	v_mul_f64 v[18:19], v[18:19], 0.5
	v_fma_f64 v[22:23], -v[18:19], v[20:21], 0.5
	v_fmac_f64_e32 v[20:21], v[20:21], v[22:23]
	v_fmac_f64_e32 v[18:19], v[18:19], v[22:23]
	v_fma_f64 v[22:23], -v[20:21], v[20:21], v[2:3]
	v_fmac_f64_e32 v[20:21], v[22:23], v[18:19]
	v_fma_f64 v[22:23], -v[20:21], v[20:21], v[2:3]
	v_fmac_f64_e32 v[20:21], v[22:23], v[18:19]
	v_ldexp_f64 v[18:19], v[20:21], v5
	v_cndmask_b32_e32 v3, v19, v3, vcc
	v_cndmask_b32_e32 v2, v18, v2, vcc
	v_mov_b32_e32 v5, v4
	global_store_dwordx4 v[8:9], v[2:5], off
.LBB69_52:                              ;   in Loop: Header=BB69_44 Depth=2
	s_or_b64 exec, exec, s[10:11]
	v_mov_b32_e32 v3, s31
	v_add_co_u32_e32 v2, vcc, s30, v6
	v_addc_co_u32_e32 v3, vcc, v3, v7, vcc
	s_waitcnt vmcnt(0)
	buffer_wbinvl1_vol
	global_load_dwordx4 v[6:9], v[2:3], off
	s_waitcnt vmcnt(0)
	v_cmp_neq_f64_e32 vcc, 0, v[6:7]
	v_cmp_neq_f64_e64 s[10:11], 0, v[8:9]
	s_or_b64 vcc, vcc, s[10:11]
	s_or_b64 s[10:11], vcc, s[0:1]
	v_cndmask_b32_e32 v3, 0, v9, vcc
	v_cndmask_b32_e32 v2, 0, v8, vcc
	;; [unrolled: 1-line block ×3, first 2 shown]
	s_xor_b64 s[12:13], s[10:11], -1
	v_cndmask_b32_e32 v18, 0, v6, vcc
	s_and_saveexec_b64 s[10:11], s[12:13]
	s_cbranch_execz .LBB69_58
; %bb.53:                               ;   in Loop: Header=BB69_44 Depth=2
	s_mov_b64 s[12:13], exec
	s_brev_b32 s40, -2
.LBB69_54:                              ;   Parent Loop BB69_7 Depth=1
                                        ;     Parent Loop BB69_44 Depth=2
                                        ; =>    This Inner Loop Header: Depth=3
	s_ff1_i32_b64 s41, s[12:13]
	v_readlane_b32 s46, v34, s41
	s_lshl_b64 s[42:43], 1, s41
	s_min_i32 s40, s40, s46
	s_andn2_b64 s[12:13], s[12:13], s[42:43]
	s_cmp_lg_u64 s[12:13], 0
	s_cbranch_scc1 .LBB69_54
; %bb.55:                               ;   in Loop: Header=BB69_44 Depth=2
	v_mbcnt_lo_u32_b32 v2, exec_lo, 0
	v_mbcnt_hi_u32_b32 v2, exec_hi, v2
	v_cmp_eq_u32_e32 vcc, 0, v2
	s_and_saveexec_b64 s[12:13], vcc
	s_xor_b64 s[12:13], exec, s[12:13]
	s_cbranch_execz .LBB69_57
; %bb.56:                               ;   in Loop: Header=BB69_44 Depth=2
	v_mov_b32_e32 v2, s40
	global_atomic_smin v4, v2, s[22:23]
.LBB69_57:                              ;   in Loop: Header=BB69_44 Depth=2
	s_or_b64 exec, exec, s[12:13]
	v_mov_b32_e32 v18, 0
	v_mov_b32_e32 v19, 0x3ff00000
	v_pk_mov_b32 v[2:3], 0, 0
.LBB69_58:                              ;   in Loop: Header=BB69_44 Depth=2
	s_or_b64 exec, exec, s[10:11]
	v_cmp_lt_i32_e32 vcc, s44, v11
	s_and_saveexec_b64 s[10:11], vcc
	s_cbranch_execz .LBB69_43
; %bb.59:                               ;   in Loop: Header=BB69_44 Depth=2
	v_add_u32_e32 v5, s44, v30
	v_add_u32_e32 v6, v32, v11
	v_cndmask_b32_e64 v6, v6, v5, s[2:3]
	v_ashrrev_i32_e32 v7, 31, v6
	v_lshlrev_b64 v[6:7], 4, v[6:7]
	v_mov_b32_e32 v5, s31
	v_add_co_u32_e32 v20, vcc, s30, v6
	v_addc_co_u32_e32 v21, vcc, v5, v7, vcc
	global_load_dwordx4 v[6:9], v[20:21], off
	v_pk_mov_b32 v[22:23], 0, 0
	v_pk_mov_b32 v[24:25], v[22:23], v[22:23] op_sel:[0,1]
	s_and_saveexec_b64 s[12:13], s[4:5]
	s_cbranch_execz .LBB69_69
; %bb.60:                               ;   in Loop: Header=BB69_44 Depth=2
	v_pk_mov_b32 v[22:23], 0, 0
	s_mov_b64 s[40:41], 0
	v_mov_b32_e32 v5, v31
	v_mov_b32_e32 v33, v43
	;; [unrolled: 1-line block ×3, first 2 shown]
	v_pk_mov_b32 v[24:25], v[22:23], v[22:23] op_sel:[0,1]
	s_branch .LBB69_62
.LBB69_61:                              ;   in Loop: Header=BB69_62 Depth=3
	v_add_u32_e32 v45, 1, v45
	v_cmp_le_i32_e32 vcc, s54, v45
	v_add_u32_e32 v33, s25, v33
	s_or_b64 s[40:41], vcc, s[40:41]
	v_add_u32_e32 v5, s25, v5
	s_andn2_b64 exec, exec, s[40:41]
	s_cbranch_execz .LBB69_68
.LBB69_62:                              ;   Parent Loop BB69_7 Depth=1
                                        ;     Parent Loop BB69_44 Depth=2
                                        ; =>    This Loop Header: Depth=3
                                        ;         Child Loop BB69_64 Depth 4
	v_mul_lo_u32 v26, v45, s25
	v_add_u32_e32 v46, s45, v26
	v_add_u32_e32 v47, v26, v44
	s_mov_b32 s46, 0
	s_mov_b32 s47, s55
	;; [unrolled: 1-line block ×3, first 2 shown]
	s_branch .LBB69_64
.LBB69_63:                              ;   in Loop: Header=BB69_64 Depth=4
	v_ashrrev_i32_e32 v29, 31, v28
	v_lshlrev_b64 v[28:29], 4, v[28:29]
	v_mov_b32_e32 v49, s31
	v_add_co_u32_e32 v28, vcc, s30, v28
	v_ashrrev_i32_e32 v27, 31, v26
	v_addc_co_u32_e32 v29, vcc, v49, v29, vcc
	v_lshlrev_b64 v[26:27], 4, v[26:27]
	v_add_co_u32_e32 v48, vcc, s30, v26
	v_addc_co_u32_e32 v49, vcc, v49, v27, vcc
	global_load_dwordx4 v[26:29], v[28:29], off
	s_nop 0
	global_load_dwordx4 v[48:51], v[48:49], off
	s_add_i32 s48, s48, 1
	s_add_i32 s46, s46, s55
	s_add_i32 s47, s47, -1
	s_cmp_eq_u32 s47, 0
	s_waitcnt vmcnt(0)
	v_fmac_f64_e32 v[22:23], v[48:49], v[26:27]
	v_fmac_f64_e32 v[24:25], v[50:51], v[26:27]
	;; [unrolled: 1-line block ×3, first 2 shown]
	v_fma_f64 v[24:25], v[48:49], -v[28:29], v[24:25]
	s_cbranch_scc1 .LBB69_61
.LBB69_64:                              ;   Parent Loop BB69_7 Depth=1
                                        ;     Parent Loop BB69_44 Depth=2
                                        ;       Parent Loop BB69_62 Depth=3
                                        ; =>      This Inner Loop Header: Depth=4
	s_and_b64 vcc, exec, s[38:39]
	s_cbranch_vccz .LBB69_66
; %bb.65:                               ;   in Loop: Header=BB69_64 Depth=4
	v_add_u32_e32 v26, s46, v5
	v_add_u32_e32 v28, s46, v33
	s_cbranch_execnz .LBB69_63
	s_branch .LBB69_67
.LBB69_66:                              ;   in Loop: Header=BB69_64 Depth=4
                                        ; implicit-def: $vgpr28
                                        ; implicit-def: $vgpr26
.LBB69_67:                              ;   in Loop: Header=BB69_64 Depth=4
	v_add_u32_e32 v26, s48, v46
	v_add_u32_e32 v28, s48, v47
	s_branch .LBB69_63
.LBB69_68:                              ;   in Loop: Header=BB69_44 Depth=2
	s_or_b64 exec, exec, s[40:41]
.LBB69_69:                              ;   in Loop: Header=BB69_44 Depth=2
	s_or_b64 exec, exec, s[12:13]
	s_cmp_eq_u32 s44, 0
	s_cbranch_scc1 .LBB69_42
; %bb.70:                               ;   in Loop: Header=BB69_44 Depth=2
	s_mov_b32 s40, 0
	v_mov_b32_e32 v5, v38
	s_branch .LBB69_72
.LBB69_71:                              ;   in Loop: Header=BB69_72 Depth=3
	v_ashrrev_i32_e32 v29, 31, v28
	v_lshlrev_b64 v[28:29], 4, v[28:29]
	v_mov_b32_e32 v33, s31
	v_add_co_u32_e32 v50, vcc, s30, v28
	v_ashrrev_i32_e32 v27, 31, v26
	v_addc_co_u32_e32 v51, vcc, v33, v29, vcc
	v_lshlrev_b64 v[26:27], 4, v[26:27]
	v_add_co_u32_e32 v52, vcc, s30, v26
	v_addc_co_u32_e32 v53, vcc, v33, v27, vcc
	global_load_dwordx4 v[26:29], v[50:51], off
	global_load_dwordx4 v[46:49], v[52:53], off
	s_add_i32 s40, s40, 1
	s_cmp_ge_u32 s40, s44
	v_add_u32_e32 v5, s55, v5
	s_waitcnt vmcnt(0)
	v_fmac_f64_e32 v[22:23], v[46:47], v[26:27]
	v_fmac_f64_e32 v[24:25], v[48:49], v[26:27]
	v_fmac_f64_e32 v[22:23], v[48:49], v[28:29]
	v_fma_f64 v[24:25], v[46:47], -v[28:29], v[24:25]
	s_cbranch_scc1 .LBB69_42
.LBB69_72:                              ;   Parent Loop BB69_7 Depth=1
                                        ;     Parent Loop BB69_44 Depth=2
                                        ; =>    This Inner Loop Header: Depth=3
	s_and_b64 vcc, exec, s[38:39]
	s_cbranch_vccz .LBB69_74
; %bb.73:                               ;   in Loop: Header=BB69_72 Depth=3
	v_add_u32_e32 v26, s44, v5
	v_add_u32_e32 v28, v11, v5
	s_cbranch_execnz .LBB69_71
	s_branch .LBB69_75
.LBB69_74:                              ;   in Loop: Header=BB69_72 Depth=3
                                        ; implicit-def: $vgpr28
                                        ; implicit-def: $vgpr26
.LBB69_75:                              ;   in Loop: Header=BB69_72 Depth=3
	v_add_u32_e32 v26, s40, v32
	v_add_u32_e32 v28, s40, v30
	s_branch .LBB69_71
.LBB69_76:
	s_or_b64 exec, exec, s[28:29]
	v_cmp_eq_u32_e32 vcc, 63, v0
	s_and_b64 s[0:1], vcc, exec
                                        ; implicit-def: $vgpr0
                                        ; implicit-def: $vgpr2_vgpr3
	s_andn2_saveexec_b64 s[2:3], s[20:21]
	s_cbranch_execz .LBB69_2
.LBB69_77:
	v_cmp_eq_u32_e32 vcc, 63, v0
	s_mov_b64 s[6:7], s[0:1]
	s_and_saveexec_b64 s[4:5], vcc
	s_cbranch_execz .LBB69_83
; %bb.78:
	s_mov_b64 s[6:7], exec
	v_add_u32_e32 v0, s33, v2
	s_brev_b32 s8, -2
.LBB69_79:                              ; =>This Inner Loop Header: Depth=1
	s_ff1_i32_b64 s9, s[6:7]
	v_readlane_b32 s12, v0, s9
	s_lshl_b64 s[10:11], 1, s9
	s_min_i32 s8, s8, s12
	s_andn2_b64 s[6:7], s[6:7], s[10:11]
	s_cmp_lg_u64 s[6:7], 0
	s_cbranch_scc1 .LBB69_79
; %bb.80:
	v_mbcnt_lo_u32_b32 v0, exec_lo, 0
	v_mbcnt_hi_u32_b32 v0, exec_hi, v0
	v_cmp_eq_u32_e32 vcc, 0, v0
	s_and_saveexec_b64 s[6:7], vcc
	s_xor_b64 s[6:7], exec, s[6:7]
	s_cbranch_execz .LBB69_82
; %bb.81:
	v_mov_b32_e32 v0, 0
	v_mov_b32_e32 v1, s8
	global_atomic_smin v0, v1, s[22:23]
.LBB69_82:
	s_or_b64 exec, exec, s[6:7]
	s_or_b64 s[6:7], s[0:1], exec
.LBB69_83:
	s_or_b64 exec, exec, s[4:5]
	s_andn2_b64 s[0:1], s[0:1], exec
	s_and_b64 s[4:5], s[6:7], exec
	s_or_b64 s[0:1], s[0:1], s[4:5]
	s_or_b64 exec, exec, s[2:3]
	s_and_saveexec_b64 s[2:3], s[0:1]
	s_cbranch_execz .LBB69_3
.LBB69_84:
	v_lshlrev_b64 v[0:1], 2, s[14:15]
	v_mov_b32_e32 v2, s19
	v_add_co_u32_e32 v0, vcc, s18, v0
	v_addc_co_u32_e32 v1, vcc, v2, v1, vcc
	v_mov_b32_e32 v2, 1
	s_waitcnt vmcnt(0)
	global_store_dword v[0:1], v2, off
	s_endpgm
	.section	.rodata,"a",@progbits
	.p2align	6, 0x0
	.amdhsa_kernel _ZN9rocsparseL23bsric0_binsearch_kernelILj64ELj64ELb0E21rocsparse_complex_numIdEEEv20rocsparse_direction_iiPKiS5_PT2_S5_PiS5_S8_21rocsparse_index_base_
		.amdhsa_group_segment_fixed_size 0
		.amdhsa_private_segment_fixed_size 0
		.amdhsa_kernarg_size 76
		.amdhsa_user_sgpr_count 6
		.amdhsa_user_sgpr_private_segment_buffer 1
		.amdhsa_user_sgpr_dispatch_ptr 0
		.amdhsa_user_sgpr_queue_ptr 0
		.amdhsa_user_sgpr_kernarg_segment_ptr 1
		.amdhsa_user_sgpr_dispatch_id 0
		.amdhsa_user_sgpr_flat_scratch_init 0
		.amdhsa_user_sgpr_kernarg_preload_length 0
		.amdhsa_user_sgpr_kernarg_preload_offset 0
		.amdhsa_user_sgpr_private_segment_size 0
		.amdhsa_uses_dynamic_stack 0
		.amdhsa_system_sgpr_private_segment_wavefront_offset 0
		.amdhsa_system_sgpr_workgroup_id_x 1
		.amdhsa_system_sgpr_workgroup_id_y 0
		.amdhsa_system_sgpr_workgroup_id_z 0
		.amdhsa_system_sgpr_workgroup_info 0
		.amdhsa_system_vgpr_workitem_id 0
		.amdhsa_next_free_vgpr 62
		.amdhsa_next_free_sgpr 59
		.amdhsa_accum_offset 64
		.amdhsa_reserve_vcc 1
		.amdhsa_reserve_flat_scratch 0
		.amdhsa_float_round_mode_32 0
		.amdhsa_float_round_mode_16_64 0
		.amdhsa_float_denorm_mode_32 3
		.amdhsa_float_denorm_mode_16_64 3
		.amdhsa_dx10_clamp 1
		.amdhsa_ieee_mode 1
		.amdhsa_fp16_overflow 0
		.amdhsa_tg_split 0
		.amdhsa_exception_fp_ieee_invalid_op 0
		.amdhsa_exception_fp_denorm_src 0
		.amdhsa_exception_fp_ieee_div_zero 0
		.amdhsa_exception_fp_ieee_overflow 0
		.amdhsa_exception_fp_ieee_underflow 0
		.amdhsa_exception_fp_ieee_inexact 0
		.amdhsa_exception_int_div_zero 0
	.end_amdhsa_kernel
	.section	.text._ZN9rocsparseL23bsric0_binsearch_kernelILj64ELj64ELb0E21rocsparse_complex_numIdEEEv20rocsparse_direction_iiPKiS5_PT2_S5_PiS5_S8_21rocsparse_index_base_,"axG",@progbits,_ZN9rocsparseL23bsric0_binsearch_kernelILj64ELj64ELb0E21rocsparse_complex_numIdEEEv20rocsparse_direction_iiPKiS5_PT2_S5_PiS5_S8_21rocsparse_index_base_,comdat
.Lfunc_end69:
	.size	_ZN9rocsparseL23bsric0_binsearch_kernelILj64ELj64ELb0E21rocsparse_complex_numIdEEEv20rocsparse_direction_iiPKiS5_PT2_S5_PiS5_S8_21rocsparse_index_base_, .Lfunc_end69-_ZN9rocsparseL23bsric0_binsearch_kernelILj64ELj64ELb0E21rocsparse_complex_numIdEEEv20rocsparse_direction_iiPKiS5_PT2_S5_PiS5_S8_21rocsparse_index_base_
                                        ; -- End function
	.section	.AMDGPU.csdata,"",@progbits
; Kernel info:
; codeLenInByte = 3536
; NumSgprs: 63
; NumVgprs: 62
; NumAgprs: 0
; TotalNumVgprs: 62
; ScratchSize: 0
; MemoryBound: 0
; FloatMode: 240
; IeeeMode: 1
; LDSByteSize: 0 bytes/workgroup (compile time only)
; SGPRBlocks: 7
; VGPRBlocks: 7
; NumSGPRsForWavesPerEU: 63
; NumVGPRsForWavesPerEU: 62
; AccumOffset: 64
; Occupancy: 8
; WaveLimiterHint : 1
; COMPUTE_PGM_RSRC2:SCRATCH_EN: 0
; COMPUTE_PGM_RSRC2:USER_SGPR: 6
; COMPUTE_PGM_RSRC2:TRAP_HANDLER: 0
; COMPUTE_PGM_RSRC2:TGID_X_EN: 1
; COMPUTE_PGM_RSRC2:TGID_Y_EN: 0
; COMPUTE_PGM_RSRC2:TGID_Z_EN: 0
; COMPUTE_PGM_RSRC2:TIDIG_COMP_CNT: 0
; COMPUTE_PGM_RSRC3_GFX90A:ACCUM_OFFSET: 15
; COMPUTE_PGM_RSRC3_GFX90A:TG_SPLIT: 0
	.section	.text._ZN9rocsparseL17bsric0_2_8_kernelILi64ELi64ELi8E21rocsparse_complex_numIdEEEv20rocsparse_direction_iiPKiS5_PT2_S5_PiS5_S8_21rocsparse_index_base_,"axG",@progbits,_ZN9rocsparseL17bsric0_2_8_kernelILi64ELi64ELi8E21rocsparse_complex_numIdEEEv20rocsparse_direction_iiPKiS5_PT2_S5_PiS5_S8_21rocsparse_index_base_,comdat
	.globl	_ZN9rocsparseL17bsric0_2_8_kernelILi64ELi64ELi8E21rocsparse_complex_numIdEEEv20rocsparse_direction_iiPKiS5_PT2_S5_PiS5_S8_21rocsparse_index_base_ ; -- Begin function _ZN9rocsparseL17bsric0_2_8_kernelILi64ELi64ELi8E21rocsparse_complex_numIdEEEv20rocsparse_direction_iiPKiS5_PT2_S5_PiS5_S8_21rocsparse_index_base_
	.p2align	8
	.type	_ZN9rocsparseL17bsric0_2_8_kernelILi64ELi64ELi8E21rocsparse_complex_numIdEEEv20rocsparse_direction_iiPKiS5_PT2_S5_PiS5_S8_21rocsparse_index_base_,@function
_ZN9rocsparseL17bsric0_2_8_kernelILi64ELi64ELi8E21rocsparse_complex_numIdEEEv20rocsparse_direction_iiPKiS5_PT2_S5_PiS5_S8_21rocsparse_index_base_: ; @_ZN9rocsparseL17bsric0_2_8_kernelILi64ELi64ELi8E21rocsparse_complex_numIdEEEv20rocsparse_direction_iiPKiS5_PT2_S5_PiS5_S8_21rocsparse_index_base_
; %bb.0:
	s_load_dwordx8 s[12:19], s[4:5], 0x28
	s_mov_b32 s7, 0
	s_lshl_b64 s[0:1], s[6:7], 2
	v_and_b32_e32 v13, 0x3ff, v0
	v_bfe_u32 v22, v0, 10, 10
	s_waitcnt lgkmcnt(0)
	s_add_u32 s0, s16, s0
	s_addc_u32 s1, s17, s1
	s_load_dword s16, s[0:1], 0x0
	s_waitcnt lgkmcnt(0)
	s_ashr_i32 s17, s16, 31
	s_lshl_b64 s[10:11], s[16:17], 2
	s_add_u32 s0, s12, s10
	s_addc_u32 s1, s13, s11
	s_load_dword s33, s[0:1], 0x0
	s_load_dword s17, s[4:5], 0x48
	s_waitcnt lgkmcnt(0)
	s_cmp_lg_u32 s33, -1
	s_cbranch_scc0 .LBB70_92
; %bb.1:
	s_load_dwordx4 s[20:23], s[4:5], 0x10
	s_load_dwordx2 s[24:25], s[4:5], 0x20
	v_lshlrev_b32_e32 v1, 3, v22
	v_add_u32_e32 v2, v1, v13
	s_waitcnt lgkmcnt(0)
	s_add_u32 s0, s20, s10
	s_addc_u32 s1, s21, s11
	s_load_dword s26, s[0:1], 0x0
	s_waitcnt lgkmcnt(0)
	s_sub_i32 s40, s26, s17
	v_add_u32_e32 v0, s40, v2
	v_cmp_ge_i32_e32 vcc, s33, v0
	s_and_saveexec_b64 s[0:1], vcc
	s_cbranch_execz .LBB70_14
; %bb.2:
	v_add_u32_e32 v2, s26, v2
	v_subrev_u32_e32 v2, s17, v2
	v_add_u32_e32 v2, 64, v2
	s_add_i32 s2, s33, 1
	v_max_i32_e32 v2, s2, v2
	v_not_b32_e32 v3, v13
	v_add3_u32 v2, v2, s17, v3
	v_add_u32_e32 v1, s26, v1
	v_sub_u32_e32 v1, v2, v1
	v_cmp_lt_u32_e32 vcc, 63, v1
	s_mov_b64 s[6:7], -1
	s_and_saveexec_b64 s[2:3], vcc
	s_cbranch_execz .LBB70_11
; %bb.3:
	v_lshrrev_b32_e32 v12, 6, v1
	v_add_u32_e32 v2, -1, v12
	v_add_u32_e32 v1, 64, v0
	v_lshrrev_b32_e32 v3, 1, v2
	v_add_u32_e32 v14, 1, v3
	v_cmp_lt_u32_e32 vcc, 13, v2
	v_pk_mov_b32 v[2:3], v[0:1], v[0:1] op_sel:[0,1]
	s_and_saveexec_b64 s[6:7], vcc
	s_cbranch_execz .LBB70_7
; %bb.4:
	v_and_b32_e32 v15, -8, v14
	s_mov_b64 s[8:9], 0
	v_mov_b32_e32 v16, s23
	v_pk_mov_b32 v[2:3], v[0:1], v[0:1] op_sel:[0,1]
.LBB70_5:                               ; =>This Inner Loop Header: Depth=1
	v_ashrrev_i32_e32 v21, 31, v2
	v_mov_b32_e32 v20, v2
	v_lshlrev_b64 v[20:21], 2, v[20:21]
	v_ashrrev_i32_e32 v19, 31, v3
	v_mov_b32_e32 v18, v3
	v_add_co_u32_e32 v20, vcc, s22, v20
	v_add_u32_e32 v4, 0x80, v2
	v_lshlrev_b64 v[18:19], 2, v[18:19]
	v_addc_co_u32_e32 v21, vcc, v16, v21, vcc
	v_ashrrev_i32_e32 v5, 31, v4
	v_add_co_u32_e32 v18, vcc, s22, v18
	v_add_u32_e32 v6, 0x80, v3
	v_addc_co_u32_e32 v19, vcc, v16, v19, vcc
	v_lshlrev_b64 v[44:45], 2, v[4:5]
	v_ashrrev_i32_e32 v7, 31, v6
	global_load_dword v1, v[20:21], off
	global_load_dword v5, v[18:19], off
	v_add_co_u32_e32 v18, vcc, s22, v44
	v_add_u32_e32 v8, 0x100, v2
	v_lshlrev_b64 v[46:47], 2, v[6:7]
	v_addc_co_u32_e32 v19, vcc, v16, v45, vcc
	v_ashrrev_i32_e32 v9, 31, v8
	v_add_co_u32_e32 v20, vcc, s22, v46
	v_add_u32_e32 v10, 0x100, v3
	v_lshlrev_b64 v[48:49], 2, v[8:9]
	v_addc_co_u32_e32 v21, vcc, v16, v47, vcc
	v_ashrrev_i32_e32 v11, 31, v10
	;; [unrolled: 5-line block ×12, first 2 shown]
	v_add_co_u32_e32 v64, vcc, s22, v68
	v_lshlrev_b64 v[70:71], 2, v[42:43]
	v_addc_co_u32_e32 v65, vcc, v16, v69, vcc
	v_add_co_u32_e32 v66, vcc, s22, v70
	v_addc_co_u32_e32 v67, vcc, v16, v71, vcc
	global_load_dword v7, v[20:21], off
	global_load_dword v9, v[18:19], off
	global_load_dword v11, v[46:47], off
	global_load_dword v17, v[44:45], off
	global_load_dword v23, v[50:51], off
	global_load_dword v25, v[48:49], off
	global_load_dword v27, v[54:55], off
	global_load_dword v29, v[52:53], off
	global_load_dword v31, v[58:59], off
	global_load_dword v33, v[56:57], off
	global_load_dword v35, v[62:63], off
	global_load_dword v37, v[60:61], off
	global_load_dword v39, v[66:67], off
	global_load_dword v41, v[64:65], off
	v_subrev_u32_e32 v19, s40, v2
	v_add_u32_e32 v15, -8, v15
	v_subrev_u32_e32 v18, s40, v3
	v_lshlrev_b32_e32 v19, 2, v19
	v_subrev_u32_e32 v4, s40, v4
	v_cmp_eq_u32_e32 vcc, 0, v15
	s_waitcnt vmcnt(14)
	v_subrev_u32_e32 v5, s17, v5
	v_subrev_u32_e32 v1, s17, v1
	v_add_u32_e32 v3, 0x400, v3
	v_add_u32_e32 v2, 0x400, v2
	v_lshlrev_b32_e32 v18, 2, v18
	v_subrev_u32_e32 v6, s40, v6
	v_subrev_u32_e32 v10, s40, v10
	;; [unrolled: 1-line block ×13, first 2 shown]
	v_lshlrev_b32_e32 v4, 2, v4
	s_or_b64 s[8:9], vcc, s[8:9]
	ds_write_b32 v19, v1 offset:5120
	ds_write_b32 v18, v5 offset:5120
	v_lshlrev_b32_e32 v6, 2, v6
	v_lshlrev_b32_e32 v8, 2, v8
	;; [unrolled: 1-line block ×13, first 2 shown]
	s_waitcnt vmcnt(13)
	v_subrev_u32_e32 v1, s17, v7
	s_waitcnt vmcnt(12)
	v_subrev_u32_e32 v5, s17, v9
	;; [unrolled: 2-line block ×14, first 2 shown]
	ds_write_b32 v4, v5 offset:5120
	ds_write_b32 v6, v1 offset:5120
	ds_write_b32 v8, v9 offset:5120
	ds_write_b32 v10, v7 offset:5120
	ds_write_b32 v21, v17 offset:5120
	ds_write_b32 v20, v11 offset:5120
	ds_write_b32 v26, v19 offset:5120
	ds_write_b32 v24, v18 offset:5120
	ds_write_b32 v30, v25 offset:5120
	ds_write_b32 v28, v23 offset:5120
	ds_write_b32 v34, v29 offset:5120
	ds_write_b32 v32, v27 offset:5120
	ds_write_b32 v38, v33 offset:5120
	ds_write_b32 v36, v31 offset:5120
	s_andn2_b64 exec, exec, s[8:9]
	s_cbranch_execnz .LBB70_5
; %bb.6:
	s_or_b64 exec, exec, s[8:9]
.LBB70_7:
	s_or_b64 exec, exec, s[6:7]
	v_and_b32_e32 v1, 7, v14
	v_cmp_ne_u32_e32 vcc, 0, v1
	s_and_saveexec_b64 s[6:7], vcc
	s_cbranch_execz .LBB70_10
; %bb.8:
	s_mov_b64 s[8:9], 0
	v_mov_b32_e32 v4, s23
.LBB70_9:                               ; =>This Inner Loop Header: Depth=1
	v_ashrrev_i32_e32 v9, 31, v2
	v_mov_b32_e32 v8, v2
	v_lshlrev_b64 v[8:9], 2, v[8:9]
	v_ashrrev_i32_e32 v7, 31, v3
	v_mov_b32_e32 v6, v3
	v_add_co_u32_e32 v8, vcc, s22, v8
	v_lshlrev_b64 v[6:7], 2, v[6:7]
	v_addc_co_u32_e32 v9, vcc, v4, v9, vcc
	v_add_co_u32_e32 v6, vcc, s22, v6
	v_addc_co_u32_e32 v7, vcc, v4, v7, vcc
	global_load_dword v5, v[6:7], off
	global_load_dword v10, v[8:9], off
	v_add_u32_e32 v1, -1, v1
	v_subrev_u32_e32 v7, s40, v2
	v_cmp_eq_u32_e32 vcc, 0, v1
	v_subrev_u32_e32 v6, s40, v3
	v_add_u32_e32 v3, 0x80, v3
	v_add_u32_e32 v2, 0x80, v2
	v_lshlrev_b32_e32 v7, 2, v7
	s_or_b64 s[8:9], vcc, s[8:9]
	v_lshlrev_b32_e32 v6, 2, v6
	s_waitcnt vmcnt(1)
	v_subrev_u32_e32 v5, s17, v5
	s_waitcnt vmcnt(0)
	v_subrev_u32_e32 v8, s17, v10
	ds_write_b32 v7, v8 offset:5120
	ds_write_b32 v6, v5 offset:5120
	s_andn2_b64 exec, exec, s[8:9]
	s_cbranch_execnz .LBB70_9
.LBB70_10:
	s_or_b64 exec, exec, s[6:7]
	v_add_u32_e32 v1, 1, v12
	v_and_b32_e32 v2, 0x7fffffe, v1
	v_cmp_ne_u32_e32 vcc, v1, v2
	v_lshl_add_u32 v0, v2, 6, v0
	s_orn2_b64 s[6:7], vcc, exec
.LBB70_11:
	s_or_b64 exec, exec, s[2:3]
	s_and_b64 exec, exec, s[6:7]
	s_cbranch_execz .LBB70_14
; %bb.12:
	v_add_u32_e32 v1, s17, v0
	v_subrev_u32_e32 v1, s26, v1
	v_mov_b32_e32 v2, 0x1400
	v_lshl_add_u32 v4, v1, 2, v2
	v_ashrrev_i32_e32 v1, 31, v0
	v_lshlrev_b64 v[2:3], 2, v[0:1]
	v_mov_b32_e32 v1, s23
	v_add_co_u32_e32 v2, vcc, s22, v2
	v_addc_co_u32_e32 v3, vcc, v1, v3, vcc
	s_mov_b64 s[2:3], 0
.LBB70_13:                              ; =>This Inner Loop Header: Depth=1
	global_load_dword v1, v[2:3], off
	v_add_co_u32_e32 v2, vcc, 0x100, v2
	v_add_u32_e32 v0, 64, v0
	v_addc_co_u32_e32 v3, vcc, 0, v3, vcc
	v_cmp_lt_i32_e32 vcc, s33, v0
	s_or_b64 s[2:3], vcc, s[2:3]
	s_waitcnt vmcnt(0)
	v_subrev_u32_e32 v1, s17, v1
	ds_write_b32 v4, v1
	v_add_u32_e32 v4, 0x100, v4
	s_andn2_b64 exec, exec, s[2:3]
	s_cbranch_execnz .LBB70_13
.LBB70_14:
	s_or_b64 exec, exec, s[0:1]
	s_load_dword s42, s[4:5], 0x0
	s_load_dword s41, s[4:5], 0x8
	v_lshlrev_b32_e32 v24, 4, v13
	s_movk_i32 s43, 0x90
	v_mad_u32_u24 v25, v22, s43, v24
	v_mov_b32_e32 v0, 0
	v_add_u32_e32 v23, 0xd80, v25
	v_mov_b32_e32 v1, v0
	v_mov_b32_e32 v2, v0
	;; [unrolled: 1-line block ×3, first 2 shown]
	s_cmp_ge_i32 s40, s33
	ds_write_b128 v25, v[0:3] offset:3456
	s_waitcnt lgkmcnt(0)
	s_cbranch_scc1 .LBB70_68
; %bb.15:
	s_cmp_eq_u32 s42, 0
	s_cselect_b64 vcc, -1, 0
	s_cmp_lg_u32 s42, 0
	v_cmp_gt_i32_e64 s[0:1], s41, v13
	v_cmp_gt_i32_e64 s[2:3], s41, v22
	s_cselect_b64 s[26:27], -1, 0
	s_and_b64 s[28:29], s[0:1], s[2:3]
	s_cmp_gt_i32 s41, 0
	v_mov_b32_e32 v1, 0x900
	v_or_b32_e32 v2, v13, v22
	s_cselect_b64 s[6:7], -1, 0
	v_mad_u32_u24 v1, v22, s43, v1
	v_cmp_ne_u32_e64 s[4:5], 0, v2
	v_cndmask_b32_e64 v2, 0, 1, s[6:7]
	v_add_u32_e32 v26, v1, v24
	s_mul_i32 s44, s41, s41
	v_mul_lo_u32 v27, v13, s41
	v_mul_lo_u32 v28, v22, s41
	v_add_u32_e32 v29, 0x480, v25
	v_cndmask_b32_e32 v12, v22, v13, vcc
	v_cndmask_b32_e32 v30, v13, v22, vcc
	v_cmp_ne_u32_e64 s[6:7], 1, v2
	v_mov_b32_e32 v31, 0x3ff00000
	s_mov_b32 s30, s40
	s_branch .LBB70_18
.LBB70_16:                              ;   in Loop: Header=BB70_18 Depth=1
	s_or_b64 exec, exec, s[8:9]
	s_add_i32 s30, s30, 1
	s_cmp_ge_i32 s30, s33
	s_cselect_b64 s[36:37], -1, 0
	s_waitcnt vmcnt(0)
	buffer_wbinvl1_vol
.LBB70_17:                              ;   in Loop: Header=BB70_18 Depth=1
	s_and_b64 vcc, exec, s[36:37]
	s_cbranch_vccnz .LBB70_68
.LBB70_18:                              ; =>This Loop Header: Depth=1
                                        ;     Child Loop BB70_23 Depth 2
                                        ;     Child Loop BB70_34 Depth 2
	;; [unrolled: 1-line block ×3, first 2 shown]
                                        ;       Child Loop BB70_65 Depth 3
	s_ashr_i32 s31, s30, 31
	s_lshl_b64 s[8:9], s[30:31], 2
	s_add_u32 s8, s22, s8
	s_addc_u32 s9, s23, s9
	s_load_dword s31, s[8:9], 0x0
	s_waitcnt lgkmcnt(0)
	s_sub_i32 s34, s31, s17
	s_ashr_i32 s35, s34, 31
	s_lshl_b64 s[8:9], s[34:35], 2
	s_add_u32 s36, s12, s8
	s_addc_u32 s37, s13, s9
	s_load_dword s35, s[36:37], 0x0
	s_mov_b64 s[36:37], -1
	s_waitcnt lgkmcnt(0)
	s_cmp_eq_u32 s35, -1
	s_cbranch_scc1 .LBB70_17
; %bb.19:                               ;   in Loop: Header=BB70_18 Depth=1
	s_add_u32 s36, s20, s8
	v_pk_mov_b32 v[2:3], 0, 0
	s_mul_i32 s38, s30, s41
	s_addc_u32 s37, s21, s9
	v_add_u32_e32 v32, s38, v30
	v_pk_mov_b32 v[4:5], v[2:3], v[2:3] op_sel:[0,1]
	s_and_saveexec_b64 s[38:39], s[28:29]
	s_cbranch_execz .LBB70_21
; %bb.20:                               ;   in Loop: Header=BB70_18 Depth=1
	v_mad_u64_u32 v[2:3], s[46:47], v32, s41, v[12:13]
	v_ashrrev_i32_e32 v3, 31, v2
	v_lshlrev_b64 v[2:3], 4, v[2:3]
	v_mov_b32_e32 v4, s25
	v_add_co_u32_e32 v2, vcc, s24, v2
	v_addc_co_u32_e32 v3, vcc, v4, v3, vcc
	global_load_dwordx4 v[2:5], v[2:3], off
.LBB70_21:                              ;   in Loop: Header=BB70_18 Depth=1
	s_or_b64 exec, exec, s[38:39]
	s_load_dword s36, s[36:37], 0x0
	ds_read_b32 v6, v0 offset:5120
	s_mov_b32 s37, 0
	s_waitcnt vmcnt(0)
	ds_write_b128 v26, v[2:5]
	s_waitcnt lgkmcnt(0)
	s_sub_i32 s36, s36, s17
	s_cmp_le_i32 s36, s35
	v_cmp_ge_i32_e32 vcc, s34, v6
	s_cselect_b64 s[38:39], -1, 0
	s_and_b64 s[38:39], s[38:39], vcc
	s_andn2_b64 vcc, exec, s[38:39]
	s_cbranch_vccnz .LBB70_33
; %bb.22:                               ;   in Loop: Header=BB70_18 Depth=1
	s_mov_b32 s45, 0
	s_mov_b32 s46, 0
.LBB70_23:                              ;   Parent Loop BB70_18 Depth=1
                                        ; =>  This Inner Loop Header: Depth=2
	s_ashr_i32 s37, s36, 31
	s_lshl_b64 s[38:39], s[36:37], 2
	s_add_u32 s38, s22, s38
	s_addc_u32 s39, s23, s39
	s_load_dword s37, s[38:39], 0x0
	s_lshl_b32 s38, s46, 2
	v_mov_b32_e32 v2, s38
	ds_read_b32 v2, v2 offset:5120
	s_mov_b64 s[38:39], -1
	s_waitcnt lgkmcnt(0)
	s_sub_i32 s50, s37, s17
                                        ; implicit-def: $sgpr37
                                        ; implicit-def: $sgpr49
                                        ; implicit-def: $sgpr48
	v_cmp_ge_i32_e32 vcc, s50, v2
	v_readfirstlane_b32 s47, v2
	s_cbranch_vccz .LBB70_29
; %bb.24:                               ;   in Loop: Header=BB70_23 Depth=2
	s_cmp_le_i32 s50, s47
                                        ; implicit-def: $sgpr37
                                        ; implicit-def: $sgpr49
                                        ; implicit-def: $sgpr48
	s_cbranch_scc0 .LBB70_26
; %bb.25:                               ;   in Loop: Header=BB70_23 Depth=2
	s_add_i32 s37, s46, s40
	s_mul_i32 s37, s37, s44
	s_lshl_b32 s38, s45, 2
	v_mov_b32_e32 v3, s37
	s_mul_i32 s37, s36, s44
	v_mov_b32_e32 v2, s38
	v_mov_b32_e32 v4, s37
	ds_write2st64_b32 v2, v4, v3 offset0:18 offset1:19
	s_add_i32 s48, s46, 1
	s_add_i32 s49, s36, 1
	;; [unrolled: 1-line block ×3, first 2 shown]
	s_mov_b64 s[38:39], 0
.LBB70_26:                              ;   in Loop: Header=BB70_23 Depth=2
	s_andn2_b64 vcc, exec, s[38:39]
	s_cbranch_vccnz .LBB70_28
; %bb.27:                               ;   in Loop: Header=BB70_23 Depth=2
	s_add_i32 s48, s46, 1
	s_mov_b32 s37, s45
	s_mov_b32 s49, s36
.LBB70_28:                              ;   in Loop: Header=BB70_23 Depth=2
	s_mov_b64 s[38:39], 0
.LBB70_29:                              ;   in Loop: Header=BB70_23 Depth=2
	s_andn2_b64 vcc, exec, s[38:39]
	s_cbranch_vccnz .LBB70_31
; %bb.30:                               ;   in Loop: Header=BB70_23 Depth=2
	s_add_i32 s49, s36, 1
	s_mov_b32 s48, s46
	s_mov_b32 s37, s45
.LBB70_31:                              ;   in Loop: Header=BB70_23 Depth=2
	s_cmp_le_i32 s49, s35
	s_cselect_b64 s[38:39], -1, 0
	s_cmp_le_i32 s47, s34
	s_cselect_b64 s[46:47], -1, 0
	s_and_b64 s[38:39], s[38:39], s[46:47]
	s_and_b64 vcc, exec, s[38:39]
	s_cbranch_vccz .LBB70_33
; %bb.32:                               ;   in Loop: Header=BB70_23 Depth=2
	s_mov_b32 s45, s37
	s_mov_b32 s36, s49
	;; [unrolled: 1-line block ×3, first 2 shown]
	s_branch .LBB70_23
.LBB70_33:                              ;   in Loop: Header=BB70_18 Depth=1
	s_add_u32 s8, s14, s8
	s_addc_u32 s9, s15, s9
	s_waitcnt lgkmcnt(0)
.LBB70_34:                              ;   Parent Loop BB70_18 Depth=1
                                        ; =>  This Inner Loop Header: Depth=2
	global_load_dword v2, v0, s[8:9] glc
	s_waitcnt vmcnt(0)
	v_cmp_eq_u32_e32 vcc, 0, v2
	s_cbranch_vccnz .LBB70_34
; %bb.35:                               ;   in Loop: Header=BB70_18 Depth=1
	v_pk_mov_b32 v[4:5], 0, 0
	v_pk_mov_b32 v[6:7], v[4:5], v[4:5] op_sel:[0,1]
	v_pk_mov_b32 v[8:9], v[4:5], v[4:5] op_sel:[0,1]
	buffer_wbinvl1_vol
	s_and_saveexec_b64 s[8:9], s[28:29]
	s_cbranch_execz .LBB70_37
; %bb.36:                               ;   in Loop: Header=BB70_18 Depth=1
	s_mul_i32 s35, s35, s41
	v_add_u32_e32 v2, s35, v30
	v_mad_u64_u32 v[2:3], s[34:35], v2, s41, v[12:13]
	v_ashrrev_i32_e32 v3, 31, v2
	v_lshlrev_b64 v[2:3], 4, v[2:3]
	v_mov_b32_e32 v6, s25
	v_add_co_u32_e32 v2, vcc, s24, v2
	v_addc_co_u32_e32 v3, vcc, v6, v3, vcc
	global_load_dwordx4 v[6:9], v[2:3], off
.LBB70_37:                              ;   in Loop: Header=BB70_18 Depth=1
	s_or_b64 exec, exec, s[8:9]
	s_cmp_lt_i32 s37, 2
	v_pk_mov_b32 v[2:3], v[4:5], v[4:5] op_sel:[0,1]
	s_waitcnt vmcnt(0)
	ds_write_b128 v25, v[6:9]
	s_waitcnt lgkmcnt(0)
	s_cbranch_scc1 .LBB70_56
; %bb.38:                               ;   in Loop: Header=BB70_18 Depth=1
	v_pk_mov_b32 v[14:15], 0, 0
	s_add_i32 s36, s37, -2
	s_mov_b32 s37, 0
	v_pk_mov_b32 v[16:17], v[14:15], v[14:15] op_sel:[0,1]
	s_and_b64 vcc, exec, s[6:7]
	s_cbranch_vccnz .LBB70_53
.LBB70_39:                              ;   in Loop: Header=BB70_18 Depth=1
	s_lshl_b32 s8, s37, 2
	v_mov_b32_e32 v2, s8
	ds_read2st64_b32 v[2:3], v2 offset0:18 offset1:19
	s_mov_b32 s38, 0
	s_waitcnt lgkmcnt(0)
	v_add_u32_e32 v33, v2, v27
	v_add_u32_e32 v34, v3, v28
	;; [unrolled: 1-line block ×4, first 2 shown]
	s_and_b64 vcc, exec, s[26:27]
	s_cbranch_vccz .LBB70_45
.LBB70_40:                              ;   in Loop: Header=BB70_18 Depth=1
	v_pk_mov_b32 v[4:5], 0, 0
	v_pk_mov_b32 v[8:9], v[4:5], v[4:5] op_sel:[0,1]
	v_pk_mov_b32 v[10:11], v[4:5], v[4:5] op_sel:[0,1]
	s_and_saveexec_b64 s[8:9], s[0:1]
	s_cbranch_execz .LBB70_42
; %bb.41:                               ;   in Loop: Header=BB70_18 Depth=1
	v_ashrrev_i32_e32 v21, 31, v20
	v_lshlrev_b64 v[2:3], 4, v[20:21]
	v_mov_b32_e32 v6, s25
	v_add_co_u32_e32 v2, vcc, s24, v2
	v_addc_co_u32_e32 v3, vcc, v6, v3, vcc
	global_load_dwordx4 v[8:11], v[2:3], off
.LBB70_42:                              ;   in Loop: Header=BB70_18 Depth=1
	s_or_b64 exec, exec, s[8:9]
	s_mov_b64 s[8:9], 0
	v_pk_mov_b32 v[6:7], v[4:5], v[4:5] op_sel:[0,1]
	s_and_saveexec_b64 s[34:35], s[2:3]
	s_cbranch_execz .LBB70_44
; %bb.43:                               ;   in Loop: Header=BB70_18 Depth=1
	v_ashrrev_i32_e32 v19, 31, v18
	v_lshlrev_b64 v[2:3], 4, v[18:19]
	v_mov_b32_e32 v4, s25
	v_add_co_u32_e32 v2, vcc, s24, v2
	v_addc_co_u32_e32 v3, vcc, v4, v3, vcc
	global_load_dwordx4 v[4:7], v[2:3], off
.LBB70_44:                              ;   in Loop: Header=BB70_18 Depth=1
	s_or_b64 exec, exec, s[34:35]
	s_waitcnt vmcnt(0)
	v_fma_f64 v[2:3], v[8:9], v[4:5], v[16:17]
	v_fma_f64 v[4:5], v[10:11], v[4:5], v[14:15]
	v_fmac_f64_e32 v[2:3], v[10:11], v[6:7]
	v_fma_f64 v[4:5], v[8:9], -v[6:7], v[4:5]
	s_and_b64 vcc, exec, s[8:9]
	s_cbranch_vccnz .LBB70_46
	s_branch .LBB70_51
.LBB70_45:                              ;   in Loop: Header=BB70_18 Depth=1
                                        ; implicit-def: $vgpr4_vgpr5
	s_cbranch_execz .LBB70_51
.LBB70_46:                              ;   in Loop: Header=BB70_18 Depth=1
	v_pk_mov_b32 v[2:3], 0, 0
	v_pk_mov_b32 v[6:7], v[2:3], v[2:3] op_sel:[0,1]
	v_pk_mov_b32 v[8:9], v[2:3], v[2:3] op_sel:[0,1]
	s_and_saveexec_b64 s[8:9], s[0:1]
	s_cbranch_execz .LBB70_48
; %bb.47:                               ;   in Loop: Header=BB70_18 Depth=1
	v_add_u32_e32 v4, s38, v33
	v_ashrrev_i32_e32 v5, 31, v4
	v_lshlrev_b64 v[4:5], 4, v[4:5]
	v_mov_b32_e32 v6, s25
	v_add_co_u32_e32 v4, vcc, s24, v4
	v_addc_co_u32_e32 v5, vcc, v6, v5, vcc
	global_load_dwordx4 v[6:9], v[4:5], off
.LBB70_48:                              ;   in Loop: Header=BB70_18 Depth=1
	s_or_b64 exec, exec, s[8:9]
	v_pk_mov_b32 v[4:5], v[2:3], v[2:3] op_sel:[0,1]
	s_and_saveexec_b64 s[8:9], s[2:3]
	s_cbranch_execz .LBB70_50
; %bb.49:                               ;   in Loop: Header=BB70_18 Depth=1
	v_add_u32_e32 v2, s38, v34
	v_ashrrev_i32_e32 v3, 31, v2
	v_lshlrev_b64 v[2:3], 4, v[2:3]
	v_mov_b32_e32 v4, s25
	v_add_co_u32_e32 v2, vcc, s24, v2
	v_addc_co_u32_e32 v3, vcc, v4, v3, vcc
	global_load_dwordx4 v[2:5], v[2:3], off
.LBB70_50:                              ;   in Loop: Header=BB70_18 Depth=1
	s_or_b64 exec, exec, s[8:9]
	s_waitcnt vmcnt(0)
	v_fmac_f64_e32 v[16:17], v[6:7], v[2:3]
	v_fmac_f64_e32 v[16:17], v[8:9], v[4:5]
	;; [unrolled: 1-line block ×3, first 2 shown]
	v_fma_f64 v[4:5], v[6:7], -v[4:5], v[14:15]
	v_pk_mov_b32 v[2:3], v[16:17], v[16:17] op_sel:[0,1]
.LBB70_51:                              ;   in Loop: Header=BB70_18 Depth=1
	s_add_i32 s38, s38, 1
	v_add_u32_e32 v18, s41, v18
	s_cmp_eq_u32 s41, s38
	v_add_u32_e32 v20, s41, v20
	s_cbranch_scc1 .LBB70_54
; %bb.52:                               ;   in Loop: Header=BB70_18 Depth=1
	v_pk_mov_b32 v[14:15], v[4:5], v[4:5] op_sel:[0,1]
	v_pk_mov_b32 v[16:17], v[2:3], v[2:3] op_sel:[0,1]
	s_and_b64 vcc, exec, s[26:27]
	s_cbranch_vccz .LBB70_45
	s_branch .LBB70_40
.LBB70_53:                              ;   in Loop: Header=BB70_18 Depth=1
	v_pk_mov_b32 v[4:5], v[14:15], v[14:15] op_sel:[0,1]
	v_pk_mov_b32 v[2:3], v[16:17], v[16:17] op_sel:[0,1]
.LBB70_54:                              ;   in Loop: Header=BB70_18 Depth=1
	s_add_i32 s8, s37, 1
	s_cmp_eq_u32 s37, s36
	s_cbranch_scc1 .LBB70_56
; %bb.55:                               ;   in Loop: Header=BB70_18 Depth=1
	s_mov_b32 s37, s8
	v_pk_mov_b32 v[14:15], v[4:5], v[4:5] op_sel:[0,1]
	v_pk_mov_b32 v[16:17], v[2:3], v[2:3] op_sel:[0,1]
	s_and_b64 vcc, exec, s[6:7]
	s_cbranch_vccz .LBB70_39
	s_branch .LBB70_53
.LBB70_56:                              ;   in Loop: Header=BB70_18 Depth=1
	s_and_b64 vcc, exec, s[6:7]
	ds_write_b128 v29, v[2:5]
	s_waitcnt lgkmcnt(0)
	s_cbranch_vccnz .LBB70_66
; %bb.57:                               ;   in Loop: Header=BB70_18 Depth=1
	s_mov_b32 s36, 0
	s_mov_b32 s37, 0
	s_branch .LBB70_59
.LBB70_58:                              ;   in Loop: Header=BB70_59 Depth=2
	v_mul_f64 v[18:19], v[10:11], v[10:11]
	v_fmac_f64_e32 v[18:19], v[14:15], v[14:15]
	v_div_scale_f64 v[20:21], s[8:9], v[18:19], v[18:19], 1.0
	v_rcp_f64_e32 v[34:35], v[20:21]
	s_waitcnt lgkmcnt(0)
	v_add_f64 v[6:7], v[2:3], -v[6:7]
	v_add_f64 v[4:5], v[4:5], -v[8:9]
	v_add_u32_e32 v16, 0x900, v16
	v_fma_f64 v[2:3], -v[20:21], v[34:35], 1.0
	v_fmac_f64_e32 v[34:35], v[34:35], v[2:3]
	v_fma_f64 v[2:3], -v[20:21], v[34:35], 1.0
	v_fmac_f64_e32 v[34:35], v[34:35], v[2:3]
	v_div_scale_f64 v[2:3], vcc, 1.0, v[18:19], 1.0
	v_mul_f64 v[8:9], v[2:3], v[34:35]
	v_fma_f64 v[2:3], -v[20:21], v[8:9], v[2:3]
	s_addk_i32 s36, 0x90
	s_nop 0
	v_div_fmas_f64 v[2:3], v[2:3], v[34:35], v[8:9]
	v_div_fixup_f64 v[8:9], v[2:3], v[18:19], 1.0
	v_mul_f64 v[2:3], v[10:11], v[4:5]
	v_fmac_f64_e32 v[2:3], v[6:7], v[14:15]
	v_mul_f64 v[6:7], v[10:11], -v[6:7]
	v_fmac_f64_e32 v[6:7], v[4:5], v[14:15]
	v_mul_f64 v[4:5], v[8:9], v[6:7]
	v_mul_u32_u24_e32 v6, 0x90, v13
	v_mul_f64 v[2:3], v[8:9], v[2:3]
	v_lshl_add_u32 v6, s37, 4, v6
	ds_write_b128 v16, v[2:5]
	s_waitcnt lgkmcnt(0)
	ds_read_b128 v[6:9], v6 offset:2304
	ds_read_b128 v[14:17], v23
	s_add_i32 s37, s37, 1
	s_cmp_eq_u32 s37, s41
	s_waitcnt lgkmcnt(0)
	v_fmac_f64_e32 v[14:15], v[2:3], v[6:7]
	v_fmac_f64_e32 v[16:17], v[4:5], v[6:7]
	;; [unrolled: 1-line block ×3, first 2 shown]
	v_fma_f64 v[16:17], v[2:3], -v[8:9], v[16:17]
	ds_write_b128 v23, v[14:17]
	s_waitcnt lgkmcnt(0)
	s_cbranch_scc1 .LBB70_66
.LBB70_59:                              ;   Parent Loop BB70_18 Depth=1
                                        ; =>  This Loop Header: Depth=2
                                        ;       Child Loop BB70_65 Depth 3
	s_lshl_b32 s8, s37, 4
	s_mul_i32 s9, s37, 0x90
	s_add_i32 s9, s8, s9
	v_mov_b32_e32 v2, s9
	ds_read_b128 v[6:9], v2
	v_mov_b32_e32 v2, s8
	v_mad_u32_u24 v16, v22, s43, v2
	ds_read_b128 v[2:5], v16 offset:2304
	s_waitcnt lgkmcnt(1)
	v_cmp_neq_f64_e32 vcc, 0, v[6:7]
	v_cmp_neq_f64_e64 s[8:9], 0, v[8:9]
	s_or_b64 vcc, vcc, s[8:9]
	s_or_b64 s[8:9], vcc, s[4:5]
	v_cndmask_b32_e32 v11, 0, v9, vcc
	s_xor_b64 s[34:35], s[8:9], -1
	v_cndmask_b32_e32 v10, 0, v8, vcc
	v_cndmask_b32_e32 v15, v31, v7, vcc
	v_cndmask_b32_e32 v14, 0, v6, vcc
	s_and_saveexec_b64 s[8:9], s[34:35]
	s_cbranch_execz .LBB70_63
; %bb.60:                               ;   in Loop: Header=BB70_59 Depth=2
	v_mbcnt_lo_u32_b32 v6, exec_lo, 0
	v_mbcnt_hi_u32_b32 v6, exec_hi, v6
	v_cmp_eq_u32_e32 vcc, 0, v6
	s_and_saveexec_b64 s[34:35], vcc
	s_cbranch_execz .LBB70_62
; %bb.61:                               ;   in Loop: Header=BB70_59 Depth=2
	v_mov_b32_e32 v6, s31
	global_atomic_smin v0, v6, s[18:19]
.LBB70_62:                              ;   in Loop: Header=BB70_59 Depth=2
	s_or_b64 exec, exec, s[34:35]
	v_mov_b32_e32 v14, 0
	v_pk_mov_b32 v[10:11], 0, 0
	v_mov_b32_e32 v15, 0x3ff00000
.LBB70_63:                              ;   in Loop: Header=BB70_59 Depth=2
	s_or_b64 exec, exec, s[8:9]
	v_mul_u32_u24_e32 v6, 0x90, v22
	v_lshl_add_u32 v6, s37, 4, v6
	ds_read_b128 v[6:9], v6 offset:1152
	s_cmp_eq_u32 s37, 0
	s_cbranch_scc1 .LBB70_58
; %bb.64:                               ;   in Loop: Header=BB70_59 Depth=2
	s_mov_b32 s8, 0
	v_mov_b32_e32 v17, v1
	s_mov_b32 s9, s36
.LBB70_65:                              ;   Parent Loop BB70_18 Depth=1
                                        ;     Parent Loop BB70_59 Depth=2
                                        ; =>    This Inner Loop Header: Depth=3
	v_mov_b32_e32 v33, s9
	ds_read_b128 v[18:21], v17
	ds_read_b128 v[34:37], v33
	s_add_i32 s8, s8, 1
	s_add_i32 s9, s9, 16
	v_add_u32_e32 v17, 16, v17
	s_cmp_ge_u32 s8, s37
	s_waitcnt lgkmcnt(0)
	v_fmac_f64_e32 v[6:7], v[34:35], v[18:19]
	v_fmac_f64_e32 v[8:9], v[36:37], v[18:19]
	;; [unrolled: 1-line block ×3, first 2 shown]
	v_fma_f64 v[8:9], v[34:35], -v[20:21], v[8:9]
	s_cbranch_scc0 .LBB70_65
	s_branch .LBB70_58
.LBB70_66:                              ;   in Loop: Header=BB70_18 Depth=1
	s_and_saveexec_b64 s[8:9], s[28:29]
	s_cbranch_execz .LBB70_16
; %bb.67:                               ;   in Loop: Header=BB70_18 Depth=1
	v_mad_u64_u32 v[2:3], s[34:35], v32, s41, v[12:13]
	v_ashrrev_i32_e32 v3, 31, v2
	v_lshlrev_b64 v[6:7], 4, v[2:3]
	ds_read2_b64 v[2:5], v26 offset1:1
	v_mov_b32_e32 v8, s25
	v_add_co_u32_e32 v6, vcc, s24, v6
	v_addc_co_u32_e32 v7, vcc, v8, v7, vcc
	s_waitcnt lgkmcnt(0)
	global_store_dwordx4 v[6:7], v[2:5], off
	s_branch .LBB70_16
.LBB70_68:
	s_cmp_eq_u32 s42, 0
	v_max_i32_e32 v0, v13, v22
	s_cselect_b64 vcc, -1, 0
	v_cmp_gt_i32_e64 s[0:1], s41, v0
	v_pk_mov_b32 v[0:1], 0, 0
	v_cndmask_b32_e32 v2, v13, v22, vcc
	s_mul_i32 s33, s33, s41
	v_cndmask_b32_e32 v4, v22, v13, vcc
	v_add_u32_e32 v5, s33, v2
	v_pk_mov_b32 v[2:3], v[0:1], v[0:1] op_sel:[0,1]
	s_and_saveexec_b64 s[2:3], s[0:1]
	s_cbranch_execz .LBB70_70
; %bb.69:
	v_mad_u64_u32 v[0:1], s[4:5], v5, s41, v[4:5]
	v_ashrrev_i32_e32 v1, 31, v0
	v_lshlrev_b64 v[0:1], 4, v[0:1]
	v_mov_b32_e32 v2, s25
	v_add_co_u32_e32 v0, vcc, s24, v0
	v_addc_co_u32_e32 v1, vcc, v2, v1, vcc
	global_load_dwordx4 v[0:3], v[0:1], off
.LBB70_70:
	s_or_b64 exec, exec, s[2:3]
	s_movk_i32 s4, 0x90
	v_mad_u32_u24 v12, v22, s4, v24
	s_movk_i32 s20, 0x900
	s_cmp_lt_i32 s41, 1
	s_waitcnt vmcnt(0)
	ds_write_b128 v12, v[0:3] offset:2304
	s_waitcnt lgkmcnt(0)
	s_cbranch_scc1 .LBB70_87
; %bb.71:
	v_or_b32_e32 v0, v13, v22
	v_mov_b32_e32 v1, 0x900
	v_cmp_ne_u32_e64 s[2:3], 0, v0
	v_lshlrev_b32_e32 v0, 4, v22
	v_mad_u32_u24 v14, v22, s4, v1
	v_mul_u32_u24_e32 v2, 0x90, v22
	s_movk_i32 s5, 0xd80
	s_mov_b32 s6, 0
	s_mov_b32 s21, 0
	s_add_i32 s22, s16, s17
	v_add_u32_e32 v15, v14, v0
	v_add3_u32 v16, v2, v0, s5
	v_mad_u32_u24 v17, v13, s4, v1
	s_brev_b32 s7, 8
	v_mov_b32_e32 v18, 0x260
	v_mov_b32_e32 v19, 0x3ff00000
	;; [unrolled: 1-line block ×4, first 2 shown]
	s_branch .LBB70_73
.LBB70_72:                              ;   in Loop: Header=BB70_73 Depth=1
	s_or_b64 exec, exec, s[4:5]
	s_add_i32 s21, s21, 1
	s_addk_i32 s20, 0xa0
	v_add_u32_e32 v14, 16, v14
	s_cmp_eq_u32 s41, s21
	v_add_u32_e32 v17, 16, v17
	s_waitcnt lgkmcnt(0)
	s_cbranch_scc1 .LBB70_87
.LBB70_73:                              ; =>This Inner Loop Header: Depth=1
	v_cmp_eq_u32_e32 vcc, s21, v22
	s_and_saveexec_b64 s[4:5], vcc
	s_cbranch_execz .LBB70_81
; %bb.74:                               ;   in Loop: Header=BB70_73 Depth=1
	ds_read_b128 v[6:9], v16
	ds_read_b128 v[24:27], v15
	s_waitcnt lgkmcnt(0)
	v_add_f64 v[0:1], v[24:25], -v[6:7]
	v_add_f64 v[10:11], v[26:27], -v[8:9]
	v_xor_b32_e32 v3, 0x80000000, v1
	v_cmp_gt_f64_e32 vcc, 0, v[0:1]
	v_cndmask_b32_e32 v1, v1, v3, vcc
	v_cndmask_b32_e32 v0, v0, v0, vcc
	v_xor_b32_e32 v3, 0x80000000, v11
	v_cmp_gt_f64_e32 vcc, 0, v[10:11]
	v_cndmask_b32_e32 v7, v11, v3, vcc
	v_cndmask_b32_e32 v6, v10, v10, vcc
	v_cmp_ngt_f64_e32 vcc, v[0:1], v[6:7]
                                        ; implicit-def: $vgpr8_vgpr9
	s_and_saveexec_b64 s[8:9], vcc
	s_xor_b64 s[8:9], exec, s[8:9]
	s_cbranch_execz .LBB70_78
; %bb.75:                               ;   in Loop: Header=BB70_73 Depth=1
	v_cmp_neq_f64_e32 vcc, 0, v[10:11]
	v_pk_mov_b32 v[8:9], 0, 0
	s_and_saveexec_b64 s[12:13], vcc
	s_cbranch_execz .LBB70_77
; %bb.76:                               ;   in Loop: Header=BB70_73 Depth=1
	v_div_scale_f64 v[8:9], s[26:27], v[6:7], v[6:7], v[0:1]
	v_rcp_f64_e32 v[10:11], v[8:9]
	v_div_scale_f64 v[24:25], vcc, v[0:1], v[6:7], v[0:1]
	v_fma_f64 v[26:27], -v[8:9], v[10:11], 1.0
	v_fmac_f64_e32 v[10:11], v[10:11], v[26:27]
	v_fma_f64 v[26:27], -v[8:9], v[10:11], 1.0
	v_fmac_f64_e32 v[10:11], v[10:11], v[26:27]
	v_mul_f64 v[26:27], v[24:25], v[10:11]
	v_fma_f64 v[8:9], -v[8:9], v[26:27], v[24:25]
	v_div_fmas_f64 v[8:9], v[8:9], v[10:11], v[26:27]
	v_div_fixup_f64 v[0:1], v[8:9], v[6:7], v[0:1]
	v_fma_f64 v[0:1], v[0:1], v[0:1], 1.0
	v_cmp_gt_f64_e32 vcc, s[6:7], v[0:1]
	v_cndmask_b32_e64 v3, 0, 1, vcc
	v_lshlrev_b32_e32 v3, 8, v3
	v_ldexp_f64 v[0:1], v[0:1], v3
	v_rsq_f64_e32 v[8:9], v[0:1]
	v_cndmask_b32_e32 v3, 0, v20, vcc
	v_cmp_class_f64_e32 vcc, v[0:1], v18
	v_mul_f64 v[10:11], v[0:1], v[8:9]
	v_mul_f64 v[8:9], v[8:9], 0.5
	v_fma_f64 v[24:25], -v[8:9], v[10:11], 0.5
	v_fmac_f64_e32 v[10:11], v[10:11], v[24:25]
	v_fma_f64 v[26:27], -v[10:11], v[10:11], v[0:1]
	v_fmac_f64_e32 v[8:9], v[8:9], v[24:25]
	v_fmac_f64_e32 v[10:11], v[26:27], v[8:9]
	v_fma_f64 v[24:25], -v[10:11], v[10:11], v[0:1]
	v_fmac_f64_e32 v[10:11], v[24:25], v[8:9]
	v_ldexp_f64 v[8:9], v[10:11], v3
	v_cndmask_b32_e32 v1, v9, v1, vcc
	v_cndmask_b32_e32 v0, v8, v0, vcc
	v_mul_f64 v[8:9], v[6:7], v[0:1]
.LBB70_77:                              ;   in Loop: Header=BB70_73 Depth=1
	s_or_b64 exec, exec, s[12:13]
                                        ; implicit-def: $vgpr0_vgpr1
                                        ; implicit-def: $vgpr6_vgpr7
.LBB70_78:                              ;   in Loop: Header=BB70_73 Depth=1
	s_andn2_saveexec_b64 s[8:9], s[8:9]
	s_cbranch_execz .LBB70_80
; %bb.79:                               ;   in Loop: Header=BB70_73 Depth=1
	v_div_scale_f64 v[8:9], s[12:13], v[0:1], v[0:1], v[6:7]
	v_rcp_f64_e32 v[10:11], v[8:9]
	v_div_scale_f64 v[24:25], vcc, v[6:7], v[0:1], v[6:7]
	v_fma_f64 v[26:27], -v[8:9], v[10:11], 1.0
	v_fmac_f64_e32 v[10:11], v[10:11], v[26:27]
	v_fma_f64 v[26:27], -v[8:9], v[10:11], 1.0
	v_fmac_f64_e32 v[10:11], v[10:11], v[26:27]
	v_mul_f64 v[26:27], v[24:25], v[10:11]
	v_fma_f64 v[8:9], -v[8:9], v[26:27], v[24:25]
	v_div_fmas_f64 v[8:9], v[8:9], v[10:11], v[26:27]
	v_div_fixup_f64 v[6:7], v[8:9], v[0:1], v[6:7]
	v_fma_f64 v[6:7], v[6:7], v[6:7], 1.0
	v_cmp_gt_f64_e32 vcc, s[6:7], v[6:7]
	v_cndmask_b32_e64 v3, 0, 1, vcc
	v_lshlrev_b32_e32 v3, 8, v3
	v_ldexp_f64 v[6:7], v[6:7], v3
	v_rsq_f64_e32 v[8:9], v[6:7]
	v_cndmask_b32_e32 v3, 0, v20, vcc
	v_cmp_class_f64_e32 vcc, v[6:7], v18
	v_mul_f64 v[10:11], v[6:7], v[8:9]
	v_mul_f64 v[8:9], v[8:9], 0.5
	v_fma_f64 v[24:25], -v[8:9], v[10:11], 0.5
	v_fmac_f64_e32 v[10:11], v[10:11], v[24:25]
	v_fma_f64 v[26:27], -v[10:11], v[10:11], v[6:7]
	v_fmac_f64_e32 v[8:9], v[8:9], v[24:25]
	v_fmac_f64_e32 v[10:11], v[26:27], v[8:9]
	v_fma_f64 v[24:25], -v[10:11], v[10:11], v[6:7]
	v_fmac_f64_e32 v[10:11], v[24:25], v[8:9]
	v_ldexp_f64 v[8:9], v[10:11], v3
	v_cndmask_b32_e32 v7, v9, v7, vcc
	v_cndmask_b32_e32 v6, v8, v6, vcc
	v_mul_f64 v[8:9], v[0:1], v[6:7]
.LBB70_80:                              ;   in Loop: Header=BB70_73 Depth=1
	s_or_b64 exec, exec, s[8:9]
	v_cmp_gt_f64_e32 vcc, s[6:7], v[8:9]
	v_cndmask_b32_e64 v0, 0, 1, vcc
	v_lshlrev_b32_e32 v0, 8, v0
	v_ldexp_f64 v[0:1], v[8:9], v0
	v_rsq_f64_e32 v[6:7], v[0:1]
	v_cndmask_b32_e32 v3, 0, v20, vcc
	v_cmp_class_f64_e32 vcc, v[0:1], v18
	v_mul_f64 v[8:9], v[0:1], v[6:7]
	v_mul_f64 v[6:7], v[6:7], 0.5
	v_fma_f64 v[10:11], -v[6:7], v[8:9], 0.5
	v_fmac_f64_e32 v[8:9], v[8:9], v[10:11]
	v_fmac_f64_e32 v[6:7], v[6:7], v[10:11]
	v_fma_f64 v[10:11], -v[8:9], v[8:9], v[0:1]
	v_fmac_f64_e32 v[8:9], v[10:11], v[6:7]
	v_fma_f64 v[10:11], -v[8:9], v[8:9], v[0:1]
	v_fmac_f64_e32 v[8:9], v[10:11], v[6:7]
	v_ldexp_f64 v[6:7], v[8:9], v3
	v_cndmask_b32_e32 v1, v7, v1, vcc
	v_cndmask_b32_e32 v0, v6, v0, vcc
	v_mov_b32_e32 v3, v2
	ds_write_b128 v15, v[0:3]
.LBB70_81:                              ;   in Loop: Header=BB70_73 Depth=1
	s_or_b64 exec, exec, s[4:5]
	v_mov_b32_e32 v0, s20
	s_waitcnt lgkmcnt(0)
	ds_read_b128 v[6:9], v0
	s_waitcnt lgkmcnt(0)
	v_cmp_neq_f64_e32 vcc, 0, v[6:7]
	v_cmp_neq_f64_e64 s[4:5], 0, v[8:9]
	s_or_b64 vcc, vcc, s[4:5]
	s_or_b64 s[4:5], vcc, s[2:3]
	v_cndmask_b32_e32 v1, 0, v9, vcc
	v_cndmask_b32_e32 v0, 0, v8, vcc
	s_xor_b64 s[8:9], s[4:5], -1
	v_cndmask_b32_e32 v7, v19, v7, vcc
	v_cndmask_b32_e32 v6, 0, v6, vcc
	s_and_saveexec_b64 s[4:5], s[8:9]
	s_cbranch_execz .LBB70_85
; %bb.82:                               ;   in Loop: Header=BB70_73 Depth=1
	v_mbcnt_lo_u32_b32 v0, exec_lo, 0
	v_mbcnt_hi_u32_b32 v0, exec_hi, v0
	v_cmp_eq_u32_e32 vcc, 0, v0
	s_and_saveexec_b64 s[8:9], vcc
	s_cbranch_execz .LBB70_84
; %bb.83:                               ;   in Loop: Header=BB70_73 Depth=1
	v_mov_b32_e32 v0, s22
	global_atomic_smin v2, v0, s[18:19]
.LBB70_84:                              ;   in Loop: Header=BB70_73 Depth=1
	s_or_b64 exec, exec, s[8:9]
	v_mov_b32_e32 v6, 0
	v_pk_mov_b32 v[0:1], 0, 0
	v_mov_b32_e32 v7, 0x3ff00000
.LBB70_85:                              ;   in Loop: Header=BB70_73 Depth=1
	s_or_b64 exec, exec, s[4:5]
	v_cmp_lt_u32_e32 vcc, s21, v22
	s_and_saveexec_b64 s[4:5], vcc
	s_cbranch_execz .LBB70_72
; %bb.86:                               ;   in Loop: Header=BB70_73 Depth=1
	v_mul_f64 v[28:29], v[0:1], v[0:1]
	v_fmac_f64_e32 v[28:29], v[6:7], v[6:7]
	ds_read_b128 v[8:11], v14
	ds_read_b128 v[24:27], v14 offset:1152
	v_div_scale_f64 v[30:31], s[8:9], v[28:29], v[28:29], 1.0
	v_rcp_f64_e32 v[32:33], v[30:31]
	s_waitcnt lgkmcnt(0)
	v_add_f64 v[24:25], v[8:9], -v[24:25]
	v_add_f64 v[10:11], v[10:11], -v[26:27]
	v_fma_f64 v[8:9], -v[30:31], v[32:33], 1.0
	v_fmac_f64_e32 v[32:33], v[32:33], v[8:9]
	v_fma_f64 v[8:9], -v[30:31], v[32:33], 1.0
	v_fmac_f64_e32 v[32:33], v[32:33], v[8:9]
	v_div_scale_f64 v[8:9], vcc, 1.0, v[28:29], 1.0
	v_mul_f64 v[26:27], v[8:9], v[32:33]
	v_fma_f64 v[8:9], -v[30:31], v[26:27], v[8:9]
	s_nop 1
	v_div_fmas_f64 v[8:9], v[8:9], v[32:33], v[26:27]
	v_div_fixup_f64 v[26:27], v[8:9], v[28:29], 1.0
	v_mul_f64 v[8:9], v[0:1], v[10:11]
	v_mul_f64 v[0:1], v[0:1], -v[24:25]
	v_fmac_f64_e32 v[8:9], v[24:25], v[6:7]
	v_fmac_f64_e32 v[0:1], v[10:11], v[6:7]
	v_mul_f64 v[8:9], v[26:27], v[8:9]
	v_mul_f64 v[10:11], v[26:27], v[0:1]
	ds_write_b128 v14, v[8:11]
	s_waitcnt lgkmcnt(0)
	ds_read_b128 v[24:27], v17
	ds_read_b128 v[28:31], v23
	s_waitcnt lgkmcnt(0)
	v_fmac_f64_e32 v[28:29], v[8:9], v[24:25]
	v_fmac_f64_e32 v[30:31], v[10:11], v[24:25]
	;; [unrolled: 1-line block ×3, first 2 shown]
	v_fma_f64 v[30:31], v[8:9], -v[26:27], v[30:31]
	ds_write_b128 v23, v[28:31]
	s_branch .LBB70_72
.LBB70_87:
	s_and_saveexec_b64 s[2:3], s[0:1]
	s_cbranch_execz .LBB70_89
; %bb.88:
	v_mad_u64_u32 v[0:1], s[0:1], v5, s41, v[4:5]
	v_add_u32_e32 v2, 0x900, v12
	v_ashrrev_i32_e32 v1, 31, v0
	v_lshlrev_b64 v[4:5], 4, v[0:1]
	ds_read2_b64 v[0:3], v2 offset1:1
	v_mov_b32_e32 v6, s25
	v_add_co_u32_e32 v4, vcc, s24, v4
	v_addc_co_u32_e32 v5, vcc, v6, v5, vcc
	s_waitcnt lgkmcnt(0)
	global_store_dwordx4 v[4:5], v[0:3], off
.LBB70_89:
	s_or_b64 exec, exec, s[2:3]
	v_or_b32_e32 v0, v13, v22
	v_cmp_eq_u32_e64 s[0:1], 0, v0
.LBB70_90:
	s_and_saveexec_b64 s[2:3], s[0:1]
	s_cbranch_execnz .LBB70_98
.LBB70_91:
	s_endpgm
.LBB70_92:
	s_mov_b64 s[0:1], 0
	s_cbranch_execz .LBB70_90
; %bb.93:
	v_or_b32_e32 v0, v13, v22
	v_cmp_eq_u32_e32 vcc, 0, v0
	s_and_saveexec_b64 s[2:3], vcc
	s_cbranch_execz .LBB70_97
; %bb.94:
	v_mbcnt_lo_u32_b32 v0, exec_lo, 0
	v_mbcnt_hi_u32_b32 v0, exec_hi, v0
	v_cmp_eq_u32_e32 vcc, 0, v0
	s_and_saveexec_b64 s[4:5], vcc
	s_cbranch_execz .LBB70_96
; %bb.95:
	s_add_i32 s6, s16, s17
	v_mov_b32_e32 v0, 0
	v_mov_b32_e32 v1, s6
	global_atomic_smin v0, v1, s[18:19]
.LBB70_96:
	s_or_b64 exec, exec, s[4:5]
	s_or_b64 s[0:1], s[0:1], exec
.LBB70_97:
	s_or_b64 exec, exec, s[2:3]
	s_and_saveexec_b64 s[2:3], s[0:1]
	s_cbranch_execz .LBB70_91
.LBB70_98:
	s_add_u32 s0, s14, s10
	s_addc_u32 s1, s15, s11
	v_mov_b32_e32 v0, 0
	v_mov_b32_e32 v1, 1
	s_waitcnt vmcnt(0)
	global_store_dword v0, v1, s[0:1]
	s_endpgm
	.section	.rodata,"a",@progbits
	.p2align	6, 0x0
	.amdhsa_kernel _ZN9rocsparseL17bsric0_2_8_kernelILi64ELi64ELi8E21rocsparse_complex_numIdEEEv20rocsparse_direction_iiPKiS5_PT2_S5_PiS5_S8_21rocsparse_index_base_
		.amdhsa_group_segment_fixed_size 5376
		.amdhsa_private_segment_fixed_size 0
		.amdhsa_kernarg_size 76
		.amdhsa_user_sgpr_count 6
		.amdhsa_user_sgpr_private_segment_buffer 1
		.amdhsa_user_sgpr_dispatch_ptr 0
		.amdhsa_user_sgpr_queue_ptr 0
		.amdhsa_user_sgpr_kernarg_segment_ptr 1
		.amdhsa_user_sgpr_dispatch_id 0
		.amdhsa_user_sgpr_flat_scratch_init 0
		.amdhsa_user_sgpr_kernarg_preload_length 0
		.amdhsa_user_sgpr_kernarg_preload_offset 0
		.amdhsa_user_sgpr_private_segment_size 0
		.amdhsa_uses_dynamic_stack 0
		.amdhsa_system_sgpr_private_segment_wavefront_offset 0
		.amdhsa_system_sgpr_workgroup_id_x 1
		.amdhsa_system_sgpr_workgroup_id_y 0
		.amdhsa_system_sgpr_workgroup_id_z 0
		.amdhsa_system_sgpr_workgroup_info 0
		.amdhsa_system_vgpr_workitem_id 1
		.amdhsa_next_free_vgpr 72
		.amdhsa_next_free_sgpr 51
		.amdhsa_accum_offset 72
		.amdhsa_reserve_vcc 1
		.amdhsa_reserve_flat_scratch 0
		.amdhsa_float_round_mode_32 0
		.amdhsa_float_round_mode_16_64 0
		.amdhsa_float_denorm_mode_32 3
		.amdhsa_float_denorm_mode_16_64 3
		.amdhsa_dx10_clamp 1
		.amdhsa_ieee_mode 1
		.amdhsa_fp16_overflow 0
		.amdhsa_tg_split 0
		.amdhsa_exception_fp_ieee_invalid_op 0
		.amdhsa_exception_fp_denorm_src 0
		.amdhsa_exception_fp_ieee_div_zero 0
		.amdhsa_exception_fp_ieee_overflow 0
		.amdhsa_exception_fp_ieee_underflow 0
		.amdhsa_exception_fp_ieee_inexact 0
		.amdhsa_exception_int_div_zero 0
	.end_amdhsa_kernel
	.section	.text._ZN9rocsparseL17bsric0_2_8_kernelILi64ELi64ELi8E21rocsparse_complex_numIdEEEv20rocsparse_direction_iiPKiS5_PT2_S5_PiS5_S8_21rocsparse_index_base_,"axG",@progbits,_ZN9rocsparseL17bsric0_2_8_kernelILi64ELi64ELi8E21rocsparse_complex_numIdEEEv20rocsparse_direction_iiPKiS5_PT2_S5_PiS5_S8_21rocsparse_index_base_,comdat
.Lfunc_end70:
	.size	_ZN9rocsparseL17bsric0_2_8_kernelILi64ELi64ELi8E21rocsparse_complex_numIdEEEv20rocsparse_direction_iiPKiS5_PT2_S5_PiS5_S8_21rocsparse_index_base_, .Lfunc_end70-_ZN9rocsparseL17bsric0_2_8_kernelILi64ELi64ELi8E21rocsparse_complex_numIdEEEv20rocsparse_direction_iiPKiS5_PT2_S5_PiS5_S8_21rocsparse_index_base_
                                        ; -- End function
	.section	.AMDGPU.csdata,"",@progbits
; Kernel info:
; codeLenInByte = 5168
; NumSgprs: 55
; NumVgprs: 72
; NumAgprs: 0
; TotalNumVgprs: 72
; ScratchSize: 0
; MemoryBound: 1
; FloatMode: 240
; IeeeMode: 1
; LDSByteSize: 5376 bytes/workgroup (compile time only)
; SGPRBlocks: 6
; VGPRBlocks: 8
; NumSGPRsForWavesPerEU: 55
; NumVGPRsForWavesPerEU: 72
; AccumOffset: 72
; Occupancy: 3
; WaveLimiterHint : 1
; COMPUTE_PGM_RSRC2:SCRATCH_EN: 0
; COMPUTE_PGM_RSRC2:USER_SGPR: 6
; COMPUTE_PGM_RSRC2:TRAP_HANDLER: 0
; COMPUTE_PGM_RSRC2:TGID_X_EN: 1
; COMPUTE_PGM_RSRC2:TGID_Y_EN: 0
; COMPUTE_PGM_RSRC2:TGID_Z_EN: 0
; COMPUTE_PGM_RSRC2:TIDIG_COMP_CNT: 1
; COMPUTE_PGM_RSRC3_GFX90A:ACCUM_OFFSET: 17
; COMPUTE_PGM_RSRC3_GFX90A:TG_SPLIT: 0
	.section	.text._ZN9rocsparseL18bsric0_9_16_kernelILi64ELi64ELi16E21rocsparse_complex_numIdEEEv20rocsparse_direction_iiPKiS5_PT2_S5_PiS5_S8_21rocsparse_index_base_,"axG",@progbits,_ZN9rocsparseL18bsric0_9_16_kernelILi64ELi64ELi16E21rocsparse_complex_numIdEEEv20rocsparse_direction_iiPKiS5_PT2_S5_PiS5_S8_21rocsparse_index_base_,comdat
	.globl	_ZN9rocsparseL18bsric0_9_16_kernelILi64ELi64ELi16E21rocsparse_complex_numIdEEEv20rocsparse_direction_iiPKiS5_PT2_S5_PiS5_S8_21rocsparse_index_base_ ; -- Begin function _ZN9rocsparseL18bsric0_9_16_kernelILi64ELi64ELi16E21rocsparse_complex_numIdEEEv20rocsparse_direction_iiPKiS5_PT2_S5_PiS5_S8_21rocsparse_index_base_
	.p2align	8
	.type	_ZN9rocsparseL18bsric0_9_16_kernelILi64ELi64ELi16E21rocsparse_complex_numIdEEEv20rocsparse_direction_iiPKiS5_PT2_S5_PiS5_S8_21rocsparse_index_base_,@function
_ZN9rocsparseL18bsric0_9_16_kernelILi64ELi64ELi16E21rocsparse_complex_numIdEEEv20rocsparse_direction_iiPKiS5_PT2_S5_PiS5_S8_21rocsparse_index_base_: ; @_ZN9rocsparseL18bsric0_9_16_kernelILi64ELi64ELi16E21rocsparse_complex_numIdEEEv20rocsparse_direction_iiPKiS5_PT2_S5_PiS5_S8_21rocsparse_index_base_
; %bb.0:
	s_load_dwordx8 s[8:15], s[4:5], 0x28
	s_mov_b32 s7, 0
	s_lshl_b64 s[0:1], s[6:7], 2
	v_and_b32_e32 v11, 0x3ff, v0
	v_bfe_u32 v10, v0, 10, 10
	s_waitcnt lgkmcnt(0)
	s_add_u32 s0, s12, s0
	s_addc_u32 s1, s13, s1
	s_load_dword s20, s[0:1], 0x0
	s_waitcnt lgkmcnt(0)
	s_ashr_i32 s21, s20, 31
	s_lshl_b64 s[12:13], s[20:21], 2
	s_add_u32 s0, s8, s12
	s_addc_u32 s1, s9, s13
	s_load_dword s33, s[0:1], 0x0
	s_load_dword s21, s[4:5], 0x48
	s_waitcnt lgkmcnt(0)
	s_cmp_lg_u32 s33, -1
	s_cbranch_scc0 .LBB71_149
; %bb.1:
	s_load_dwordx4 s[16:19], s[4:5], 0x10
	v_lshlrev_b32_e32 v1, 2, v10
	v_add_u32_e32 v2, v1, v11
	s_waitcnt lgkmcnt(0)
	s_add_u32 s0, s16, s12
	s_addc_u32 s1, s17, s13
	s_load_dword s28, s[0:1], 0x0
	s_waitcnt lgkmcnt(0)
	s_sub_i32 s45, s28, s21
	v_add_u32_e32 v0, s45, v2
	v_cmp_ge_i32_e32 vcc, s33, v0
	s_and_saveexec_b64 s[2:3], vcc
	s_cbranch_execz .LBB71_16
; %bb.2:
	v_add_u32_e32 v2, s28, v2
	v_subrev_u32_e32 v2, s21, v2
	v_add_u32_e32 v2, 64, v2
	s_add_i32 s0, s33, 1
	v_max_i32_e32 v2, s0, v2
	v_not_b32_e32 v3, v11
	v_add3_u32 v2, v2, s21, v3
	v_add_u32_e32 v1, s28, v1
	v_sub_u32_e32 v1, v2, v1
	s_movk_i32 s0, 0x640
	v_cmp_gt_u32_e32 vcc, s0, v1
	s_movk_i32 s0, 0x63f
	v_cmp_lt_u32_e64 s[0:1], s0, v1
	s_and_saveexec_b64 s[6:7], s[0:1]
	s_cbranch_execz .LBB71_13
; %bb.3:
	v_and_b32_e32 v2, 0xffffffc0, v1
	v_add_u32_e32 v2, v0, v2
	v_cmp_ge_i32_e64 s[0:1], v2, v0
	s_mov_b64 s[24:25], -1
	s_and_saveexec_b64 s[22:23], s[0:1]
	s_cbranch_execz .LBB71_12
; %bb.4:
	v_lshrrev_b32_e32 v14, 6, v1
	v_add_u32_e32 v2, -1, v14
	v_add_u32_e32 v1, 64, v0
	v_lshrrev_b32_e32 v3, 1, v2
	v_add_u32_e32 v15, 1, v3
	v_cmp_lt_u32_e64 s[0:1], 13, v2
	v_pk_mov_b32 v[2:3], v[0:1], v[0:1] op_sel:[0,1]
	s_and_saveexec_b64 s[24:25], s[0:1]
	s_cbranch_execz .LBB71_8
; %bb.5:
	v_and_b32_e32 v16, -8, v15
	s_mov_b64 s[26:27], 0
	v_mov_b32_e32 v17, s19
	v_pk_mov_b32 v[2:3], v[0:1], v[0:1] op_sel:[0,1]
.LBB71_6:                               ; =>This Inner Loop Header: Depth=1
	v_ashrrev_i32_e32 v21, 31, v2
	v_mov_b32_e32 v20, v2
	v_lshlrev_b64 v[20:21], 2, v[20:21]
	v_ashrrev_i32_e32 v19, 31, v3
	v_mov_b32_e32 v18, v3
	v_add_co_u32_e64 v20, s[0:1], s18, v20
	v_add_u32_e32 v4, 0x80, v2
	v_lshlrev_b64 v[18:19], 2, v[18:19]
	v_addc_co_u32_e64 v21, s[0:1], v17, v21, s[0:1]
	v_ashrrev_i32_e32 v5, 31, v4
	v_add_co_u32_e64 v18, s[0:1], s18, v18
	v_add_u32_e32 v6, 0x80, v3
	v_addc_co_u32_e64 v19, s[0:1], v17, v19, s[0:1]
	v_lshlrev_b64 v[42:43], 2, v[4:5]
	v_ashrrev_i32_e32 v7, 31, v6
	global_load_dword v1, v[20:21], off
	global_load_dword v5, v[18:19], off
	v_add_co_u32_e64 v18, s[0:1], s18, v42
	v_add_u32_e32 v8, 0x100, v2
	v_lshlrev_b64 v[44:45], 2, v[6:7]
	v_addc_co_u32_e64 v19, s[0:1], v17, v43, s[0:1]
	v_ashrrev_i32_e32 v9, 31, v8
	v_add_co_u32_e64 v20, s[0:1], s18, v44
	v_add_u32_e32 v12, 0x100, v3
	v_lshlrev_b64 v[46:47], 2, v[8:9]
	v_addc_co_u32_e64 v21, s[0:1], v17, v45, s[0:1]
	v_ashrrev_i32_e32 v13, 31, v12
	;; [unrolled: 5-line block ×12, first 2 shown]
	v_add_co_u32_e64 v62, s[0:1], s18, v66
	v_lshlrev_b64 v[68:69], 2, v[40:41]
	v_addc_co_u32_e64 v63, s[0:1], v17, v67, s[0:1]
	v_add_co_u32_e64 v64, s[0:1], s18, v68
	v_addc_co_u32_e64 v65, s[0:1], v17, v69, s[0:1]
	global_load_dword v7, v[20:21], off
	global_load_dword v9, v[18:19], off
	;; [unrolled: 1-line block ×14, first 2 shown]
	v_subrev_u32_e32 v19, s45, v2
	v_add_u32_e32 v16, -8, v16
	v_subrev_u32_e32 v18, s45, v3
	v_lshlrev_b32_e32 v19, 2, v19
	v_subrev_u32_e32 v4, s45, v4
	v_cmp_eq_u32_e64 s[0:1], 0, v16
	s_waitcnt vmcnt(14)
	v_subrev_u32_e32 v5, s21, v5
	v_subrev_u32_e32 v1, s21, v1
	v_add_u32_e32 v3, 0x400, v3
	v_add_u32_e32 v2, 0x400, v2
	v_lshlrev_b32_e32 v18, 2, v18
	v_subrev_u32_e32 v6, s45, v6
	v_subrev_u32_e32 v12, s45, v12
	;; [unrolled: 1-line block ×13, first 2 shown]
	v_lshlrev_b32_e32 v4, 2, v4
	s_or_b64 s[26:27], s[0:1], s[26:27]
	ds_write_b32 v19, v1 offset:17920
	ds_write_b32 v18, v5 offset:17920
	v_lshlrev_b32_e32 v6, 2, v6
	v_lshlrev_b32_e32 v8, 2, v8
	;; [unrolled: 1-line block ×13, first 2 shown]
	s_waitcnt vmcnt(13)
	v_subrev_u32_e32 v1, s21, v7
	s_waitcnt vmcnt(12)
	v_subrev_u32_e32 v5, s21, v9
	;; [unrolled: 2-line block ×14, first 2 shown]
	ds_write_b32 v4, v5 offset:17920
	ds_write_b32 v6, v1 offset:17920
	;; [unrolled: 1-line block ×14, first 2 shown]
	s_andn2_b64 exec, exec, s[26:27]
	s_cbranch_execnz .LBB71_6
; %bb.7:
	s_or_b64 exec, exec, s[26:27]
.LBB71_8:
	s_or_b64 exec, exec, s[24:25]
	v_and_b32_e32 v1, 7, v15
	v_cmp_ne_u32_e64 s[0:1], 0, v1
	s_and_saveexec_b64 s[24:25], s[0:1]
	s_cbranch_execz .LBB71_11
; %bb.9:
	s_mov_b64 s[26:27], 0
	v_mov_b32_e32 v4, s19
.LBB71_10:                              ; =>This Inner Loop Header: Depth=1
	v_ashrrev_i32_e32 v9, 31, v2
	v_mov_b32_e32 v8, v2
	v_lshlrev_b64 v[8:9], 2, v[8:9]
	v_ashrrev_i32_e32 v7, 31, v3
	v_mov_b32_e32 v6, v3
	v_add_co_u32_e64 v8, s[0:1], s18, v8
	v_lshlrev_b64 v[6:7], 2, v[6:7]
	v_addc_co_u32_e64 v9, s[0:1], v4, v9, s[0:1]
	v_add_co_u32_e64 v6, s[0:1], s18, v6
	v_addc_co_u32_e64 v7, s[0:1], v4, v7, s[0:1]
	global_load_dword v5, v[6:7], off
	global_load_dword v12, v[8:9], off
	v_add_u32_e32 v1, -1, v1
	v_subrev_u32_e32 v7, s45, v2
	v_cmp_eq_u32_e64 s[0:1], 0, v1
	v_subrev_u32_e32 v6, s45, v3
	v_add_u32_e32 v3, 0x80, v3
	v_add_u32_e32 v2, 0x80, v2
	v_lshlrev_b32_e32 v7, 2, v7
	s_or_b64 s[26:27], s[0:1], s[26:27]
	v_lshlrev_b32_e32 v6, 2, v6
	s_waitcnt vmcnt(1)
	v_subrev_u32_e32 v5, s21, v5
	s_waitcnt vmcnt(0)
	v_subrev_u32_e32 v8, s21, v12
	ds_write_b32 v7, v8 offset:17920
	ds_write_b32 v6, v5 offset:17920
	s_andn2_b64 exec, exec, s[26:27]
	s_cbranch_execnz .LBB71_10
.LBB71_11:
	s_or_b64 exec, exec, s[24:25]
	v_add_u32_e32 v1, 1, v14
	v_and_b32_e32 v2, 0x7fffffe, v1
	v_cmp_ne_u32_e64 s[0:1], v1, v2
	v_lshl_add_u32 v0, v2, 6, v0
	s_orn2_b64 s[24:25], s[0:1], exec
.LBB71_12:
	s_or_b64 exec, exec, s[22:23]
	s_andn2_b64 s[0:1], vcc, exec
	s_and_b64 s[22:23], s[24:25], exec
	s_or_b64 vcc, s[0:1], s[22:23]
.LBB71_13:
	s_or_b64 exec, exec, s[6:7]
	s_and_b64 exec, exec, vcc
	s_cbranch_execz .LBB71_16
; %bb.14:
	v_add_u32_e32 v1, s21, v0
	v_subrev_u32_e32 v1, s28, v1
	v_mov_b32_e32 v2, 0x4600
	v_lshl_add_u32 v2, v1, 2, v2
	s_mov_b64 s[0:1], 0
	v_mov_b32_e32 v3, s19
.LBB71_15:                              ; =>This Inner Loop Header: Depth=1
	v_ashrrev_i32_e32 v1, 31, v0
	v_lshlrev_b64 v[4:5], 2, v[0:1]
	v_add_co_u32_e32 v4, vcc, s18, v4
	v_addc_co_u32_e32 v5, vcc, v3, v5, vcc
	global_load_dword v1, v[4:5], off
	v_add_u32_e32 v0, 64, v0
	v_cmp_lt_i32_e32 vcc, s33, v0
	s_or_b64 s[0:1], vcc, s[0:1]
	s_waitcnt vmcnt(0)
	v_subrev_u32_e32 v1, s21, v1
	ds_write_b32 v2, v1
	v_add_u32_e32 v2, 0x100, v2
	s_andn2_b64 exec, exec, s[0:1]
	s_cbranch_execnz .LBB71_15
.LBB71_16:
	s_or_b64 exec, exec, s[2:3]
	s_load_dwordx2 s[22:23], s[4:5], 0x20
	v_cmp_gt_u32_e32 vcc, 16, v11
	v_lshlrev_b32_e32 v22, 4, v11
	s_and_saveexec_b64 s[0:1], vcc
	s_cbranch_execz .LBB71_19
; %bb.17:
	v_mul_u32_u24_e32 v0, 0x110, v10
	s_movk_i32 s2, 0x3300
	v_add3_u32 v5, v0, v22, s2
	v_mov_b32_e32 v0, 0
	v_add_u32_e32 v4, -4, v11
	s_mov_b64 s[2:3], 0
	v_mov_b32_e32 v1, v0
	v_mov_b32_e32 v2, v0
	;; [unrolled: 1-line block ×3, first 2 shown]
.LBB71_18:                              ; =>This Inner Loop Header: Depth=1
	v_add_u32_e32 v4, 4, v4
	v_cmp_lt_u32_e32 vcc, 11, v4
	ds_write_b128 v5, v[0:3]
	s_or_b64 s[2:3], vcc, s[2:3]
	v_add_u32_e32 v5, 64, v5
	s_andn2_b64 exec, exec, s[2:3]
	s_cbranch_execnz .LBB71_18
.LBB71_19:
	s_or_b64 exec, exec, s[0:1]
	s_load_dword s44, s[4:5], 0x8
	s_load_dword s46, s[4:5], 0x0
	s_cmp_ge_i32 s45, s33
	s_waitcnt lgkmcnt(0)
	v_cmp_gt_i32_e64 s[0:1], s44, v11
	s_cbranch_scc1 .LBB71_104
; %bb.20:
	v_or_b32_e32 v0, v11, v10
	s_mul_i32 s6, s44, s45
	s_cmp_lg_u32 s46, 0
	v_cmp_ne_u32_e64 s[4:5], 0, v0
	s_movk_i32 s48, 0x110
	v_add_u32_e32 v0, s6, v10
	s_cselect_b64 s[24:25], -1, 0
	s_cmp_gt_i32 s44, 0
	v_mad_u32_u24 v24, v10, s48, v22
	v_mul_lo_u32 v27, s44, v0
	v_mov_b32_e32 v0, 0x2200
	v_cmp_gt_i32_e64 s[2:3], s44, v10
	s_mul_i32 s47, s44, s44
	v_mul_lo_u32 v23, v10, s44
	v_add_u32_e32 v25, 0x1100, v24
	v_mul_lo_u32 v26, v11, s44
	s_cselect_b64 s[26:27], -1, 0
	s_lshl_b32 s49, s44, 2
	v_mad_u32_u24 v28, v10, s48, v0
	v_mad_u32_u24 v29, v11, s48, v0
	v_add_u32_e32 v30, 0x3300, v24
	v_add_u32_e32 v31, 0x2200, v24
	v_mov_b32_e32 v0, 0
	v_mul_u32_u24_e32 v32, 0x110, v10
	v_mov_b32_e32 v33, 0x3ff00000
	s_mov_b32 s28, s45
	s_branch .LBB71_22
.LBB71_21:                              ;   in Loop: Header=BB71_22 Depth=1
	s_or_b64 exec, exec, s[6:7]
	s_add_i32 s28, s28, 1
	s_cmp_ge_i32 s28, s33
	s_waitcnt vmcnt(0)
	buffer_wbinvl1_vol
	v_add_u32_e32 v27, s47, v27
	s_cselect_b64 s[6:7], -1, 0
	s_and_b64 vcc, exec, s[6:7]
	s_cbranch_vccnz .LBB71_104
.LBB71_22:                              ; =>This Loop Header: Depth=1
                                        ;     Child Loop BB71_26 Depth 2
                                        ;     Child Loop BB71_39 Depth 2
	;; [unrolled: 1-line block ×5, first 2 shown]
                                        ;       Child Loop BB71_71 Depth 3
                                        ;     Child Loop BB71_84 Depth 2
                                        ;       Child Loop BB71_90 Depth 3
                                        ;       Child Loop BB71_93 Depth 3
                                        ;     Child Loop BB71_98 Depth 2
	s_ashr_i32 s29, s28, 31
	s_lshl_b64 s[6:7], s[28:29], 2
	s_add_u32 s6, s18, s6
	s_addc_u32 s7, s19, s7
	s_load_dword s50, s[6:7], 0x0
	s_waitcnt lgkmcnt(0)
	s_sub_i32 s30, s50, s21
	s_ashr_i32 s31, s30, 31
	s_lshl_b64 s[6:7], s[30:31], 2
	s_add_u32 s34, s8, s6
	s_addc_u32 s35, s9, s7
	s_load_dword s31, s[34:35], 0x0
	s_waitcnt lgkmcnt(0)
	s_cmp_eq_u32 s31, -1
	s_cbranch_scc1 .LBB71_103
; %bb.23:                               ;   in Loop: Header=BB71_22 Depth=1
	s_add_u32 s34, s16, s6
	s_addc_u32 s35, s17, s7
	s_load_dword s51, s[34:35], 0x0
	s_mul_i32 s29, s28, s44
	s_and_saveexec_b64 s[34:35], s[0:1]
	s_cbranch_execz .LBB71_36
; %bb.24:                               ;   in Loop: Header=BB71_22 Depth=1
	s_mov_b64 s[36:37], 0
	v_mov_b32_e32 v8, v25
	v_mov_b32_e32 v9, v11
	s_branch .LBB71_26
.LBB71_25:                              ;   in Loop: Header=BB71_26 Depth=2
	s_or_b64 exec, exec, s[40:41]
	v_add_u32_e32 v9, 4, v9
	s_waitcnt vmcnt(0)
	ds_write_b128 v8, v[2:5] offset:4352
	v_mov_b32_e32 v1, v0
	v_mov_b32_e32 v2, v0
	;; [unrolled: 1-line block ×3, first 2 shown]
	v_cmp_le_i32_e32 vcc, s44, v9
	ds_write_b128 v8, v[0:3]
	s_or_b64 s[36:37], vcc, s[36:37]
	v_add_u32_e32 v8, 64, v8
	s_andn2_b64 exec, exec, s[36:37]
	s_cbranch_execz .LBB71_36
.LBB71_26:                              ;   Parent Loop BB71_22 Depth=1
                                        ; =>  This Inner Loop Header: Depth=2
	s_and_b64 vcc, exec, s[24:25]
	s_cbranch_vccz .LBB71_31
; %bb.27:                               ;   in Loop: Header=BB71_26 Depth=2
	s_mov_b64 s[40:41], 0
	s_mov_b64 s[38:39], 0
                                        ; implicit-def: $vgpr6
	s_and_saveexec_b64 s[42:43], s[2:3]
	s_xor_b64 s[42:43], exec, s[42:43]
; %bb.28:                               ;   in Loop: Header=BB71_26 Depth=2
	v_add_u32_e32 v1, s29, v9
	s_mov_b64 s[38:39], exec
	v_mad_u64_u32 v[6:7], s[52:53], v1, s44, v[10:11]
; %bb.29:                               ;   in Loop: Header=BB71_26 Depth=2
	s_or_b64 exec, exec, s[42:43]
	s_and_b64 vcc, exec, s[40:41]
	s_cbranch_vccnz .LBB71_32
.LBB71_30:                              ;   in Loop: Header=BB71_26 Depth=2
	v_pk_mov_b32 v[2:3], s[40:41], s[40:41] op_sel:[0,1]
	v_pk_mov_b32 v[4:5], s[40:41], s[40:41] op_sel:[0,1]
	s_and_saveexec_b64 s[40:41], s[38:39]
	s_cbranch_execz .LBB71_25
	s_branch .LBB71_35
.LBB71_31:                              ;   in Loop: Header=BB71_26 Depth=2
	s_mov_b64 s[40:41], -1
	s_mov_b64 s[38:39], 0
                                        ; implicit-def: $vgpr6
	s_cbranch_execz .LBB71_30
.LBB71_32:                              ;   in Loop: Header=BB71_26 Depth=2
                                        ; implicit-def: $vgpr6
	s_and_saveexec_b64 s[40:41], s[2:3]
; %bb.33:                               ;   in Loop: Header=BB71_26 Depth=2
	v_add_u32_e32 v6, v27, v9
	s_or_b64 s[38:39], s[38:39], exec
; %bb.34:                               ;   in Loop: Header=BB71_26 Depth=2
	s_or_b64 exec, exec, s[40:41]
	s_mov_b64 s[40:41], 0
	v_pk_mov_b32 v[2:3], s[40:41], s[40:41] op_sel:[0,1]
	v_pk_mov_b32 v[4:5], s[40:41], s[40:41] op_sel:[0,1]
	s_and_saveexec_b64 s[40:41], s[38:39]
	s_cbranch_execz .LBB71_25
.LBB71_35:                              ;   in Loop: Header=BB71_26 Depth=2
	v_ashrrev_i32_e32 v7, 31, v6
	v_lshlrev_b64 v[2:3], 4, v[6:7]
	v_mov_b32_e32 v1, s23
	v_add_co_u32_e32 v2, vcc, s22, v2
	v_addc_co_u32_e32 v3, vcc, v1, v3, vcc
	global_load_dwordx4 v[2:5], v[2:3], off
	s_branch .LBB71_25
.LBB71_36:                              ;   in Loop: Header=BB71_22 Depth=1
	s_or_b64 exec, exec, s[34:35]
; %bb.37:                               ;   in Loop: Header=BB71_22 Depth=1
	ds_read_b32 v1, v0 offset:17920
	s_waitcnt lgkmcnt(0)
	s_sub_i32 s34, s51, s21
	s_cmp_le_i32 s34, s31
	s_cselect_b64 s[36:37], -1, 0
	s_mov_b32 s40, 0
	v_cmp_ge_i32_e32 vcc, s30, v1
	s_and_b64 s[36:37], s[36:37], vcc
	s_andn2_b64 vcc, exec, s[36:37]
	s_cbranch_vccnz .LBB71_49
; %bb.38:                               ;   in Loop: Header=BB71_22 Depth=1
	s_mov_b32 s38, 0
	s_mov_b32 s39, 0
.LBB71_39:                              ;   Parent Loop BB71_22 Depth=1
                                        ; =>  This Inner Loop Header: Depth=2
	s_ashr_i32 s35, s34, 31
	s_lshl_b64 s[36:37], s[34:35], 2
	s_add_u32 s36, s18, s36
	s_addc_u32 s37, s19, s37
	s_load_dword s35, s[36:37], 0x0
	s_lshl_b32 s36, s39, 2
	v_mov_b32_e32 v1, s36
	ds_read_b32 v1, v1 offset:17920
	s_mov_b64 s[36:37], -1
	s_waitcnt lgkmcnt(0)
	s_sub_i32 s43, s35, s21
                                        ; implicit-def: $sgpr40
                                        ; implicit-def: $sgpr42
                                        ; implicit-def: $sgpr41
	v_cmp_ge_i32_e32 vcc, s43, v1
	v_readfirstlane_b32 s35, v1
	s_cbranch_vccz .LBB71_45
; %bb.40:                               ;   in Loop: Header=BB71_39 Depth=2
	s_cmp_le_i32 s43, s35
                                        ; implicit-def: $sgpr40
                                        ; implicit-def: $sgpr42
                                        ; implicit-def: $sgpr41
	s_cbranch_scc0 .LBB71_42
; %bb.41:                               ;   in Loop: Header=BB71_39 Depth=2
	s_add_i32 s36, s39, s45
	s_mul_i32 s36, s36, s47
	s_lshl_b32 s37, s38, 2
	v_mov_b32_e32 v2, s36
	s_mul_i32 s36, s34, s47
	v_mov_b32_e32 v1, s37
	v_mov_b32_e32 v3, s36
	ds_write2st64_b32 v1, v3, v2 offset0:68 offset1:69
	s_add_i32 s41, s39, 1
	s_add_i32 s42, s34, 1
	;; [unrolled: 1-line block ×3, first 2 shown]
	s_mov_b64 s[36:37], 0
.LBB71_42:                              ;   in Loop: Header=BB71_39 Depth=2
	s_andn2_b64 vcc, exec, s[36:37]
	s_cbranch_vccnz .LBB71_44
; %bb.43:                               ;   in Loop: Header=BB71_39 Depth=2
	s_add_i32 s41, s39, 1
	s_mov_b32 s40, s38
	s_mov_b32 s42, s34
.LBB71_44:                              ;   in Loop: Header=BB71_39 Depth=2
	s_mov_b64 s[36:37], 0
.LBB71_45:                              ;   in Loop: Header=BB71_39 Depth=2
	s_andn2_b64 vcc, exec, s[36:37]
	s_cbranch_vccnz .LBB71_47
; %bb.46:                               ;   in Loop: Header=BB71_39 Depth=2
	s_add_i32 s42, s34, 1
	s_mov_b32 s41, s39
	s_mov_b32 s40, s38
.LBB71_47:                              ;   in Loop: Header=BB71_39 Depth=2
	s_cmp_le_i32 s42, s31
	s_cselect_b64 s[36:37], -1, 0
	s_cmp_le_i32 s35, s30
	s_cselect_b64 s[34:35], -1, 0
	s_and_b64 s[34:35], s[36:37], s[34:35]
	s_and_b64 vcc, exec, s[34:35]
	s_cbranch_vccz .LBB71_49
; %bb.48:                               ;   in Loop: Header=BB71_39 Depth=2
	s_mov_b32 s38, s40
	s_mov_b32 s34, s42
	;; [unrolled: 1-line block ×3, first 2 shown]
	s_branch .LBB71_39
.LBB71_49:                              ;   in Loop: Header=BB71_22 Depth=1
	s_add_u32 s6, s10, s6
	s_addc_u32 s7, s11, s7
	s_waitcnt lgkmcnt(0)
.LBB71_50:                              ;   Parent Loop BB71_22 Depth=1
                                        ; =>  This Inner Loop Header: Depth=2
	global_load_dword v1, v0, s[6:7] glc
	s_waitcnt vmcnt(0)
	v_cmp_eq_u32_e32 vcc, 0, v1
	s_cbranch_vccnz .LBB71_50
; %bb.51:                               ;   in Loop: Header=BB71_22 Depth=1
	buffer_wbinvl1_vol
	s_and_saveexec_b64 s[6:7], s[0:1]
	s_cbranch_execz .LBB71_64
; %bb.52:                               ;   in Loop: Header=BB71_22 Depth=1
	s_mul_i32 s41, s31, s44
	v_add_u32_e32 v1, s41, v10
	v_mul_lo_u32 v1, v1, s44
	s_mov_b64 s[30:31], 0
	v_mov_b32_e32 v8, v24
	v_mov_b32_e32 v9, v11
	s_branch .LBB71_54
.LBB71_53:                              ;   in Loop: Header=BB71_54 Depth=2
	s_or_b64 exec, exec, s[36:37]
	v_add_u32_e32 v9, 4, v9
	v_cmp_le_i32_e32 vcc, s44, v9
	s_waitcnt vmcnt(0)
	ds_write_b128 v8, v[2:5]
	s_or_b64 s[30:31], vcc, s[30:31]
	v_add_u32_e32 v8, 64, v8
	s_andn2_b64 exec, exec, s[30:31]
	s_cbranch_execz .LBB71_64
.LBB71_54:                              ;   Parent Loop BB71_22 Depth=1
                                        ; =>  This Inner Loop Header: Depth=2
	s_and_b64 vcc, exec, s[24:25]
	s_cbranch_vccz .LBB71_59
; %bb.55:                               ;   in Loop: Header=BB71_54 Depth=2
	s_mov_b64 s[36:37], 0
	s_mov_b64 s[34:35], 0
                                        ; implicit-def: $vgpr6
	s_and_saveexec_b64 s[38:39], s[2:3]
	s_xor_b64 s[38:39], exec, s[38:39]
; %bb.56:                               ;   in Loop: Header=BB71_54 Depth=2
	v_add_u32_e32 v2, s41, v9
	s_mov_b64 s[34:35], exec
	v_mad_u64_u32 v[6:7], s[42:43], v2, s44, v[10:11]
; %bb.57:                               ;   in Loop: Header=BB71_54 Depth=2
	s_or_b64 exec, exec, s[38:39]
	s_and_b64 vcc, exec, s[36:37]
	s_cbranch_vccnz .LBB71_60
.LBB71_58:                              ;   in Loop: Header=BB71_54 Depth=2
	v_pk_mov_b32 v[2:3], s[36:37], s[36:37] op_sel:[0,1]
	v_pk_mov_b32 v[4:5], s[36:37], s[36:37] op_sel:[0,1]
	s_and_saveexec_b64 s[36:37], s[34:35]
	s_cbranch_execz .LBB71_53
	s_branch .LBB71_63
.LBB71_59:                              ;   in Loop: Header=BB71_54 Depth=2
	s_mov_b64 s[36:37], -1
	s_mov_b64 s[34:35], 0
                                        ; implicit-def: $vgpr6
	s_cbranch_execz .LBB71_58
.LBB71_60:                              ;   in Loop: Header=BB71_54 Depth=2
                                        ; implicit-def: $vgpr6
	s_and_saveexec_b64 s[36:37], s[2:3]
; %bb.61:                               ;   in Loop: Header=BB71_54 Depth=2
	v_add_u32_e32 v6, v1, v9
	s_or_b64 s[34:35], s[34:35], exec
; %bb.62:                               ;   in Loop: Header=BB71_54 Depth=2
	s_or_b64 exec, exec, s[36:37]
	s_mov_b64 s[36:37], 0
	v_pk_mov_b32 v[2:3], s[36:37], s[36:37] op_sel:[0,1]
	v_pk_mov_b32 v[4:5], s[36:37], s[36:37] op_sel:[0,1]
	s_and_saveexec_b64 s[36:37], s[34:35]
	s_cbranch_execz .LBB71_53
.LBB71_63:                              ;   in Loop: Header=BB71_54 Depth=2
	v_ashrrev_i32_e32 v7, 31, v6
	v_lshlrev_b64 v[2:3], 4, v[6:7]
	v_mov_b32_e32 v4, s23
	v_add_co_u32_e32 v2, vcc, s22, v2
	v_addc_co_u32_e32 v3, vcc, v4, v3, vcc
	global_load_dwordx4 v[2:5], v[2:3], off
	s_branch .LBB71_53
.LBB71_64:                              ;   in Loop: Header=BB71_22 Depth=1
	s_or_b64 exec, exec, s[6:7]
; %bb.65:                               ;   in Loop: Header=BB71_22 Depth=1
	s_cmp_lt_i32 s40, 2
	s_cbranch_scc1 .LBB71_81
; %bb.66:                               ;   in Loop: Header=BB71_22 Depth=1
	s_add_i32 s38, s40, -2
	s_mov_b32 s39, 0
	s_branch .LBB71_68
.LBB71_67:                              ;   in Loop: Header=BB71_68 Depth=2
	s_or_b64 exec, exec, s[6:7]
	s_add_i32 s6, s39, 1
	s_cmp_eq_u32 s39, s38
	s_mov_b32 s39, s6
	s_cbranch_scc1 .LBB71_81
.LBB71_68:                              ;   Parent Loop BB71_22 Depth=1
                                        ; =>  This Loop Header: Depth=2
                                        ;       Child Loop BB71_71 Depth 3
	s_and_saveexec_b64 s[6:7], s[0:1]
	s_cbranch_execz .LBB71_67
; %bb.69:                               ;   in Loop: Header=BB71_68 Depth=2
	s_lshl_b32 s30, s39, 2
	v_mov_b32_e32 v1, s30
	ds_read2st64_b32 v[2:3], v1 offset0:68 offset1:69
	s_mov_b64 s[30:31], 0
	v_mov_b32_e32 v37, v11
	s_waitcnt lgkmcnt(0)
	v_add_u32_e32 v1, v3, v23
	v_add_u32_e32 v34, v10, v3
	;; [unrolled: 1-line block ×4, first 2 shown]
	s_branch .LBB71_71
.LBB71_70:                              ;   in Loop: Header=BB71_71 Depth=3
	v_lshlrev_b32_e32 v4, 4, v37
	v_mad_u32_u24 v8, v10, s48, v4
	ds_read_b128 v[4:7], v8 offset:4352
	v_add_u32_e32 v37, 4, v37
	v_cmp_le_i32_e32 vcc, s44, v37
	v_add_u32_e32 v35, 4, v35
	s_or_b64 s[30:31], vcc, s[30:31]
	s_waitcnt lgkmcnt(0)
	v_add_f64 v[4:5], v[20:21], v[4:5]
	v_add_f64 v[6:7], v[2:3], v[6:7]
	v_add_u32_e32 v36, s49, v36
	ds_write_b128 v8, v[4:7] offset:4352
	s_andn2_b64 exec, exec, s[30:31]
	s_cbranch_execz .LBB71_67
.LBB71_71:                              ;   Parent Loop BB71_22 Depth=1
                                        ;     Parent Loop BB71_68 Depth=2
                                        ; =>    This Inner Loop Header: Depth=3
	v_pk_mov_b32 v[16:17], 0, 0
	s_mov_b32 s40, 0
	v_mov_b32_e32 v12, v35
	v_mov_b32_e32 v14, v34
	v_pk_mov_b32 v[18:19], v[16:17], v[16:17] op_sel:[0,1]
	s_and_b64 vcc, exec, s[24:25]
	s_cbranch_vccz .LBB71_75
.LBB71_72:                              ;   in Loop: Header=BB71_71 Depth=3
	v_ashrrev_i32_e32 v13, 31, v12
	v_lshlrev_b64 v[2:3], 4, v[12:13]
	v_mov_b32_e32 v4, s23
	v_add_co_u32_e32 v2, vcc, s22, v2
	v_addc_co_u32_e32 v3, vcc, v4, v3, vcc
	global_load_dwordx4 v[2:5], v[2:3], off
	v_pk_mov_b32 v[6:7], 0, 0
	s_mov_b64 s[34:35], 0
	v_pk_mov_b32 v[8:9], v[6:7], v[6:7] op_sel:[0,1]
	s_and_saveexec_b64 s[36:37], s[2:3]
	s_cbranch_execz .LBB71_74
; %bb.73:                               ;   in Loop: Header=BB71_71 Depth=3
	v_ashrrev_i32_e32 v15, 31, v14
	v_lshlrev_b64 v[6:7], 4, v[14:15]
	v_mov_b32_e32 v8, s23
	v_add_co_u32_e32 v6, vcc, s22, v6
	v_addc_co_u32_e32 v7, vcc, v8, v7, vcc
	global_load_dwordx4 v[6:9], v[6:7], off
.LBB71_74:                              ;   in Loop: Header=BB71_71 Depth=3
	s_or_b64 exec, exec, s[36:37]
	s_waitcnt vmcnt(0)
	v_fma_f64 v[20:21], v[2:3], v[6:7], v[18:19]
	v_fmac_f64_e32 v[20:21], v[4:5], v[8:9]
	v_fma_f64 v[4:5], v[4:5], v[6:7], v[16:17]
	v_fma_f64 v[2:3], v[2:3], -v[8:9], v[4:5]
	s_and_b64 vcc, exec, s[34:35]
	s_cbranch_vccnz .LBB71_76
	s_branch .LBB71_79
.LBB71_75:                              ;   in Loop: Header=BB71_71 Depth=3
                                        ; implicit-def: $vgpr2_vgpr3
                                        ; implicit-def: $vgpr20_vgpr21
	s_cbranch_execz .LBB71_79
.LBB71_76:                              ;   in Loop: Header=BB71_71 Depth=3
	v_add_u32_e32 v2, s40, v36
	v_ashrrev_i32_e32 v3, 31, v2
	v_lshlrev_b64 v[2:3], 4, v[2:3]
	v_mov_b32_e32 v4, s23
	v_add_co_u32_e32 v2, vcc, s22, v2
	v_addc_co_u32_e32 v3, vcc, v4, v3, vcc
	global_load_dwordx4 v[2:5], v[2:3], off
	v_pk_mov_b32 v[6:7], 0, 0
	v_pk_mov_b32 v[8:9], v[6:7], v[6:7] op_sel:[0,1]
	s_and_saveexec_b64 s[34:35], s[2:3]
	s_cbranch_execz .LBB71_78
; %bb.77:                               ;   in Loop: Header=BB71_71 Depth=3
	v_add_u32_e32 v6, s40, v1
	v_ashrrev_i32_e32 v7, 31, v6
	v_lshlrev_b64 v[6:7], 4, v[6:7]
	v_mov_b32_e32 v8, s23
	v_add_co_u32_e32 v6, vcc, s22, v6
	v_addc_co_u32_e32 v7, vcc, v8, v7, vcc
	global_load_dwordx4 v[6:9], v[6:7], off
.LBB71_78:                              ;   in Loop: Header=BB71_71 Depth=3
	s_or_b64 exec, exec, s[34:35]
	s_waitcnt vmcnt(0)
	v_fmac_f64_e32 v[18:19], v[2:3], v[6:7]
	v_fmac_f64_e32 v[18:19], v[4:5], v[8:9]
	;; [unrolled: 1-line block ×3, first 2 shown]
	v_fma_f64 v[2:3], v[2:3], -v[8:9], v[16:17]
	v_pk_mov_b32 v[20:21], v[18:19], v[18:19] op_sel:[0,1]
.LBB71_79:                              ;   in Loop: Header=BB71_71 Depth=3
	s_add_i32 s40, s40, 1
	v_add_u32_e32 v14, s44, v14
	s_cmp_eq_u32 s44, s40
	v_add_u32_e32 v12, s44, v12
	s_cbranch_scc1 .LBB71_70
; %bb.80:                               ;   in Loop: Header=BB71_71 Depth=3
	v_pk_mov_b32 v[16:17], v[2:3], v[2:3] op_sel:[0,1]
	v_pk_mov_b32 v[18:19], v[20:21], v[20:21] op_sel:[0,1]
	s_and_b64 vcc, exec, s[24:25]
	s_cbranch_vccnz .LBB71_72
	s_branch .LBB71_75
.LBB71_81:                              ;   in Loop: Header=BB71_22 Depth=1
	s_andn2_b64 vcc, exec, s[26:27]
	s_waitcnt lgkmcnt(0)
	s_cbranch_vccnz .LBB71_94
; %bb.82:                               ;   in Loop: Header=BB71_22 Depth=1
	s_mov_b32 s34, 0
	s_mov_b32 s35, 0
	v_mov_b32_e32 v1, v29
	s_branch .LBB71_84
.LBB71_83:                              ;   in Loop: Header=BB71_84 Depth=2
	s_or_b64 exec, exec, s[6:7]
	s_add_i32 s35, s35, 1
	s_addk_i32 s34, 0x110
	s_cmp_eq_u32 s35, s44
	v_add_u32_e32 v1, 16, v1
	s_waitcnt lgkmcnt(0)
	s_cbranch_scc1 .LBB71_94
.LBB71_84:                              ;   Parent Loop BB71_22 Depth=1
                                        ; =>  This Loop Header: Depth=2
                                        ;       Child Loop BB71_90 Depth 3
                                        ;       Child Loop BB71_93 Depth 3
	s_lshl_b32 s6, s35, 4
	s_mul_i32 s7, s35, 0x110
	s_add_i32 s7, s6, s7
	v_mov_b32_e32 v2, s7
	ds_read_b128 v[6:9], v2
	v_mov_b32_e32 v2, s6
	v_mad_u32_u24 v16, v10, s48, v2
	ds_read_b128 v[2:5], v16 offset:8704
	s_waitcnt lgkmcnt(1)
	v_cmp_neq_f64_e32 vcc, 0, v[6:7]
	v_cmp_neq_f64_e64 s[6:7], 0, v[8:9]
	s_or_b64 vcc, vcc, s[6:7]
	s_or_b64 s[6:7], vcc, s[4:5]
	v_cndmask_b32_e32 v13, v33, v7, vcc
	s_xor_b64 s[30:31], s[6:7], -1
	v_cndmask_b32_e32 v12, 0, v6, vcc
	v_cndmask_b32_e32 v15, 0, v9, vcc
	;; [unrolled: 1-line block ×3, first 2 shown]
	s_and_saveexec_b64 s[6:7], s[30:31]
	s_cbranch_execz .LBB71_88
; %bb.85:                               ;   in Loop: Header=BB71_84 Depth=2
	v_mbcnt_lo_u32_b32 v6, exec_lo, 0
	v_mbcnt_hi_u32_b32 v6, exec_hi, v6
	v_cmp_eq_u32_e32 vcc, 0, v6
	s_and_saveexec_b64 s[30:31], vcc
	s_cbranch_execz .LBB71_87
; %bb.86:                               ;   in Loop: Header=BB71_84 Depth=2
	v_mov_b32_e32 v6, s50
	global_atomic_smin v0, v6, s[14:15]
.LBB71_87:                              ;   in Loop: Header=BB71_84 Depth=2
	s_or_b64 exec, exec, s[30:31]
	v_mov_b32_e32 v12, 0
	v_mov_b32_e32 v13, 0x3ff00000
	v_pk_mov_b32 v[14:15], 0, 0
.LBB71_88:                              ;   in Loop: Header=BB71_84 Depth=2
	s_or_b64 exec, exec, s[6:7]
	v_lshl_add_u32 v6, s35, 4, v32
	ds_read_b128 v[6:9], v6 offset:4352
	s_cmp_eq_u32 s35, 0
	s_cbranch_scc1 .LBB71_91
; %bb.89:                               ;   in Loop: Header=BB71_84 Depth=2
	s_mov_b32 s6, 0
	v_mov_b32_e32 v17, v28
	s_mov_b32 s7, s34
.LBB71_90:                              ;   Parent Loop BB71_22 Depth=1
                                        ;     Parent Loop BB71_84 Depth=2
                                        ; =>    This Inner Loop Header: Depth=3
	v_mov_b32_e32 v34, s7
	ds_read_b128 v[18:21], v17
	ds_read_b128 v[34:37], v34
	s_add_i32 s6, s6, 1
	s_add_i32 s7, s7, 16
	v_add_u32_e32 v17, 16, v17
	s_cmp_ge_u32 s6, s35
	s_waitcnt lgkmcnt(0)
	v_fmac_f64_e32 v[6:7], v[34:35], v[18:19]
	v_fmac_f64_e32 v[8:9], v[36:37], v[18:19]
	;; [unrolled: 1-line block ×3, first 2 shown]
	v_fma_f64 v[8:9], v[34:35], -v[20:21], v[8:9]
	s_cbranch_scc0 .LBB71_90
.LBB71_91:                              ;   in Loop: Header=BB71_84 Depth=2
	v_mul_f64 v[18:19], v[14:15], v[14:15]
	v_fmac_f64_e32 v[18:19], v[12:13], v[12:13]
	v_div_scale_f64 v[20:21], s[6:7], v[18:19], v[18:19], 1.0
	v_rcp_f64_e32 v[34:35], v[20:21]
	s_waitcnt lgkmcnt(0)
	v_add_f64 v[6:7], v[2:3], -v[6:7]
	v_add_f64 v[4:5], v[4:5], -v[8:9]
	v_add_u32_e32 v16, 0x2200, v16
	v_fma_f64 v[2:3], -v[20:21], v[34:35], 1.0
	v_fmac_f64_e32 v[34:35], v[34:35], v[2:3]
	v_fma_f64 v[2:3], -v[20:21], v[34:35], 1.0
	v_fmac_f64_e32 v[34:35], v[34:35], v[2:3]
	v_div_scale_f64 v[2:3], vcc, 1.0, v[18:19], 1.0
	v_mul_f64 v[8:9], v[2:3], v[34:35]
	v_fma_f64 v[2:3], -v[20:21], v[8:9], v[2:3]
	s_nop 1
	v_div_fmas_f64 v[2:3], v[2:3], v[34:35], v[8:9]
	v_div_fixup_f64 v[8:9], v[2:3], v[18:19], 1.0
	v_mul_f64 v[2:3], v[14:15], v[4:5]
	v_fmac_f64_e32 v[2:3], v[6:7], v[12:13]
	v_mul_f64 v[6:7], v[14:15], -v[6:7]
	v_fmac_f64_e32 v[6:7], v[4:5], v[12:13]
	v_mul_f64 v[2:3], v[8:9], v[2:3]
	v_mul_f64 v[4:5], v[8:9], v[6:7]
	ds_write_b128 v16, v[2:5]
	s_waitcnt lgkmcnt(0)
	s_and_saveexec_b64 s[6:7], s[0:1]
	s_cbranch_execz .LBB71_83
; %bb.92:                               ;   in Loop: Header=BB71_84 Depth=2
	s_mov_b64 s[30:31], 0
	v_mov_b32_e32 v6, v30
	v_mov_b32_e32 v7, v1
	;; [unrolled: 1-line block ×3, first 2 shown]
.LBB71_93:                              ;   Parent Loop BB71_22 Depth=1
                                        ;     Parent Loop BB71_84 Depth=2
                                        ; =>    This Inner Loop Header: Depth=3
	ds_read_b128 v[12:15], v7
	ds_read_b128 v[16:19], v6
	v_add_u32_e32 v8, 4, v8
	v_cmp_le_i32_e32 vcc, s44, v8
	v_add_u32_e32 v7, 0x440, v7
	s_or_b64 s[30:31], vcc, s[30:31]
	s_waitcnt lgkmcnt(0)
	v_fmac_f64_e32 v[16:17], v[2:3], v[12:13]
	v_fmac_f64_e32 v[18:19], v[4:5], v[12:13]
	;; [unrolled: 1-line block ×3, first 2 shown]
	v_fma_f64 v[18:19], v[2:3], -v[14:15], v[18:19]
	ds_write_b128 v6, v[16:19]
	v_add_u32_e32 v6, 64, v6
	s_andn2_b64 exec, exec, s[30:31]
	s_cbranch_execnz .LBB71_93
	s_branch .LBB71_83
.LBB71_94:                              ;   in Loop: Header=BB71_22 Depth=1
	s_and_saveexec_b64 s[6:7], s[0:1]
	s_cbranch_execz .LBB71_21
; %bb.95:                               ;   in Loop: Header=BB71_22 Depth=1
	s_mov_b64 s[30:31], 0
	v_mov_b32_e32 v1, v31
	v_mov_b32_e32 v4, v11
	s_branch .LBB71_98
.LBB71_96:                              ;   in Loop: Header=BB71_98 Depth=2
	ds_read2_b64 v[6:9], v1 offset1:1
	v_ashrrev_i32_e32 v3, 31, v2
	v_lshlrev_b64 v[2:3], 4, v[2:3]
	v_mov_b32_e32 v5, s23
	v_add_co_u32_e32 v2, vcc, s22, v2
	v_addc_co_u32_e32 v3, vcc, v5, v3, vcc
	s_waitcnt lgkmcnt(0)
	global_store_dwordx4 v[2:3], v[6:9], off
.LBB71_97:                              ;   in Loop: Header=BB71_98 Depth=2
	s_or_b64 exec, exec, s[34:35]
	v_add_u32_e32 v4, 4, v4
	v_cmp_le_i32_e32 vcc, s44, v4
	s_or_b64 s[30:31], vcc, s[30:31]
	v_add_u32_e32 v1, 64, v1
	s_andn2_b64 exec, exec, s[30:31]
	s_cbranch_execz .LBB71_21
.LBB71_98:                              ;   Parent Loop BB71_22 Depth=1
                                        ; =>  This Inner Loop Header: Depth=2
	s_and_saveexec_b64 s[34:35], s[2:3]
	s_cbranch_execz .LBB71_97
; %bb.99:                               ;   in Loop: Header=BB71_98 Depth=2
	s_and_b64 vcc, exec, s[24:25]
	s_cbranch_vccz .LBB71_101
; %bb.100:                              ;   in Loop: Header=BB71_98 Depth=2
	v_add_u32_e32 v2, s29, v4
	v_mad_u64_u32 v[2:3], s[36:37], v2, s44, v[10:11]
	s_cbranch_execnz .LBB71_96
	s_branch .LBB71_102
.LBB71_101:                             ;   in Loop: Header=BB71_98 Depth=2
                                        ; implicit-def: $vgpr2
.LBB71_102:                             ;   in Loop: Header=BB71_98 Depth=2
	v_add_u32_e32 v2, v27, v4
	s_branch .LBB71_96
.LBB71_103:                             ;   in Loop: Header=BB71_22 Depth=1
                                        ; implicit-def: $sgpr28
                                        ; implicit-def: $vgpr27
	s_cbranch_execz .LBB71_22
.LBB71_104:
	v_cmp_gt_i32_e64 s[0:1], s44, v11
	s_and_saveexec_b64 s[4:5], s[0:1]
	s_cbranch_execz .LBB71_117
; %bb.105:
	s_mul_i32 s26, s33, s44
	v_add_u32_e32 v0, s26, v10
	s_cmp_lg_u32 s46, 0
	v_mul_lo_u32 v6, v0, s44
	v_mul_u32_u24_e32 v0, 0x110, v10
	s_movk_i32 s8, 0x2200
	s_cselect_b64 s[6:7], -1, 0
	v_cmp_gt_i32_e64 s[2:3], s44, v10
	v_add3_u32 v7, v0, v22, s8
	s_mov_b64 s[8:9], 0
	v_mov_b32_e32 v8, v11
	s_branch .LBB71_107
.LBB71_106:                             ;   in Loop: Header=BB71_107 Depth=1
	s_or_b64 exec, exec, s[18:19]
	v_add_u32_e32 v8, 4, v8
	v_cmp_le_i32_e32 vcc, s44, v8
	s_waitcnt vmcnt(0)
	ds_write_b128 v7, v[0:3]
	s_or_b64 s[8:9], vcc, s[8:9]
	v_add_u32_e32 v7, 64, v7
	s_andn2_b64 exec, exec, s[8:9]
	s_cbranch_execz .LBB71_117
.LBB71_107:                             ; =>This Inner Loop Header: Depth=1
	s_and_b64 vcc, exec, s[6:7]
	s_cbranch_vccz .LBB71_112
; %bb.108:                              ;   in Loop: Header=BB71_107 Depth=1
	s_mov_b64 s[18:19], 0
	s_mov_b64 s[16:17], 0
                                        ; implicit-def: $vgpr4
	s_and_saveexec_b64 s[24:25], s[2:3]
	s_xor_b64 s[24:25], exec, s[24:25]
; %bb.109:                              ;   in Loop: Header=BB71_107 Depth=1
	v_add_u32_e32 v0, s26, v8
	s_mov_b64 s[16:17], exec
	v_mad_u64_u32 v[4:5], s[28:29], v0, s44, v[10:11]
; %bb.110:                              ;   in Loop: Header=BB71_107 Depth=1
	s_or_b64 exec, exec, s[24:25]
	s_and_b64 vcc, exec, s[18:19]
	s_cbranch_vccnz .LBB71_113
.LBB71_111:                             ;   in Loop: Header=BB71_107 Depth=1
	v_pk_mov_b32 v[0:1], s[18:19], s[18:19] op_sel:[0,1]
	v_pk_mov_b32 v[2:3], s[18:19], s[18:19] op_sel:[0,1]
	s_and_saveexec_b64 s[18:19], s[16:17]
	s_cbranch_execz .LBB71_106
	s_branch .LBB71_116
.LBB71_112:                             ;   in Loop: Header=BB71_107 Depth=1
	s_mov_b64 s[18:19], -1
	s_mov_b64 s[16:17], 0
                                        ; implicit-def: $vgpr4
	s_cbranch_execz .LBB71_111
.LBB71_113:                             ;   in Loop: Header=BB71_107 Depth=1
                                        ; implicit-def: $vgpr4
	s_and_saveexec_b64 s[18:19], s[2:3]
; %bb.114:                              ;   in Loop: Header=BB71_107 Depth=1
	v_add_u32_e32 v4, v6, v8
	s_or_b64 s[16:17], s[16:17], exec
; %bb.115:                              ;   in Loop: Header=BB71_107 Depth=1
	s_or_b64 exec, exec, s[18:19]
	s_mov_b64 s[18:19], 0
	v_pk_mov_b32 v[0:1], s[18:19], s[18:19] op_sel:[0,1]
	v_pk_mov_b32 v[2:3], s[18:19], s[18:19] op_sel:[0,1]
	s_and_saveexec_b64 s[18:19], s[16:17]
	s_cbranch_execz .LBB71_106
.LBB71_116:                             ;   in Loop: Header=BB71_107 Depth=1
	v_ashrrev_i32_e32 v5, 31, v4
	v_lshlrev_b64 v[0:1], 4, v[4:5]
	v_mov_b32_e32 v2, s23
	v_add_co_u32_e32 v0, vcc, s22, v0
	v_addc_co_u32_e32 v1, vcc, v2, v1, vcc
	global_load_dwordx4 v[0:3], v[0:1], off
	s_branch .LBB71_106
.LBB71_117:
	s_or_b64 exec, exec, s[4:5]
; %bb.118:
	s_cmp_lt_i32 s44, 1
	s_waitcnt lgkmcnt(0)
	s_cbranch_scc1 .LBB71_137
; %bb.119:
	v_or_b32_e32 v0, v11, v10
	v_cmp_ne_u32_e64 s[2:3], 0, v0
	v_lshlrev_b32_e32 v0, 4, v10
	s_movk_i32 s24, 0x110
	v_mad_u32_u24 v0, v10, s24, v0
	v_add_u32_e32 v12, 0x2200, v0
	v_mul_u32_u24_e32 v13, 0x110, v10
	s_movk_i32 s4, 0x3300
	v_add_u32_e32 v14, 0x3300, v0
	v_mov_b32_e32 v0, 0x2200
	s_mov_b32 s6, 0
	s_mov_b32 s18, 0
	s_add_i32 s19, s20, s21
	v_mad_u32_u24 v15, v11, s24, v0
	v_add3_u32 v16, v13, v22, s4
	s_brev_b32 s7, 8
	v_mov_b32_e32 v17, 0x260
	v_mov_b32_e32 v18, 0x3ff00000
	;; [unrolled: 1-line block ×4, first 2 shown]
	s_branch .LBB71_121
.LBB71_120:                             ;   in Loop: Header=BB71_121 Depth=1
	s_or_b64 exec, exec, s[4:5]
	s_add_i32 s18, s18, 1
	s_cmp_eq_u32 s18, s44
	v_add_u32_e32 v15, 16, v15
	s_waitcnt lgkmcnt(0)
	s_cbranch_scc1 .LBB71_137
.LBB71_121:                             ; =>This Loop Header: Depth=1
                                        ;     Child Loop BB71_136 Depth 2
	v_cmp_eq_u32_e32 vcc, s18, v10
	s_and_saveexec_b64 s[4:5], vcc
	s_cbranch_execz .LBB71_129
; %bb.122:                              ;   in Loop: Header=BB71_121 Depth=1
	ds_read_b128 v[4:7], v14
	ds_read_b128 v[24:27], v12
	s_waitcnt lgkmcnt(0)
	v_add_f64 v[0:1], v[24:25], -v[4:5]
	v_add_f64 v[8:9], v[26:27], -v[6:7]
	v_xor_b32_e32 v3, 0x80000000, v1
	v_cmp_gt_f64_e32 vcc, 0, v[0:1]
	v_cndmask_b32_e32 v1, v1, v3, vcc
	v_cndmask_b32_e32 v0, v0, v0, vcc
	v_xor_b32_e32 v3, 0x80000000, v9
	v_cmp_gt_f64_e32 vcc, 0, v[8:9]
	v_cndmask_b32_e32 v5, v9, v3, vcc
	v_cndmask_b32_e32 v4, v8, v8, vcc
	v_cmp_ngt_f64_e32 vcc, v[0:1], v[4:5]
                                        ; implicit-def: $vgpr6_vgpr7
	s_and_saveexec_b64 s[8:9], vcc
	s_xor_b64 s[8:9], exec, s[8:9]
	s_cbranch_execz .LBB71_126
; %bb.123:                              ;   in Loop: Header=BB71_121 Depth=1
	v_cmp_neq_f64_e32 vcc, 0, v[8:9]
	v_pk_mov_b32 v[6:7], 0, 0
	s_and_saveexec_b64 s[16:17], vcc
	s_cbranch_execz .LBB71_125
; %bb.124:                              ;   in Loop: Header=BB71_121 Depth=1
	v_div_scale_f64 v[6:7], s[26:27], v[4:5], v[4:5], v[0:1]
	v_rcp_f64_e32 v[8:9], v[6:7]
	v_div_scale_f64 v[20:21], vcc, v[0:1], v[4:5], v[0:1]
	v_fma_f64 v[24:25], -v[6:7], v[8:9], 1.0
	v_fmac_f64_e32 v[8:9], v[8:9], v[24:25]
	v_fma_f64 v[24:25], -v[6:7], v[8:9], 1.0
	v_fmac_f64_e32 v[8:9], v[8:9], v[24:25]
	v_mul_f64 v[24:25], v[20:21], v[8:9]
	v_fma_f64 v[6:7], -v[6:7], v[24:25], v[20:21]
	v_div_fmas_f64 v[6:7], v[6:7], v[8:9], v[24:25]
	v_div_fixup_f64 v[0:1], v[6:7], v[4:5], v[0:1]
	v_fma_f64 v[0:1], v[0:1], v[0:1], 1.0
	v_cmp_gt_f64_e32 vcc, s[6:7], v[0:1]
	v_cndmask_b32_e64 v3, 0, 1, vcc
	v_lshlrev_b32_e32 v3, 8, v3
	v_ldexp_f64 v[0:1], v[0:1], v3
	v_rsq_f64_e32 v[6:7], v[0:1]
	v_cndmask_b32_e32 v3, 0, v19, vcc
	v_cmp_class_f64_e32 vcc, v[0:1], v17
	v_mul_f64 v[8:9], v[0:1], v[6:7]
	v_mul_f64 v[6:7], v[6:7], 0.5
	v_fma_f64 v[20:21], -v[6:7], v[8:9], 0.5
	v_fmac_f64_e32 v[8:9], v[8:9], v[20:21]
	v_fma_f64 v[24:25], -v[8:9], v[8:9], v[0:1]
	v_fmac_f64_e32 v[6:7], v[6:7], v[20:21]
	v_fmac_f64_e32 v[8:9], v[24:25], v[6:7]
	v_fma_f64 v[20:21], -v[8:9], v[8:9], v[0:1]
	v_fmac_f64_e32 v[8:9], v[20:21], v[6:7]
	v_ldexp_f64 v[6:7], v[8:9], v3
	v_cndmask_b32_e32 v1, v7, v1, vcc
	v_cndmask_b32_e32 v0, v6, v0, vcc
	v_mul_f64 v[6:7], v[4:5], v[0:1]
.LBB71_125:                             ;   in Loop: Header=BB71_121 Depth=1
	s_or_b64 exec, exec, s[16:17]
                                        ; implicit-def: $vgpr0_vgpr1
                                        ; implicit-def: $vgpr4_vgpr5
.LBB71_126:                             ;   in Loop: Header=BB71_121 Depth=1
	s_andn2_saveexec_b64 s[8:9], s[8:9]
	s_cbranch_execz .LBB71_128
; %bb.127:                              ;   in Loop: Header=BB71_121 Depth=1
	v_div_scale_f64 v[6:7], s[16:17], v[0:1], v[0:1], v[4:5]
	v_rcp_f64_e32 v[8:9], v[6:7]
	v_div_scale_f64 v[20:21], vcc, v[4:5], v[0:1], v[4:5]
	v_fma_f64 v[24:25], -v[6:7], v[8:9], 1.0
	v_fmac_f64_e32 v[8:9], v[8:9], v[24:25]
	v_fma_f64 v[24:25], -v[6:7], v[8:9], 1.0
	v_fmac_f64_e32 v[8:9], v[8:9], v[24:25]
	v_mul_f64 v[24:25], v[20:21], v[8:9]
	v_fma_f64 v[6:7], -v[6:7], v[24:25], v[20:21]
	v_div_fmas_f64 v[6:7], v[6:7], v[8:9], v[24:25]
	v_div_fixup_f64 v[4:5], v[6:7], v[0:1], v[4:5]
	v_fma_f64 v[4:5], v[4:5], v[4:5], 1.0
	v_cmp_gt_f64_e32 vcc, s[6:7], v[4:5]
	v_cndmask_b32_e64 v3, 0, 1, vcc
	v_lshlrev_b32_e32 v3, 8, v3
	v_ldexp_f64 v[4:5], v[4:5], v3
	v_rsq_f64_e32 v[6:7], v[4:5]
	v_cndmask_b32_e32 v3, 0, v19, vcc
	v_cmp_class_f64_e32 vcc, v[4:5], v17
	v_mul_f64 v[8:9], v[4:5], v[6:7]
	v_mul_f64 v[6:7], v[6:7], 0.5
	v_fma_f64 v[20:21], -v[6:7], v[8:9], 0.5
	v_fmac_f64_e32 v[8:9], v[8:9], v[20:21]
	v_fma_f64 v[24:25], -v[8:9], v[8:9], v[4:5]
	v_fmac_f64_e32 v[6:7], v[6:7], v[20:21]
	v_fmac_f64_e32 v[8:9], v[24:25], v[6:7]
	v_fma_f64 v[20:21], -v[8:9], v[8:9], v[4:5]
	v_fmac_f64_e32 v[8:9], v[20:21], v[6:7]
	v_ldexp_f64 v[6:7], v[8:9], v3
	v_cndmask_b32_e32 v5, v7, v5, vcc
	v_cndmask_b32_e32 v4, v6, v4, vcc
	v_mul_f64 v[6:7], v[0:1], v[4:5]
.LBB71_128:                             ;   in Loop: Header=BB71_121 Depth=1
	s_or_b64 exec, exec, s[8:9]
	v_cmp_gt_f64_e32 vcc, s[6:7], v[6:7]
	v_cndmask_b32_e64 v0, 0, 1, vcc
	v_lshlrev_b32_e32 v0, 8, v0
	v_ldexp_f64 v[0:1], v[6:7], v0
	v_rsq_f64_e32 v[4:5], v[0:1]
	v_cndmask_b32_e32 v3, 0, v19, vcc
	v_cmp_class_f64_e32 vcc, v[0:1], v17
	v_mul_f64 v[6:7], v[0:1], v[4:5]
	v_mul_f64 v[4:5], v[4:5], 0.5
	v_fma_f64 v[8:9], -v[4:5], v[6:7], 0.5
	v_fmac_f64_e32 v[6:7], v[6:7], v[8:9]
	v_fmac_f64_e32 v[4:5], v[4:5], v[8:9]
	v_fma_f64 v[8:9], -v[6:7], v[6:7], v[0:1]
	v_fmac_f64_e32 v[6:7], v[8:9], v[4:5]
	v_fma_f64 v[8:9], -v[6:7], v[6:7], v[0:1]
	v_fmac_f64_e32 v[6:7], v[8:9], v[4:5]
	v_ldexp_f64 v[4:5], v[6:7], v3
	v_cndmask_b32_e32 v1, v5, v1, vcc
	v_cndmask_b32_e32 v0, v4, v0, vcc
	v_mov_b32_e32 v3, v2
	ds_write_b128 v12, v[0:3]
.LBB71_129:                             ;   in Loop: Header=BB71_121 Depth=1
	s_or_b64 exec, exec, s[4:5]
	s_lshl_b32 s4, s18, 4
	s_mul_i32 s5, s18, 0x110
	s_add_i32 s5, s5, s4
	v_mov_b32_e32 v0, s5
	s_waitcnt lgkmcnt(0)
	ds_read_b128 v[24:27], v0 offset:8704
	v_mov_b32_e32 v0, s4
	v_mad_u32_u24 v3, v10, s24, v0
	ds_read_b128 v[4:7], v3 offset:8704
	s_waitcnt lgkmcnt(1)
	v_cmp_neq_f64_e32 vcc, 0, v[24:25]
	v_cmp_neq_f64_e64 s[4:5], 0, v[26:27]
	s_or_b64 vcc, vcc, s[4:5]
	s_or_b64 s[4:5], vcc, s[2:3]
	v_cndmask_b32_e32 v1, 0, v27, vcc
	s_xor_b64 s[8:9], s[4:5], -1
	v_cndmask_b32_e32 v0, 0, v26, vcc
	v_cndmask_b32_e32 v9, v18, v25, vcc
	;; [unrolled: 1-line block ×3, first 2 shown]
	s_and_saveexec_b64 s[4:5], s[8:9]
	s_cbranch_execz .LBB71_133
; %bb.130:                              ;   in Loop: Header=BB71_121 Depth=1
	v_mbcnt_lo_u32_b32 v0, exec_lo, 0
	v_mbcnt_hi_u32_b32 v0, exec_hi, v0
	v_cmp_eq_u32_e32 vcc, 0, v0
	s_and_saveexec_b64 s[8:9], vcc
	s_cbranch_execz .LBB71_132
; %bb.131:                              ;   in Loop: Header=BB71_121 Depth=1
	v_mov_b32_e32 v0, s19
	global_atomic_smin v2, v0, s[14:15]
.LBB71_132:                             ;   in Loop: Header=BB71_121 Depth=1
	s_or_b64 exec, exec, s[8:9]
	v_mov_b32_e32 v8, 0
	v_pk_mov_b32 v[0:1], 0, 0
	v_mov_b32_e32 v9, 0x3ff00000
.LBB71_133:                             ;   in Loop: Header=BB71_121 Depth=1
	s_or_b64 exec, exec, s[4:5]
	v_cmp_lt_u32_e32 vcc, s18, v10
	s_and_saveexec_b64 s[4:5], vcc
	s_cbranch_execz .LBB71_120
; %bb.134:                              ;   in Loop: Header=BB71_121 Depth=1
	v_lshl_add_u32 v20, s18, 4, v13
	ds_read_b128 v[24:27], v20 offset:13056
	v_mul_f64 v[20:21], v[0:1], v[0:1]
	v_fmac_f64_e32 v[20:21], v[8:9], v[8:9]
	v_div_scale_f64 v[28:29], s[8:9], v[20:21], v[20:21], 1.0
	v_rcp_f64_e32 v[30:31], v[28:29]
	s_waitcnt lgkmcnt(0)
	v_add_f64 v[24:25], v[4:5], -v[24:25]
	v_add_f64 v[6:7], v[6:7], -v[26:27]
	v_add_u32_e32 v3, 0x2200, v3
	v_fma_f64 v[4:5], -v[28:29], v[30:31], 1.0
	v_fmac_f64_e32 v[30:31], v[30:31], v[4:5]
	v_fma_f64 v[4:5], -v[28:29], v[30:31], 1.0
	v_fmac_f64_e32 v[30:31], v[30:31], v[4:5]
	v_div_scale_f64 v[4:5], vcc, 1.0, v[20:21], 1.0
	v_mul_f64 v[26:27], v[4:5], v[30:31]
	v_fma_f64 v[4:5], -v[28:29], v[26:27], v[4:5]
	s_nop 1
	v_div_fmas_f64 v[4:5], v[4:5], v[30:31], v[26:27]
	v_div_fixup_f64 v[20:21], v[4:5], v[20:21], 1.0
	v_mul_f64 v[4:5], v[0:1], v[6:7]
	v_mul_f64 v[0:1], v[0:1], -v[24:25]
	v_fmac_f64_e32 v[4:5], v[24:25], v[8:9]
	v_fmac_f64_e32 v[0:1], v[6:7], v[8:9]
	v_mul_f64 v[4:5], v[20:21], v[4:5]
	v_mul_f64 v[6:7], v[20:21], v[0:1]
	ds_write_b128 v3, v[4:7]
	s_waitcnt lgkmcnt(0)
	s_and_b64 exec, exec, s[0:1]
	s_cbranch_execz .LBB71_120
; %bb.135:                              ;   in Loop: Header=BB71_121 Depth=1
	s_mov_b64 s[8:9], 0
	v_mov_b32_e32 v0, v16
	v_mov_b32_e32 v1, v15
	;; [unrolled: 1-line block ×3, first 2 shown]
.LBB71_136:                             ;   Parent Loop BB71_121 Depth=1
                                        ; =>  This Inner Loop Header: Depth=2
	ds_read_b128 v[24:27], v1
	ds_read_b128 v[28:31], v0
	v_add_u32_e32 v3, 4, v3
	v_cmp_le_i32_e32 vcc, s44, v3
	v_add_u32_e32 v1, 0x440, v1
	s_or_b64 s[8:9], vcc, s[8:9]
	s_waitcnt lgkmcnt(0)
	v_fmac_f64_e32 v[28:29], v[4:5], v[24:25]
	v_fmac_f64_e32 v[30:31], v[6:7], v[24:25]
	;; [unrolled: 1-line block ×3, first 2 shown]
	v_fma_f64 v[30:31], v[4:5], -v[26:27], v[30:31]
	ds_write_b128 v0, v[28:31]
	v_add_u32_e32 v0, 64, v0
	s_andn2_b64 exec, exec, s[8:9]
	s_cbranch_execnz .LBB71_136
	s_branch .LBB71_120
.LBB71_137:
	s_and_saveexec_b64 s[2:3], s[0:1]
	s_cbranch_execz .LBB71_146
; %bb.138:
	s_mul_i32 s33, s33, s44
	v_add_u32_e32 v0, s33, v10
	s_cmp_lg_u32 s46, 0
	v_mul_lo_u32 v2, v0, s44
	v_mul_u32_u24_e32 v0, 0x110, v10
	s_movk_i32 s6, 0x2200
	v_cmp_gt_i32_e64 s[0:1], s44, v10
	s_cselect_b64 s[4:5], -1, 0
	v_add3_u32 v3, v0, v22, s6
	s_mov_b64 s[6:7], 0
	v_mov_b32_e32 v4, v11
	s_branch .LBB71_141
.LBB71_139:                             ;   in Loop: Header=BB71_141 Depth=1
	ds_read2_b64 v[6:9], v3 offset1:1
	v_ashrrev_i32_e32 v1, 31, v0
	v_lshlrev_b64 v[0:1], 4, v[0:1]
	v_mov_b32_e32 v5, s23
	v_add_co_u32_e32 v0, vcc, s22, v0
	v_addc_co_u32_e32 v1, vcc, v5, v1, vcc
	s_waitcnt lgkmcnt(0)
	global_store_dwordx4 v[0:1], v[6:9], off
.LBB71_140:                             ;   in Loop: Header=BB71_141 Depth=1
	s_or_b64 exec, exec, s[8:9]
	v_add_u32_e32 v4, 4, v4
	v_cmp_le_i32_e32 vcc, s44, v4
	s_or_b64 s[6:7], vcc, s[6:7]
	v_add_u32_e32 v3, 64, v3
	s_andn2_b64 exec, exec, s[6:7]
	s_cbranch_execz .LBB71_146
.LBB71_141:                             ; =>This Inner Loop Header: Depth=1
	s_and_saveexec_b64 s[8:9], s[0:1]
	s_cbranch_execz .LBB71_140
; %bb.142:                              ;   in Loop: Header=BB71_141 Depth=1
	s_and_b64 vcc, exec, s[4:5]
	s_cbranch_vccz .LBB71_144
; %bb.143:                              ;   in Loop: Header=BB71_141 Depth=1
	v_add_u32_e32 v0, s33, v4
	v_mad_u64_u32 v[0:1], s[16:17], v0, s44, v[10:11]
	s_cbranch_execnz .LBB71_139
	s_branch .LBB71_145
.LBB71_144:                             ;   in Loop: Header=BB71_141 Depth=1
                                        ; implicit-def: $vgpr0
.LBB71_145:                             ;   in Loop: Header=BB71_141 Depth=1
	v_add_u32_e32 v0, v2, v4
	s_branch .LBB71_139
.LBB71_146:
	s_or_b64 exec, exec, s[2:3]
	v_or_b32_e32 v0, v11, v10
	v_cmp_eq_u32_e64 s[0:1], 0, v0
.LBB71_147:
	s_and_saveexec_b64 s[2:3], s[0:1]
	s_cbranch_execnz .LBB71_155
.LBB71_148:
	s_endpgm
.LBB71_149:
	s_mov_b64 s[0:1], 0
	s_cbranch_execz .LBB71_147
; %bb.150:
	v_or_b32_e32 v0, v11, v10
	v_cmp_eq_u32_e32 vcc, 0, v0
	s_and_saveexec_b64 s[2:3], vcc
	s_cbranch_execz .LBB71_154
; %bb.151:
	v_mbcnt_lo_u32_b32 v0, exec_lo, 0
	v_mbcnt_hi_u32_b32 v0, exec_hi, v0
	v_cmp_eq_u32_e32 vcc, 0, v0
	s_and_saveexec_b64 s[4:5], vcc
	s_cbranch_execz .LBB71_153
; %bb.152:
	s_add_i32 s6, s20, s21
	v_mov_b32_e32 v0, 0
	v_mov_b32_e32 v1, s6
	global_atomic_smin v0, v1, s[14:15]
.LBB71_153:
	s_or_b64 exec, exec, s[4:5]
	s_or_b64 s[0:1], s[0:1], exec
.LBB71_154:
	s_or_b64 exec, exec, s[2:3]
	s_and_saveexec_b64 s[2:3], s[0:1]
	s_cbranch_execz .LBB71_148
.LBB71_155:
	s_add_u32 s0, s10, s12
	s_addc_u32 s1, s11, s13
	v_mov_b32_e32 v0, 0
	v_mov_b32_e32 v1, 1
	s_waitcnt vmcnt(0)
	global_store_dword v0, v1, s[0:1]
	s_endpgm
	.section	.rodata,"a",@progbits
	.p2align	6, 0x0
	.amdhsa_kernel _ZN9rocsparseL18bsric0_9_16_kernelILi64ELi64ELi16E21rocsparse_complex_numIdEEEv20rocsparse_direction_iiPKiS5_PT2_S5_PiS5_S8_21rocsparse_index_base_
		.amdhsa_group_segment_fixed_size 18176
		.amdhsa_private_segment_fixed_size 0
		.amdhsa_kernarg_size 76
		.amdhsa_user_sgpr_count 6
		.amdhsa_user_sgpr_private_segment_buffer 1
		.amdhsa_user_sgpr_dispatch_ptr 0
		.amdhsa_user_sgpr_queue_ptr 0
		.amdhsa_user_sgpr_kernarg_segment_ptr 1
		.amdhsa_user_sgpr_dispatch_id 0
		.amdhsa_user_sgpr_flat_scratch_init 0
		.amdhsa_user_sgpr_kernarg_preload_length 0
		.amdhsa_user_sgpr_kernarg_preload_offset 0
		.amdhsa_user_sgpr_private_segment_size 0
		.amdhsa_uses_dynamic_stack 0
		.amdhsa_system_sgpr_private_segment_wavefront_offset 0
		.amdhsa_system_sgpr_workgroup_id_x 1
		.amdhsa_system_sgpr_workgroup_id_y 0
		.amdhsa_system_sgpr_workgroup_id_z 0
		.amdhsa_system_sgpr_workgroup_info 0
		.amdhsa_system_vgpr_workitem_id 1
		.amdhsa_next_free_vgpr 70
		.amdhsa_next_free_sgpr 54
		.amdhsa_accum_offset 72
		.amdhsa_reserve_vcc 1
		.amdhsa_reserve_flat_scratch 0
		.amdhsa_float_round_mode_32 0
		.amdhsa_float_round_mode_16_64 0
		.amdhsa_float_denorm_mode_32 3
		.amdhsa_float_denorm_mode_16_64 3
		.amdhsa_dx10_clamp 1
		.amdhsa_ieee_mode 1
		.amdhsa_fp16_overflow 0
		.amdhsa_tg_split 0
		.amdhsa_exception_fp_ieee_invalid_op 0
		.amdhsa_exception_fp_denorm_src 0
		.amdhsa_exception_fp_ieee_div_zero 0
		.amdhsa_exception_fp_ieee_overflow 0
		.amdhsa_exception_fp_ieee_underflow 0
		.amdhsa_exception_fp_ieee_inexact 0
		.amdhsa_exception_int_div_zero 0
	.end_amdhsa_kernel
	.section	.text._ZN9rocsparseL18bsric0_9_16_kernelILi64ELi64ELi16E21rocsparse_complex_numIdEEEv20rocsparse_direction_iiPKiS5_PT2_S5_PiS5_S8_21rocsparse_index_base_,"axG",@progbits,_ZN9rocsparseL18bsric0_9_16_kernelILi64ELi64ELi16E21rocsparse_complex_numIdEEEv20rocsparse_direction_iiPKiS5_PT2_S5_PiS5_S8_21rocsparse_index_base_,comdat
.Lfunc_end71:
	.size	_ZN9rocsparseL18bsric0_9_16_kernelILi64ELi64ELi16E21rocsparse_complex_numIdEEEv20rocsparse_direction_iiPKiS5_PT2_S5_PiS5_S8_21rocsparse_index_base_, .Lfunc_end71-_ZN9rocsparseL18bsric0_9_16_kernelILi64ELi64ELi16E21rocsparse_complex_numIdEEEv20rocsparse_direction_iiPKiS5_PT2_S5_PiS5_S8_21rocsparse_index_base_
                                        ; -- End function
	.section	.AMDGPU.csdata,"",@progbits
; Kernel info:
; codeLenInByte = 6292
; NumSgprs: 58
; NumVgprs: 70
; NumAgprs: 0
; TotalNumVgprs: 70
; ScratchSize: 0
; MemoryBound: 1
; FloatMode: 240
; IeeeMode: 1
; LDSByteSize: 18176 bytes/workgroup (compile time only)
; SGPRBlocks: 7
; VGPRBlocks: 8
; NumSGPRsForWavesPerEU: 58
; NumVGPRsForWavesPerEU: 70
; AccumOffset: 72
; Occupancy: 1
; WaveLimiterHint : 1
; COMPUTE_PGM_RSRC2:SCRATCH_EN: 0
; COMPUTE_PGM_RSRC2:USER_SGPR: 6
; COMPUTE_PGM_RSRC2:TRAP_HANDLER: 0
; COMPUTE_PGM_RSRC2:TGID_X_EN: 1
; COMPUTE_PGM_RSRC2:TGID_Y_EN: 0
; COMPUTE_PGM_RSRC2:TGID_Z_EN: 0
; COMPUTE_PGM_RSRC2:TIDIG_COMP_CNT: 1
; COMPUTE_PGM_RSRC3_GFX90A:ACCUM_OFFSET: 17
; COMPUTE_PGM_RSRC3_GFX90A:TG_SPLIT: 0
	.section	.text._ZN9rocsparseL19bsric0_17_32_kernelILi64ELi64ELi32E21rocsparse_complex_numIdEEEv20rocsparse_direction_iiPKiS5_PT2_S5_PiS5_S8_21rocsparse_index_base_,"axG",@progbits,_ZN9rocsparseL19bsric0_17_32_kernelILi64ELi64ELi32E21rocsparse_complex_numIdEEEv20rocsparse_direction_iiPKiS5_PT2_S5_PiS5_S8_21rocsparse_index_base_,comdat
	.globl	_ZN9rocsparseL19bsric0_17_32_kernelILi64ELi64ELi32E21rocsparse_complex_numIdEEEv20rocsparse_direction_iiPKiS5_PT2_S5_PiS5_S8_21rocsparse_index_base_ ; -- Begin function _ZN9rocsparseL19bsric0_17_32_kernelILi64ELi64ELi32E21rocsparse_complex_numIdEEEv20rocsparse_direction_iiPKiS5_PT2_S5_PiS5_S8_21rocsparse_index_base_
	.p2align	8
	.type	_ZN9rocsparseL19bsric0_17_32_kernelILi64ELi64ELi32E21rocsparse_complex_numIdEEEv20rocsparse_direction_iiPKiS5_PT2_S5_PiS5_S8_21rocsparse_index_base_,@function
_ZN9rocsparseL19bsric0_17_32_kernelILi64ELi64ELi32E21rocsparse_complex_numIdEEEv20rocsparse_direction_iiPKiS5_PT2_S5_PiS5_S8_21rocsparse_index_base_: ; @_ZN9rocsparseL19bsric0_17_32_kernelILi64ELi64ELi32E21rocsparse_complex_numIdEEEv20rocsparse_direction_iiPKiS5_PT2_S5_PiS5_S8_21rocsparse_index_base_
; %bb.0:
	s_load_dwordx8 s[8:15], s[4:5], 0x28
	s_mov_b32 s7, 0
	s_lshl_b64 s[0:1], s[6:7], 2
	v_and_b32_e32 v11, 0x3ff, v0
	v_bfe_u32 v10, v0, 10, 10
	s_waitcnt lgkmcnt(0)
	s_add_u32 s0, s12, s0
	s_addc_u32 s1, s13, s1
	s_load_dword s20, s[0:1], 0x0
	s_waitcnt lgkmcnt(0)
	s_ashr_i32 s21, s20, 31
	s_lshl_b64 s[12:13], s[20:21], 2
	s_add_u32 s0, s8, s12
	s_addc_u32 s1, s9, s13
	s_load_dword s33, s[0:1], 0x0
	s_load_dword s21, s[4:5], 0x48
	s_waitcnt lgkmcnt(0)
	s_cmp_lg_u32 s33, -1
	s_cbranch_scc0 .LBB72_137
; %bb.1:
	s_load_dwordx4 s[16:19], s[4:5], 0x10
	v_lshlrev_b32_e32 v1, 1, v10
	v_add_u32_e32 v2, v1, v11
	s_waitcnt lgkmcnt(0)
	s_add_u32 s0, s16, s12
	s_addc_u32 s1, s17, s13
	s_load_dword s28, s[0:1], 0x0
	s_waitcnt lgkmcnt(0)
	s_sub_i32 s47, s28, s21
	v_add_u32_e32 v0, s47, v2
	v_cmp_ge_i32_e32 vcc, s33, v0
	s_and_saveexec_b64 s[2:3], vcc
	s_cbranch_execz .LBB72_16
; %bb.2:
	v_add_u32_e32 v2, s28, v2
	v_subrev_u32_e32 v2, s21, v2
	v_add_u32_e32 v2, 64, v2
	s_add_i32 s0, s33, 1
	v_max_i32_e32 v2, s0, v2
	v_not_b32_e32 v3, v11
	v_add3_u32 v2, v2, s21, v3
	v_add_u32_e32 v1, s28, v1
	v_sub_u32_e32 v1, v2, v1
	s_movk_i32 s0, 0x640
	v_cmp_gt_u32_e32 vcc, s0, v1
	s_movk_i32 s0, 0x63f
	v_cmp_lt_u32_e64 s[0:1], s0, v1
	s_and_saveexec_b64 s[6:7], s[0:1]
	s_cbranch_execz .LBB72_13
; %bb.3:
	v_and_b32_e32 v2, 0xffffffc0, v1
	v_add_u32_e32 v2, v0, v2
	v_cmp_ge_i32_e64 s[0:1], v2, v0
	s_mov_b64 s[24:25], -1
	s_and_saveexec_b64 s[22:23], s[0:1]
	s_cbranch_execz .LBB72_12
; %bb.4:
	v_lshrrev_b32_e32 v14, 6, v1
	v_add_u32_e32 v2, -1, v14
	v_add_u32_e32 v1, 64, v0
	v_lshrrev_b32_e32 v3, 1, v2
	v_add_u32_e32 v15, 1, v3
	v_cmp_lt_u32_e64 s[0:1], 13, v2
	v_pk_mov_b32 v[2:3], v[0:1], v[0:1] op_sel:[0,1]
	s_and_saveexec_b64 s[24:25], s[0:1]
	s_cbranch_execz .LBB72_8
; %bb.5:
	v_and_b32_e32 v16, -8, v15
	s_mov_b64 s[26:27], 0
	v_mov_b32_e32 v17, s19
	v_pk_mov_b32 v[2:3], v[0:1], v[0:1] op_sel:[0,1]
.LBB72_6:                               ; =>This Inner Loop Header: Depth=1
	v_ashrrev_i32_e32 v21, 31, v2
	v_mov_b32_e32 v20, v2
	v_lshlrev_b64 v[20:21], 2, v[20:21]
	v_ashrrev_i32_e32 v19, 31, v3
	v_mov_b32_e32 v18, v3
	v_add_co_u32_e64 v20, s[0:1], s18, v20
	v_add_u32_e32 v4, 0x80, v2
	v_lshlrev_b64 v[18:19], 2, v[18:19]
	v_addc_co_u32_e64 v21, s[0:1], v17, v21, s[0:1]
	v_ashrrev_i32_e32 v5, 31, v4
	v_add_co_u32_e64 v18, s[0:1], s18, v18
	v_add_u32_e32 v6, 0x80, v3
	v_addc_co_u32_e64 v19, s[0:1], v17, v19, s[0:1]
	v_lshlrev_b64 v[42:43], 2, v[4:5]
	v_ashrrev_i32_e32 v7, 31, v6
	global_load_dword v1, v[20:21], off
	global_load_dword v5, v[18:19], off
	v_add_co_u32_e64 v18, s[0:1], s18, v42
	v_add_u32_e32 v8, 0x100, v2
	v_lshlrev_b64 v[44:45], 2, v[6:7]
	v_addc_co_u32_e64 v19, s[0:1], v17, v43, s[0:1]
	v_ashrrev_i32_e32 v9, 31, v8
	v_add_co_u32_e64 v20, s[0:1], s18, v44
	v_add_u32_e32 v12, 0x100, v3
	v_lshlrev_b64 v[46:47], 2, v[8:9]
	v_addc_co_u32_e64 v21, s[0:1], v17, v45, s[0:1]
	v_ashrrev_i32_e32 v13, 31, v12
	;; [unrolled: 5-line block ×12, first 2 shown]
	v_add_co_u32_e64 v62, s[0:1], s18, v66
	v_lshlrev_b64 v[68:69], 2, v[40:41]
	v_addc_co_u32_e64 v63, s[0:1], v17, v67, s[0:1]
	v_add_co_u32_e64 v64, s[0:1], s18, v68
	v_addc_co_u32_e64 v65, s[0:1], v17, v69, s[0:1]
	global_load_dword v7, v[20:21], off
	global_load_dword v9, v[18:19], off
	global_load_dword v13, v[44:45], off
	global_load_dword v23, v[42:43], off
	global_load_dword v25, v[48:49], off
	global_load_dword v27, v[46:47], off
	global_load_dword v29, v[52:53], off
	global_load_dword v31, v[50:51], off
	global_load_dword v33, v[56:57], off
	global_load_dword v35, v[54:55], off
	global_load_dword v37, v[60:61], off
	global_load_dword v39, v[58:59], off
	global_load_dword v41, v[64:65], off
	global_load_dword v66, v[62:63], off
	v_subrev_u32_e32 v19, s47, v2
	v_add_u32_e32 v16, -8, v16
	v_subrev_u32_e32 v18, s47, v3
	v_lshlrev_b32_e32 v19, 2, v19
	v_subrev_u32_e32 v4, s47, v4
	v_cmp_eq_u32_e64 s[0:1], 0, v16
	s_waitcnt vmcnt(14)
	v_subrev_u32_e32 v5, s21, v5
	v_subrev_u32_e32 v1, s21, v1
	v_add_u32_e32 v3, 0x400, v3
	v_add_u32_e32 v2, 0x400, v2
	v_lshlrev_b32_e32 v18, 2, v18
	v_subrev_u32_e32 v6, s47, v6
	v_subrev_u32_e32 v12, s47, v12
	;; [unrolled: 1-line block ×13, first 2 shown]
	v_lshlrev_b32_e32 v4, 2, v4
	s_or_b64 s[26:27], s[0:1], s[26:27]
	ds_write_b32 v19, v1 offset:51200
	ds_write_b32 v18, v5 offset:51200
	v_lshlrev_b32_e32 v6, 2, v6
	v_lshlrev_b32_e32 v8, 2, v8
	;; [unrolled: 1-line block ×13, first 2 shown]
	s_waitcnt vmcnt(13)
	v_subrev_u32_e32 v1, s21, v7
	s_waitcnt vmcnt(12)
	v_subrev_u32_e32 v5, s21, v9
	;; [unrolled: 2-line block ×14, first 2 shown]
	ds_write_b32 v4, v5 offset:51200
	ds_write_b32 v6, v1 offset:51200
	ds_write_b32 v8, v9 offset:51200
	ds_write_b32 v12, v7 offset:51200
	ds_write_b32 v21, v18 offset:51200
	ds_write_b32 v20, v13 offset:51200
	ds_write_b32 v24, v23 offset:51200
	ds_write_b32 v22, v19 offset:51200
	ds_write_b32 v28, v27 offset:51200
	ds_write_b32 v26, v25 offset:51200
	ds_write_b32 v32, v31 offset:51200
	ds_write_b32 v30, v29 offset:51200
	ds_write_b32 v36, v35 offset:51200
	ds_write_b32 v34, v33 offset:51200
	s_andn2_b64 exec, exec, s[26:27]
	s_cbranch_execnz .LBB72_6
; %bb.7:
	s_or_b64 exec, exec, s[26:27]
.LBB72_8:
	s_or_b64 exec, exec, s[24:25]
	v_and_b32_e32 v1, 7, v15
	v_cmp_ne_u32_e64 s[0:1], 0, v1
	s_and_saveexec_b64 s[24:25], s[0:1]
	s_cbranch_execz .LBB72_11
; %bb.9:
	s_mov_b64 s[26:27], 0
	v_mov_b32_e32 v4, s19
.LBB72_10:                              ; =>This Inner Loop Header: Depth=1
	v_ashrrev_i32_e32 v9, 31, v2
	v_mov_b32_e32 v8, v2
	v_lshlrev_b64 v[8:9], 2, v[8:9]
	v_ashrrev_i32_e32 v7, 31, v3
	v_mov_b32_e32 v6, v3
	v_add_co_u32_e64 v8, s[0:1], s18, v8
	v_lshlrev_b64 v[6:7], 2, v[6:7]
	v_addc_co_u32_e64 v9, s[0:1], v4, v9, s[0:1]
	v_add_co_u32_e64 v6, s[0:1], s18, v6
	v_addc_co_u32_e64 v7, s[0:1], v4, v7, s[0:1]
	global_load_dword v5, v[6:7], off
	global_load_dword v12, v[8:9], off
	v_add_u32_e32 v1, -1, v1
	v_subrev_u32_e32 v7, s47, v2
	v_cmp_eq_u32_e64 s[0:1], 0, v1
	v_subrev_u32_e32 v6, s47, v3
	v_add_u32_e32 v3, 0x80, v3
	v_add_u32_e32 v2, 0x80, v2
	v_lshlrev_b32_e32 v7, 2, v7
	s_or_b64 s[26:27], s[0:1], s[26:27]
	v_lshlrev_b32_e32 v6, 2, v6
	s_waitcnt vmcnt(1)
	v_subrev_u32_e32 v5, s21, v5
	s_waitcnt vmcnt(0)
	v_subrev_u32_e32 v8, s21, v12
	ds_write_b32 v7, v8 offset:51200
	ds_write_b32 v6, v5 offset:51200
	s_andn2_b64 exec, exec, s[26:27]
	s_cbranch_execnz .LBB72_10
.LBB72_11:
	s_or_b64 exec, exec, s[24:25]
	v_add_u32_e32 v1, 1, v14
	v_and_b32_e32 v2, 0x7fffffe, v1
	v_cmp_ne_u32_e64 s[0:1], v1, v2
	v_lshl_add_u32 v0, v2, 6, v0
	s_orn2_b64 s[24:25], s[0:1], exec
.LBB72_12:
	s_or_b64 exec, exec, s[22:23]
	s_andn2_b64 s[0:1], vcc, exec
	s_and_b64 s[22:23], s[24:25], exec
	s_or_b64 vcc, s[0:1], s[22:23]
.LBB72_13:
	s_or_b64 exec, exec, s[6:7]
	s_and_b64 exec, exec, vcc
	s_cbranch_execz .LBB72_16
; %bb.14:
	v_add_u32_e32 v1, s21, v0
	v_subrev_u32_e32 v1, s28, v1
	v_mov_b32_e32 v2, 0xc800
	v_lshl_add_u32 v2, v1, 2, v2
	s_mov_b64 s[0:1], 0
	v_mov_b32_e32 v3, s19
.LBB72_15:                              ; =>This Inner Loop Header: Depth=1
	v_ashrrev_i32_e32 v1, 31, v0
	v_lshlrev_b64 v[4:5], 2, v[0:1]
	v_add_co_u32_e32 v4, vcc, s18, v4
	v_addc_co_u32_e32 v5, vcc, v3, v5, vcc
	global_load_dword v1, v[4:5], off
	v_add_u32_e32 v0, 64, v0
	v_cmp_lt_i32_e32 vcc, s33, v0
	s_or_b64 s[0:1], vcc, s[0:1]
	s_waitcnt vmcnt(0)
	v_subrev_u32_e32 v1, s21, v1
	ds_write_b32 v2, v1
	v_add_u32_e32 v2, 0x100, v2
	s_andn2_b64 exec, exec, s[0:1]
	s_cbranch_execnz .LBB72_15
.LBB72_16:
	s_or_b64 exec, exec, s[2:3]
	s_load_dwordx2 s[22:23], s[4:5], 0x20
	v_cmp_gt_u32_e32 vcc, 32, v11
	v_lshlrev_b32_e32 v22, 4, v11
	s_and_saveexec_b64 s[0:1], vcc
	s_cbranch_execz .LBB72_19
; %bb.17:
	v_mul_u32_u24_e32 v0, 0x210, v10
	s_mov_b32 s2, 0x8400
	v_add3_u32 v5, v0, v22, s2
	v_mov_b32_e32 v0, 0
	v_add_u32_e32 v4, -2, v11
	s_mov_b64 s[2:3], 0
	v_mov_b32_e32 v1, v0
	v_mov_b32_e32 v2, v0
	;; [unrolled: 1-line block ×3, first 2 shown]
.LBB72_18:                              ; =>This Inner Loop Header: Depth=1
	v_add_u32_e32 v4, 2, v4
	v_cmp_lt_u32_e32 vcc, 29, v4
	ds_write_b128 v5, v[0:3]
	s_or_b64 s[2:3], vcc, s[2:3]
	v_add_u32_e32 v5, 32, v5
	s_andn2_b64 exec, exec, s[2:3]
	s_cbranch_execnz .LBB72_18
.LBB72_19:
	s_or_b64 exec, exec, s[0:1]
	s_load_dword s46, s[4:5], 0x8
	s_load_dword s48, s[4:5], 0x0
	s_cmp_ge_i32 s47, s33
	s_waitcnt lgkmcnt(0)
	v_cmp_gt_i32_e64 s[0:1], s46, v11
	s_cbranch_scc1 .LBB72_92
; %bb.20:
	s_cmp_eq_u32 s48, 0
	v_or_b32_e32 v0, v11, v10
	s_mul_i32 s6, s46, s47
	s_cselect_b64 s[24:25], -1, 0
	s_cmp_lg_u32 s48, 0
	v_cmp_ne_u32_e64 s[4:5], 0, v0
	s_movk_i32 s50, 0x210
	v_add_u32_e32 v0, s6, v10
	s_cselect_b64 s[26:27], -1, 0
	s_cmp_gt_i32 s46, 0
	v_mad_u32_u24 v24, v10, s50, v22
	v_mul_lo_u32 v26, s46, v0
	v_mov_b32_e32 v0, 0x4200
	s_mul_i32 s49, s46, s46
	v_cmp_gt_i32_e64 s[2:3], s46, v10
	v_mul_lo_u32 v23, v10, s46
	v_mul_lo_u32 v25, v11, s46
	s_cselect_b64 s[28:29], -1, 0
	s_lshl_b32 s51, s46, 1
	v_mad_u32_u24 v27, v10, s50, v0
	v_mad_u32_u24 v28, v11, s50, v0
	v_add_u32_e32 v29, 0x8400, v24
	v_add_u32_e32 v30, 0x4200, v24
	v_mov_b32_e32 v0, 0
	v_mul_u32_u24_e32 v31, 0x210, v10
	v_mov_b32_e32 v32, 0x3ff00000
	s_mov_b32 s30, s47
	s_branch .LBB72_22
.LBB72_21:                              ;   in Loop: Header=BB72_22 Depth=1
	s_or_b64 exec, exec, s[6:7]
	s_add_i32 s30, s30, 1
	s_cmp_ge_i32 s30, s33
	s_waitcnt vmcnt(0)
	buffer_wbinvl1_vol
	v_add_u32_e32 v26, s49, v26
	s_cselect_b64 s[6:7], -1, 0
	s_and_b64 vcc, exec, s[6:7]
	s_cbranch_vccnz .LBB72_92
.LBB72_22:                              ; =>This Loop Header: Depth=1
                                        ;     Child Loop BB72_26 Depth 2
                                        ;     Child Loop BB72_39 Depth 2
	;; [unrolled: 1-line block ×4, first 2 shown]
                                        ;       Child Loop BB72_57 Depth 3
                                        ;     Child Loop BB72_70 Depth 2
                                        ;       Child Loop BB72_77 Depth 3
                                        ;       Child Loop BB72_81 Depth 3
                                        ;     Child Loop BB72_86 Depth 2
	s_ashr_i32 s31, s30, 31
	s_lshl_b64 s[6:7], s[30:31], 2
	s_add_u32 s6, s18, s6
	s_addc_u32 s7, s19, s7
	s_load_dword s52, s[6:7], 0x0
	s_waitcnt lgkmcnt(0)
	s_sub_i32 s34, s52, s21
	s_ashr_i32 s35, s34, 31
	s_lshl_b64 s[6:7], s[34:35], 2
	s_add_u32 s36, s8, s6
	s_addc_u32 s37, s9, s7
	s_load_dword s53, s[36:37], 0x0
	s_waitcnt lgkmcnt(0)
	s_cmp_eq_u32 s53, -1
	s_cbranch_scc1 .LBB72_91
; %bb.23:                               ;   in Loop: Header=BB72_22 Depth=1
	s_add_u32 s36, s16, s6
	s_addc_u32 s37, s17, s7
	s_load_dword s35, s[36:37], 0x0
	s_mul_i32 s31, s30, s46
	s_and_saveexec_b64 s[36:37], s[0:1]
	s_cbranch_execz .LBB72_36
; %bb.24:                               ;   in Loop: Header=BB72_22 Depth=1
	s_mov_b64 s[38:39], 0
	v_mov_b32_e32 v8, v24
	v_mov_b32_e32 v9, v11
	s_branch .LBB72_26
.LBB72_25:                              ;   in Loop: Header=BB72_26 Depth=2
	s_or_b64 exec, exec, s[42:43]
	v_add_u32_e32 v9, 2, v9
	s_waitcnt vmcnt(0)
	ds_write_b128 v8, v[2:5] offset:16896
	v_mov_b32_e32 v1, v0
	v_mov_b32_e32 v2, v0
	;; [unrolled: 1-line block ×3, first 2 shown]
	v_cmp_le_i32_e32 vcc, s46, v9
	ds_write_b128 v8, v[0:3]
	s_or_b64 s[38:39], vcc, s[38:39]
	v_add_u32_e32 v8, 32, v8
	s_andn2_b64 exec, exec, s[38:39]
	s_cbranch_execz .LBB72_36
.LBB72_26:                              ;   Parent Loop BB72_22 Depth=1
                                        ; =>  This Inner Loop Header: Depth=2
	s_and_b64 vcc, exec, s[26:27]
	s_cbranch_vccz .LBB72_30
; %bb.27:                               ;   in Loop: Header=BB72_26 Depth=2
	s_mov_b64 s[42:43], 0
	s_mov_b64 s[40:41], 0
                                        ; implicit-def: $vgpr6
	s_and_saveexec_b64 s[44:45], s[2:3]
	s_xor_b64 s[44:45], exec, s[44:45]
; %bb.28:                               ;   in Loop: Header=BB72_26 Depth=2
	v_add_u32_e32 v1, s31, v9
	s_mov_b64 s[40:41], exec
	v_mad_u64_u32 v[6:7], s[54:55], v1, s46, v[10:11]
; %bb.29:                               ;   in Loop: Header=BB72_26 Depth=2
	s_or_b64 exec, exec, s[44:45]
	s_and_b64 vcc, exec, s[42:43]
	s_cbranch_vccnz .LBB72_31
	s_branch .LBB72_34
.LBB72_30:                              ;   in Loop: Header=BB72_26 Depth=2
	s_mov_b64 s[42:43], -1
	s_mov_b64 s[40:41], 0
                                        ; implicit-def: $vgpr6
	s_cbranch_execz .LBB72_34
.LBB72_31:                              ;   in Loop: Header=BB72_26 Depth=2
                                        ; implicit-def: $vgpr6
	s_and_saveexec_b64 s[42:43], s[2:3]
; %bb.32:                               ;   in Loop: Header=BB72_26 Depth=2
	v_add_u32_e32 v6, v26, v9
	s_or_b64 s[40:41], s[40:41], exec
; %bb.33:                               ;   in Loop: Header=BB72_26 Depth=2
	s_or_b64 exec, exec, s[42:43]
	s_mov_b64 s[42:43], 0
.LBB72_34:                              ;   in Loop: Header=BB72_26 Depth=2
	v_pk_mov_b32 v[2:3], s[42:43], s[42:43] op_sel:[0,1]
	v_pk_mov_b32 v[4:5], s[42:43], s[42:43] op_sel:[0,1]
	s_and_saveexec_b64 s[42:43], s[40:41]
	s_cbranch_execz .LBB72_25
; %bb.35:                               ;   in Loop: Header=BB72_26 Depth=2
	v_ashrrev_i32_e32 v7, 31, v6
	v_lshlrev_b64 v[2:3], 4, v[6:7]
	v_mov_b32_e32 v1, s23
	v_add_co_u32_e32 v2, vcc, s22, v2
	v_addc_co_u32_e32 v3, vcc, v1, v3, vcc
	global_load_dwordx4 v[2:5], v[2:3], off
	s_branch .LBB72_25
.LBB72_36:                              ;   in Loop: Header=BB72_22 Depth=1
	s_or_b64 exec, exec, s[36:37]
; %bb.37:                               ;   in Loop: Header=BB72_22 Depth=1
	ds_read_b32 v1, v0 offset:51200
	s_waitcnt lgkmcnt(0)
	s_sub_i32 s36, s35, s21
	s_cmp_le_i32 s36, s53
	s_cselect_b64 s[38:39], -1, 0
	s_mov_b32 s37, 0
	v_cmp_ge_i32_e32 vcc, s34, v1
	s_and_b64 s[38:39], s[38:39], vcc
	s_andn2_b64 vcc, exec, s[38:39]
	s_cbranch_vccnz .LBB72_49
; %bb.38:                               ;   in Loop: Header=BB72_22 Depth=1
	s_mov_b32 s35, 0
	s_mov_b32 s40, 0
.LBB72_39:                              ;   Parent Loop BB72_22 Depth=1
                                        ; =>  This Inner Loop Header: Depth=2
	s_ashr_i32 s37, s36, 31
	s_lshl_b64 s[38:39], s[36:37], 2
	s_add_u32 s38, s18, s38
	s_addc_u32 s39, s19, s39
	s_load_dword s37, s[38:39], 0x0
	s_lshl_b32 s38, s40, 2
	v_mov_b32_e32 v1, s38
	ds_read_b32 v1, v1 offset:51200
	s_mov_b64 s[38:39], -1
	s_waitcnt lgkmcnt(0)
	s_sub_i32 s44, s37, s21
                                        ; implicit-def: $sgpr37
                                        ; implicit-def: $sgpr43
                                        ; implicit-def: $sgpr42
	v_cmp_ge_i32_e32 vcc, s44, v1
	v_readfirstlane_b32 s41, v1
	s_cbranch_vccz .LBB72_45
; %bb.40:                               ;   in Loop: Header=BB72_39 Depth=2
	s_cmp_le_i32 s44, s41
                                        ; implicit-def: $sgpr37
                                        ; implicit-def: $sgpr43
                                        ; implicit-def: $sgpr42
	s_cbranch_scc0 .LBB72_42
; %bb.41:                               ;   in Loop: Header=BB72_39 Depth=2
	s_add_i32 s37, s40, s47
	s_mul_i32 s37, s37, s49
	s_lshl_b32 s38, s35, 2
	v_mov_b32_e32 v2, s37
	s_mul_i32 s37, s36, s49
	v_mov_b32_e32 v1, s38
	v_mov_b32_e32 v3, s37
	ds_write2st64_b32 v1, v3, v2 offset0:198 offset1:199
	s_add_i32 s42, s40, 1
	s_add_i32 s43, s36, 1
	;; [unrolled: 1-line block ×3, first 2 shown]
	s_mov_b64 s[38:39], 0
.LBB72_42:                              ;   in Loop: Header=BB72_39 Depth=2
	s_andn2_b64 vcc, exec, s[38:39]
	s_cbranch_vccnz .LBB72_44
; %bb.43:                               ;   in Loop: Header=BB72_39 Depth=2
	s_add_i32 s42, s40, 1
	s_mov_b32 s37, s35
	s_mov_b32 s43, s36
.LBB72_44:                              ;   in Loop: Header=BB72_39 Depth=2
	s_mov_b64 s[38:39], 0
.LBB72_45:                              ;   in Loop: Header=BB72_39 Depth=2
	s_andn2_b64 vcc, exec, s[38:39]
	s_cbranch_vccnz .LBB72_47
; %bb.46:                               ;   in Loop: Header=BB72_39 Depth=2
	s_add_i32 s43, s36, 1
	s_mov_b32 s42, s40
	s_mov_b32 s37, s35
.LBB72_47:                              ;   in Loop: Header=BB72_39 Depth=2
	s_cmp_le_i32 s43, s53
	s_cselect_b64 s[38:39], -1, 0
	s_cmp_le_i32 s41, s34
	s_cselect_b64 s[40:41], -1, 0
	s_and_b64 s[38:39], s[38:39], s[40:41]
	s_and_b64 vcc, exec, s[38:39]
	s_cbranch_vccz .LBB72_49
; %bb.48:                               ;   in Loop: Header=BB72_39 Depth=2
	s_mov_b32 s35, s37
	s_mov_b32 s36, s43
	;; [unrolled: 1-line block ×3, first 2 shown]
	s_branch .LBB72_39
.LBB72_49:                              ;   in Loop: Header=BB72_22 Depth=1
	s_add_u32 s6, s10, s6
	s_addc_u32 s7, s11, s7
	s_waitcnt lgkmcnt(0)
.LBB72_50:                              ;   Parent Loop BB72_22 Depth=1
                                        ; =>  This Inner Loop Header: Depth=2
	global_load_dword v1, v0, s[6:7] glc
	s_waitcnt vmcnt(0)
	v_cmp_eq_u32_e32 vcc, 0, v1
	s_cbranch_vccnz .LBB72_50
; %bb.51:                               ;   in Loop: Header=BB72_22 Depth=1
	s_cmp_lt_i32 s37, 2
	buffer_wbinvl1_vol
	s_cbranch_scc1 .LBB72_67
; %bb.52:                               ;   in Loop: Header=BB72_22 Depth=1
	s_add_i32 s40, s37, -2
	s_mov_b32 s41, 0
	s_branch .LBB72_54
.LBB72_53:                              ;   in Loop: Header=BB72_54 Depth=2
	s_or_b64 exec, exec, s[6:7]
	s_add_i32 s6, s41, 1
	s_cmp_eq_u32 s41, s40
	s_mov_b32 s41, s6
	s_cbranch_scc1 .LBB72_67
.LBB72_54:                              ;   Parent Loop BB72_22 Depth=1
                                        ; =>  This Loop Header: Depth=2
                                        ;       Child Loop BB72_57 Depth 3
	s_and_saveexec_b64 s[6:7], s[0:1]
	s_cbranch_execz .LBB72_53
; %bb.55:                               ;   in Loop: Header=BB72_54 Depth=2
	s_lshl_b32 s34, s41, 2
	v_mov_b32_e32 v1, s34
	ds_read2st64_b32 v[2:3], v1 offset0:198 offset1:199
	s_mov_b64 s[34:35], 0
	v_mov_b32_e32 v36, v11
	s_waitcnt lgkmcnt(0)
	v_add_u32_e32 v1, v3, v23
	v_add_u32_e32 v33, v10, v3
	;; [unrolled: 1-line block ×4, first 2 shown]
	s_branch .LBB72_57
.LBB72_56:                              ;   in Loop: Header=BB72_57 Depth=3
	v_lshlrev_b32_e32 v4, 4, v36
	v_mad_u32_u24 v8, v10, s50, v4
	ds_read_b128 v[4:7], v8
	v_add_u32_e32 v36, 2, v36
	v_cmp_le_i32_e32 vcc, s46, v36
	v_add_u32_e32 v34, 2, v34
	s_or_b64 s[34:35], vcc, s[34:35]
	s_waitcnt lgkmcnt(0)
	v_add_f64 v[4:5], v[20:21], v[4:5]
	v_add_f64 v[6:7], v[2:3], v[6:7]
	v_add_u32_e32 v35, s51, v35
	ds_write_b128 v8, v[4:7]
	s_andn2_b64 exec, exec, s[34:35]
	s_cbranch_execz .LBB72_53
.LBB72_57:                              ;   Parent Loop BB72_22 Depth=1
                                        ;     Parent Loop BB72_54 Depth=2
                                        ; =>    This Inner Loop Header: Depth=3
	v_pk_mov_b32 v[16:17], 0, 0
	s_mov_b32 s42, 0
	v_mov_b32_e32 v12, v34
	v_mov_b32_e32 v14, v33
	v_pk_mov_b32 v[18:19], v[16:17], v[16:17] op_sel:[0,1]
	s_and_b64 vcc, exec, s[26:27]
	s_cbranch_vccz .LBB72_61
.LBB72_58:                              ;   in Loop: Header=BB72_57 Depth=3
	v_ashrrev_i32_e32 v13, 31, v12
	v_lshlrev_b64 v[2:3], 4, v[12:13]
	v_mov_b32_e32 v4, s23
	v_add_co_u32_e32 v2, vcc, s22, v2
	v_addc_co_u32_e32 v3, vcc, v4, v3, vcc
	global_load_dwordx4 v[2:5], v[2:3], off
	v_pk_mov_b32 v[6:7], 0, 0
	s_mov_b64 s[36:37], 0
	v_pk_mov_b32 v[8:9], v[6:7], v[6:7] op_sel:[0,1]
	s_and_saveexec_b64 s[38:39], s[2:3]
	s_cbranch_execz .LBB72_60
; %bb.59:                               ;   in Loop: Header=BB72_57 Depth=3
	v_ashrrev_i32_e32 v15, 31, v14
	v_lshlrev_b64 v[6:7], 4, v[14:15]
	v_mov_b32_e32 v8, s23
	v_add_co_u32_e32 v6, vcc, s22, v6
	v_addc_co_u32_e32 v7, vcc, v8, v7, vcc
	global_load_dwordx4 v[6:9], v[6:7], off
.LBB72_60:                              ;   in Loop: Header=BB72_57 Depth=3
	s_or_b64 exec, exec, s[38:39]
	s_waitcnt vmcnt(0)
	v_fma_f64 v[20:21], v[2:3], v[6:7], v[18:19]
	v_fmac_f64_e32 v[20:21], v[4:5], v[8:9]
	v_fma_f64 v[4:5], v[4:5], v[6:7], v[16:17]
	v_fma_f64 v[2:3], v[2:3], -v[8:9], v[4:5]
	s_and_b64 vcc, exec, s[36:37]
	s_cbranch_vccnz .LBB72_62
	s_branch .LBB72_65
.LBB72_61:                              ;   in Loop: Header=BB72_57 Depth=3
                                        ; implicit-def: $vgpr2_vgpr3
                                        ; implicit-def: $vgpr20_vgpr21
	s_cbranch_execz .LBB72_65
.LBB72_62:                              ;   in Loop: Header=BB72_57 Depth=3
	v_add_u32_e32 v2, s42, v35
	v_ashrrev_i32_e32 v3, 31, v2
	v_lshlrev_b64 v[2:3], 4, v[2:3]
	v_mov_b32_e32 v4, s23
	v_add_co_u32_e32 v2, vcc, s22, v2
	v_addc_co_u32_e32 v3, vcc, v4, v3, vcc
	global_load_dwordx4 v[2:5], v[2:3], off
	v_pk_mov_b32 v[6:7], 0, 0
	v_pk_mov_b32 v[8:9], v[6:7], v[6:7] op_sel:[0,1]
	s_and_saveexec_b64 s[36:37], s[2:3]
	s_cbranch_execz .LBB72_64
; %bb.63:                               ;   in Loop: Header=BB72_57 Depth=3
	v_add_u32_e32 v6, s42, v1
	v_ashrrev_i32_e32 v7, 31, v6
	v_lshlrev_b64 v[6:7], 4, v[6:7]
	v_mov_b32_e32 v8, s23
	v_add_co_u32_e32 v6, vcc, s22, v6
	v_addc_co_u32_e32 v7, vcc, v8, v7, vcc
	global_load_dwordx4 v[6:9], v[6:7], off
.LBB72_64:                              ;   in Loop: Header=BB72_57 Depth=3
	s_or_b64 exec, exec, s[36:37]
	s_waitcnt vmcnt(0)
	v_fmac_f64_e32 v[18:19], v[2:3], v[6:7]
	v_fmac_f64_e32 v[18:19], v[4:5], v[8:9]
	;; [unrolled: 1-line block ×3, first 2 shown]
	v_fma_f64 v[2:3], v[2:3], -v[8:9], v[16:17]
	v_pk_mov_b32 v[20:21], v[18:19], v[18:19] op_sel:[0,1]
.LBB72_65:                              ;   in Loop: Header=BB72_57 Depth=3
	s_add_i32 s42, s42, 1
	v_add_u32_e32 v14, s46, v14
	s_cmp_eq_u32 s46, s42
	v_add_u32_e32 v12, s46, v12
	s_cbranch_scc1 .LBB72_56
; %bb.66:                               ;   in Loop: Header=BB72_57 Depth=3
	v_pk_mov_b32 v[16:17], v[2:3], v[2:3] op_sel:[0,1]
	v_pk_mov_b32 v[18:19], v[20:21], v[20:21] op_sel:[0,1]
	s_and_b64 vcc, exec, s[26:27]
	s_cbranch_vccz .LBB72_61
	s_branch .LBB72_58
.LBB72_67:                              ;   in Loop: Header=BB72_22 Depth=1
	s_andn2_b64 vcc, exec, s[28:29]
	s_waitcnt lgkmcnt(0)
	s_cbranch_vccnz .LBB72_82
; %bb.68:                               ;   in Loop: Header=BB72_22 Depth=1
	s_mul_i32 s36, s49, s53
	s_mov_b32 s37, 0
	v_mov_b32_e32 v1, v28
	s_mov_b32 s38, s36
	s_branch .LBB72_70
.LBB72_69:                              ;   in Loop: Header=BB72_70 Depth=2
	s_or_b64 exec, exec, s[6:7]
	s_add_i32 s37, s37, 1
	s_add_i32 s38, s38, 1
	s_cmp_eq_u32 s37, s46
	v_add_u32_e32 v1, 16, v1
	s_waitcnt lgkmcnt(0)
	s_cbranch_scc1 .LBB72_82
.LBB72_70:                              ;   Parent Loop BB72_22 Depth=1
                                        ; =>  This Loop Header: Depth=2
                                        ;       Child Loop BB72_77 Depth 3
                                        ;       Child Loop BB72_81 Depth 3
	s_mul_i32 s39, s37, s46
	s_add_i32 s39, s39, s36
	s_add_i32 s6, s39, s37
	s_ashr_i32 s7, s6, 31
	s_lshl_b64 s[6:7], s[6:7], 4
	s_add_u32 s6, s22, s6
	s_addc_u32 s7, s23, s7
	global_load_dwordx4 v[6:9], v0, s[6:7]
	v_lshl_add_u32 v16, s37, 4, v31
	ds_read_b128 v[2:5], v16 offset:16896
	s_waitcnt vmcnt(0)
	v_cmp_neq_f64_e32 vcc, 0, v[6:7]
	v_cmp_neq_f64_e64 s[6:7], 0, v[8:9]
	s_or_b64 vcc, vcc, s[6:7]
	s_or_b64 s[6:7], vcc, s[4:5]
	v_cndmask_b32_e32 v13, v32, v7, vcc
	v_cndmask_b32_e32 v12, 0, v6, vcc
	;; [unrolled: 1-line block ×3, first 2 shown]
	s_xor_b64 s[34:35], s[6:7], -1
	v_cndmask_b32_e32 v14, 0, v8, vcc
	s_and_saveexec_b64 s[6:7], s[34:35]
	s_cbranch_execz .LBB72_74
; %bb.71:                               ;   in Loop: Header=BB72_70 Depth=2
	v_mbcnt_lo_u32_b32 v6, exec_lo, 0
	v_mbcnt_hi_u32_b32 v6, exec_hi, v6
	v_cmp_eq_u32_e32 vcc, 0, v6
	s_and_saveexec_b64 s[34:35], vcc
	s_cbranch_execz .LBB72_73
; %bb.72:                               ;   in Loop: Header=BB72_70 Depth=2
	v_mov_b32_e32 v6, s52
	global_atomic_smin v0, v6, s[14:15]
.LBB72_73:                              ;   in Loop: Header=BB72_70 Depth=2
	s_or_b64 exec, exec, s[34:35]
	v_mov_b32_e32 v12, 0
	v_mov_b32_e32 v13, 0x3ff00000
	v_pk_mov_b32 v[14:15], 0, 0
.LBB72_74:                              ;   in Loop: Header=BB72_70 Depth=2
	s_or_b64 exec, exec, s[6:7]
	ds_read_b128 v[6:9], v16
	s_cmp_eq_u32 s37, 0
	s_cbranch_scc1 .LBB72_79
; %bb.75:                               ;   in Loop: Header=BB72_70 Depth=2
	s_mov_b32 s34, 0
	s_mov_b32 s35, s38
	v_mov_b32_e32 v17, v27
	s_branch .LBB72_77
.LBB72_76:                              ;   in Loop: Header=BB72_77 Depth=3
	s_ashr_i32 s7, s6, 31
	s_lshl_b64 s[6:7], s[6:7], 4
	s_add_u32 s6, s22, s6
	s_addc_u32 s7, s23, s7
	global_load_dwordx4 v[18:21], v0, s[6:7]
	ds_read_b128 v[34:37], v17
	s_add_i32 s34, s34, 1
	s_add_i32 s35, s35, s46
	s_cmp_ge_u32 s34, s37
	v_add_u32_e32 v17, 16, v17
	s_waitcnt vmcnt(0) lgkmcnt(0)
	v_fmac_f64_e32 v[6:7], v[18:19], v[34:35]
	v_fmac_f64_e32 v[8:9], v[20:21], v[34:35]
	;; [unrolled: 1-line block ×3, first 2 shown]
	v_fma_f64 v[8:9], v[18:19], -v[36:37], v[8:9]
	s_cbranch_scc1 .LBB72_79
.LBB72_77:                              ;   Parent Loop BB72_22 Depth=1
                                        ;     Parent Loop BB72_70 Depth=2
                                        ; =>    This Inner Loop Header: Depth=3
	s_andn2_b64 vcc, exec, s[24:25]
	s_mov_b32 s6, s35
	s_cbranch_vccnz .LBB72_76
; %bb.78:                               ;   in Loop: Header=BB72_77 Depth=3
	s_add_i32 s6, s34, s39
	s_branch .LBB72_76
.LBB72_79:                              ;   in Loop: Header=BB72_70 Depth=2
	v_mul_f64 v[18:19], v[14:15], v[14:15]
	v_fmac_f64_e32 v[18:19], v[12:13], v[12:13]
	v_div_scale_f64 v[20:21], s[6:7], v[18:19], v[18:19], 1.0
	v_rcp_f64_e32 v[34:35], v[20:21]
	s_waitcnt lgkmcnt(0)
	v_add_f64 v[6:7], v[2:3], -v[6:7]
	v_add_f64 v[4:5], v[4:5], -v[8:9]
	v_add_u32_e32 v16, 0x4200, v16
	v_fma_f64 v[2:3], -v[20:21], v[34:35], 1.0
	v_fmac_f64_e32 v[34:35], v[34:35], v[2:3]
	v_fma_f64 v[2:3], -v[20:21], v[34:35], 1.0
	v_fmac_f64_e32 v[34:35], v[34:35], v[2:3]
	v_div_scale_f64 v[2:3], vcc, 1.0, v[18:19], 1.0
	v_mul_f64 v[8:9], v[2:3], v[34:35]
	v_fma_f64 v[2:3], -v[20:21], v[8:9], v[2:3]
	s_nop 1
	v_div_fmas_f64 v[2:3], v[2:3], v[34:35], v[8:9]
	v_div_fixup_f64 v[8:9], v[2:3], v[18:19], 1.0
	v_mul_f64 v[2:3], v[14:15], v[4:5]
	v_fmac_f64_e32 v[2:3], v[6:7], v[12:13]
	v_mul_f64 v[6:7], v[14:15], -v[6:7]
	v_fmac_f64_e32 v[6:7], v[4:5], v[12:13]
	v_mul_f64 v[2:3], v[8:9], v[2:3]
	v_mul_f64 v[4:5], v[8:9], v[6:7]
	ds_write_b128 v16, v[2:5]
	s_waitcnt lgkmcnt(0)
	s_and_saveexec_b64 s[6:7], s[0:1]
	s_cbranch_execz .LBB72_69
; %bb.80:                               ;   in Loop: Header=BB72_70 Depth=2
	s_mov_b64 s[34:35], 0
	v_mov_b32_e32 v6, v29
	v_mov_b32_e32 v7, v1
	;; [unrolled: 1-line block ×3, first 2 shown]
.LBB72_81:                              ;   Parent Loop BB72_22 Depth=1
                                        ;     Parent Loop BB72_70 Depth=2
                                        ; =>    This Inner Loop Header: Depth=3
	ds_read_b128 v[12:15], v7
	ds_read_b128 v[16:19], v6
	v_add_u32_e32 v8, 2, v8
	v_cmp_le_i32_e32 vcc, s46, v8
	v_add_u32_e32 v7, 0x420, v7
	s_or_b64 s[34:35], vcc, s[34:35]
	s_waitcnt lgkmcnt(0)
	v_fmac_f64_e32 v[16:17], v[2:3], v[12:13]
	v_fmac_f64_e32 v[18:19], v[4:5], v[12:13]
	;; [unrolled: 1-line block ×3, first 2 shown]
	v_fma_f64 v[18:19], v[2:3], -v[14:15], v[18:19]
	ds_write_b128 v6, v[16:19]
	v_add_u32_e32 v6, 32, v6
	s_andn2_b64 exec, exec, s[34:35]
	s_cbranch_execnz .LBB72_81
	s_branch .LBB72_69
.LBB72_82:                              ;   in Loop: Header=BB72_22 Depth=1
	s_and_saveexec_b64 s[6:7], s[0:1]
	s_cbranch_execz .LBB72_21
; %bb.83:                               ;   in Loop: Header=BB72_22 Depth=1
	s_mov_b64 s[34:35], 0
	v_mov_b32_e32 v1, v30
	v_mov_b32_e32 v4, v11
	s_branch .LBB72_86
.LBB72_84:                              ;   in Loop: Header=BB72_86 Depth=2
	ds_read2_b64 v[6:9], v1 offset1:1
	v_ashrrev_i32_e32 v3, 31, v2
	v_lshlrev_b64 v[2:3], 4, v[2:3]
	v_mov_b32_e32 v5, s23
	v_add_co_u32_e32 v2, vcc, s22, v2
	v_addc_co_u32_e32 v3, vcc, v5, v3, vcc
	s_waitcnt lgkmcnt(0)
	global_store_dwordx4 v[2:3], v[6:9], off
.LBB72_85:                              ;   in Loop: Header=BB72_86 Depth=2
	s_or_b64 exec, exec, s[36:37]
	v_add_u32_e32 v4, 2, v4
	v_cmp_le_i32_e32 vcc, s46, v4
	s_or_b64 s[34:35], vcc, s[34:35]
	v_add_u32_e32 v1, 32, v1
	s_andn2_b64 exec, exec, s[34:35]
	s_cbranch_execz .LBB72_21
.LBB72_86:                              ;   Parent Loop BB72_22 Depth=1
                                        ; =>  This Inner Loop Header: Depth=2
	s_and_saveexec_b64 s[36:37], s[2:3]
	s_cbranch_execz .LBB72_85
; %bb.87:                               ;   in Loop: Header=BB72_86 Depth=2
	s_and_b64 vcc, exec, s[26:27]
	s_cbranch_vccz .LBB72_89
; %bb.88:                               ;   in Loop: Header=BB72_86 Depth=2
	v_add_u32_e32 v2, s31, v4
	v_mad_u64_u32 v[2:3], s[38:39], v2, s46, v[10:11]
	s_cbranch_execnz .LBB72_84
	s_branch .LBB72_90
.LBB72_89:                              ;   in Loop: Header=BB72_86 Depth=2
                                        ; implicit-def: $vgpr2
.LBB72_90:                              ;   in Loop: Header=BB72_86 Depth=2
	v_add_u32_e32 v2, v26, v4
	s_branch .LBB72_84
.LBB72_91:                              ;   in Loop: Header=BB72_22 Depth=1
                                        ; implicit-def: $sgpr30
                                        ; implicit-def: $vgpr26
	s_cbranch_execz .LBB72_22
.LBB72_92:
	v_cmp_gt_i32_e64 s[0:1], s46, v11
	s_and_saveexec_b64 s[4:5], s[0:1]
	s_cbranch_execz .LBB72_105
; %bb.93:
	s_mul_i32 s26, s33, s46
	v_add_u32_e32 v0, s26, v10
	s_cmp_lg_u32 s48, 0
	v_mul_lo_u32 v6, v0, s46
	v_mul_u32_u24_e32 v0, 0x210, v10
	s_movk_i32 s8, 0x4200
	s_cselect_b64 s[6:7], -1, 0
	v_cmp_gt_i32_e64 s[2:3], s46, v10
	v_add3_u32 v7, v0, v22, s8
	s_mov_b64 s[8:9], 0
	v_mov_b32_e32 v8, v11
	s_branch .LBB72_95
.LBB72_94:                              ;   in Loop: Header=BB72_95 Depth=1
	s_or_b64 exec, exec, s[18:19]
	v_add_u32_e32 v8, 2, v8
	v_cmp_le_i32_e32 vcc, s46, v8
	s_waitcnt vmcnt(0)
	ds_write_b128 v7, v[0:3]
	s_or_b64 s[8:9], vcc, s[8:9]
	v_add_u32_e32 v7, 32, v7
	s_andn2_b64 exec, exec, s[8:9]
	s_cbranch_execz .LBB72_105
.LBB72_95:                              ; =>This Inner Loop Header: Depth=1
	s_and_b64 vcc, exec, s[6:7]
	s_cbranch_vccz .LBB72_100
; %bb.96:                               ;   in Loop: Header=BB72_95 Depth=1
	s_mov_b64 s[18:19], 0
	s_mov_b64 s[16:17], 0
                                        ; implicit-def: $vgpr4
	s_and_saveexec_b64 s[24:25], s[2:3]
	s_xor_b64 s[24:25], exec, s[24:25]
; %bb.97:                               ;   in Loop: Header=BB72_95 Depth=1
	v_add_u32_e32 v0, s26, v8
	s_mov_b64 s[16:17], exec
	v_mad_u64_u32 v[4:5], s[28:29], v0, s46, v[10:11]
; %bb.98:                               ;   in Loop: Header=BB72_95 Depth=1
	s_or_b64 exec, exec, s[24:25]
	s_and_b64 vcc, exec, s[18:19]
	s_cbranch_vccnz .LBB72_101
.LBB72_99:                              ;   in Loop: Header=BB72_95 Depth=1
	v_pk_mov_b32 v[0:1], s[18:19], s[18:19] op_sel:[0,1]
	v_pk_mov_b32 v[2:3], s[18:19], s[18:19] op_sel:[0,1]
	s_and_saveexec_b64 s[18:19], s[16:17]
	s_cbranch_execz .LBB72_94
	s_branch .LBB72_104
.LBB72_100:                             ;   in Loop: Header=BB72_95 Depth=1
	s_mov_b64 s[18:19], -1
	s_mov_b64 s[16:17], 0
                                        ; implicit-def: $vgpr4
	s_cbranch_execz .LBB72_99
.LBB72_101:                             ;   in Loop: Header=BB72_95 Depth=1
                                        ; implicit-def: $vgpr4
	s_and_saveexec_b64 s[18:19], s[2:3]
; %bb.102:                              ;   in Loop: Header=BB72_95 Depth=1
	v_add_u32_e32 v4, v6, v8
	s_or_b64 s[16:17], s[16:17], exec
; %bb.103:                              ;   in Loop: Header=BB72_95 Depth=1
	s_or_b64 exec, exec, s[18:19]
	s_mov_b64 s[18:19], 0
	v_pk_mov_b32 v[0:1], s[18:19], s[18:19] op_sel:[0,1]
	v_pk_mov_b32 v[2:3], s[18:19], s[18:19] op_sel:[0,1]
	s_and_saveexec_b64 s[18:19], s[16:17]
	s_cbranch_execz .LBB72_94
.LBB72_104:                             ;   in Loop: Header=BB72_95 Depth=1
	v_ashrrev_i32_e32 v5, 31, v4
	v_lshlrev_b64 v[0:1], 4, v[4:5]
	v_mov_b32_e32 v2, s23
	v_add_co_u32_e32 v0, vcc, s22, v0
	v_addc_co_u32_e32 v1, vcc, v2, v1, vcc
	global_load_dwordx4 v[0:3], v[0:1], off
	s_branch .LBB72_94
.LBB72_105:
	s_or_b64 exec, exec, s[4:5]
; %bb.106:
	s_cmp_lt_i32 s46, 1
	s_waitcnt lgkmcnt(0)
	s_cbranch_scc1 .LBB72_125
; %bb.107:
	v_or_b32_e32 v0, v11, v10
	v_cmp_ne_u32_e64 s[2:3], 0, v0
	v_lshlrev_b32_e32 v0, 4, v10
	s_movk_i32 s24, 0x210
	v_mad_u32_u24 v0, v10, s24, v0
	v_add_u32_e32 v12, 0x4200, v0
	v_mul_u32_u24_e32 v13, 0x210, v10
	s_mov_b32 s4, 0x8400
	v_add_u32_e32 v14, 0x8400, v0
	v_mov_b32_e32 v0, 0x4200
	s_mov_b32 s6, 0
	s_mov_b32 s18, 0
	s_add_i32 s19, s20, s21
	v_mad_u32_u24 v15, v11, s24, v0
	v_add3_u32 v16, v13, v22, s4
	s_brev_b32 s7, 8
	v_mov_b32_e32 v17, 0x260
	v_mov_b32_e32 v18, 0x3ff00000
	;; [unrolled: 1-line block ×4, first 2 shown]
	s_branch .LBB72_109
.LBB72_108:                             ;   in Loop: Header=BB72_109 Depth=1
	s_or_b64 exec, exec, s[4:5]
	s_add_i32 s18, s18, 1
	s_cmp_eq_u32 s18, s46
	v_add_u32_e32 v15, 16, v15
	s_waitcnt lgkmcnt(0)
	s_cbranch_scc1 .LBB72_125
.LBB72_109:                             ; =>This Loop Header: Depth=1
                                        ;     Child Loop BB72_124 Depth 2
	v_cmp_eq_u32_e32 vcc, s18, v10
	s_and_saveexec_b64 s[4:5], vcc
	s_cbranch_execz .LBB72_117
; %bb.110:                              ;   in Loop: Header=BB72_109 Depth=1
	ds_read_b128 v[4:7], v14
	ds_read_b128 v[24:27], v12
	s_waitcnt lgkmcnt(0)
	v_add_f64 v[0:1], v[24:25], -v[4:5]
	v_add_f64 v[8:9], v[26:27], -v[6:7]
	v_xor_b32_e32 v3, 0x80000000, v1
	v_cmp_gt_f64_e32 vcc, 0, v[0:1]
	v_cndmask_b32_e32 v1, v1, v3, vcc
	v_cndmask_b32_e32 v0, v0, v0, vcc
	v_xor_b32_e32 v3, 0x80000000, v9
	v_cmp_gt_f64_e32 vcc, 0, v[8:9]
	v_cndmask_b32_e32 v5, v9, v3, vcc
	v_cndmask_b32_e32 v4, v8, v8, vcc
	v_cmp_ngt_f64_e32 vcc, v[0:1], v[4:5]
                                        ; implicit-def: $vgpr6_vgpr7
	s_and_saveexec_b64 s[8:9], vcc
	s_xor_b64 s[8:9], exec, s[8:9]
	s_cbranch_execz .LBB72_114
; %bb.111:                              ;   in Loop: Header=BB72_109 Depth=1
	v_cmp_neq_f64_e32 vcc, 0, v[8:9]
	v_pk_mov_b32 v[6:7], 0, 0
	s_and_saveexec_b64 s[16:17], vcc
	s_cbranch_execz .LBB72_113
; %bb.112:                              ;   in Loop: Header=BB72_109 Depth=1
	v_div_scale_f64 v[6:7], s[26:27], v[4:5], v[4:5], v[0:1]
	v_rcp_f64_e32 v[8:9], v[6:7]
	v_div_scale_f64 v[20:21], vcc, v[0:1], v[4:5], v[0:1]
	v_fma_f64 v[24:25], -v[6:7], v[8:9], 1.0
	v_fmac_f64_e32 v[8:9], v[8:9], v[24:25]
	v_fma_f64 v[24:25], -v[6:7], v[8:9], 1.0
	v_fmac_f64_e32 v[8:9], v[8:9], v[24:25]
	v_mul_f64 v[24:25], v[20:21], v[8:9]
	v_fma_f64 v[6:7], -v[6:7], v[24:25], v[20:21]
	v_div_fmas_f64 v[6:7], v[6:7], v[8:9], v[24:25]
	v_div_fixup_f64 v[0:1], v[6:7], v[4:5], v[0:1]
	v_fma_f64 v[0:1], v[0:1], v[0:1], 1.0
	v_cmp_gt_f64_e32 vcc, s[6:7], v[0:1]
	v_cndmask_b32_e64 v3, 0, 1, vcc
	v_lshlrev_b32_e32 v3, 8, v3
	v_ldexp_f64 v[0:1], v[0:1], v3
	v_rsq_f64_e32 v[6:7], v[0:1]
	v_cndmask_b32_e32 v3, 0, v19, vcc
	v_cmp_class_f64_e32 vcc, v[0:1], v17
	v_mul_f64 v[8:9], v[0:1], v[6:7]
	v_mul_f64 v[6:7], v[6:7], 0.5
	v_fma_f64 v[20:21], -v[6:7], v[8:9], 0.5
	v_fmac_f64_e32 v[8:9], v[8:9], v[20:21]
	v_fma_f64 v[24:25], -v[8:9], v[8:9], v[0:1]
	v_fmac_f64_e32 v[6:7], v[6:7], v[20:21]
	v_fmac_f64_e32 v[8:9], v[24:25], v[6:7]
	v_fma_f64 v[20:21], -v[8:9], v[8:9], v[0:1]
	v_fmac_f64_e32 v[8:9], v[20:21], v[6:7]
	v_ldexp_f64 v[6:7], v[8:9], v3
	v_cndmask_b32_e32 v1, v7, v1, vcc
	v_cndmask_b32_e32 v0, v6, v0, vcc
	v_mul_f64 v[6:7], v[4:5], v[0:1]
.LBB72_113:                             ;   in Loop: Header=BB72_109 Depth=1
	s_or_b64 exec, exec, s[16:17]
                                        ; implicit-def: $vgpr0_vgpr1
                                        ; implicit-def: $vgpr4_vgpr5
.LBB72_114:                             ;   in Loop: Header=BB72_109 Depth=1
	s_andn2_saveexec_b64 s[8:9], s[8:9]
	s_cbranch_execz .LBB72_116
; %bb.115:                              ;   in Loop: Header=BB72_109 Depth=1
	v_div_scale_f64 v[6:7], s[16:17], v[0:1], v[0:1], v[4:5]
	v_rcp_f64_e32 v[8:9], v[6:7]
	v_div_scale_f64 v[20:21], vcc, v[4:5], v[0:1], v[4:5]
	v_fma_f64 v[24:25], -v[6:7], v[8:9], 1.0
	v_fmac_f64_e32 v[8:9], v[8:9], v[24:25]
	v_fma_f64 v[24:25], -v[6:7], v[8:9], 1.0
	v_fmac_f64_e32 v[8:9], v[8:9], v[24:25]
	v_mul_f64 v[24:25], v[20:21], v[8:9]
	v_fma_f64 v[6:7], -v[6:7], v[24:25], v[20:21]
	v_div_fmas_f64 v[6:7], v[6:7], v[8:9], v[24:25]
	v_div_fixup_f64 v[4:5], v[6:7], v[0:1], v[4:5]
	v_fma_f64 v[4:5], v[4:5], v[4:5], 1.0
	v_cmp_gt_f64_e32 vcc, s[6:7], v[4:5]
	v_cndmask_b32_e64 v3, 0, 1, vcc
	v_lshlrev_b32_e32 v3, 8, v3
	v_ldexp_f64 v[4:5], v[4:5], v3
	v_rsq_f64_e32 v[6:7], v[4:5]
	v_cndmask_b32_e32 v3, 0, v19, vcc
	v_cmp_class_f64_e32 vcc, v[4:5], v17
	v_mul_f64 v[8:9], v[4:5], v[6:7]
	v_mul_f64 v[6:7], v[6:7], 0.5
	v_fma_f64 v[20:21], -v[6:7], v[8:9], 0.5
	v_fmac_f64_e32 v[8:9], v[8:9], v[20:21]
	v_fma_f64 v[24:25], -v[8:9], v[8:9], v[4:5]
	v_fmac_f64_e32 v[6:7], v[6:7], v[20:21]
	v_fmac_f64_e32 v[8:9], v[24:25], v[6:7]
	v_fma_f64 v[20:21], -v[8:9], v[8:9], v[4:5]
	v_fmac_f64_e32 v[8:9], v[20:21], v[6:7]
	v_ldexp_f64 v[6:7], v[8:9], v3
	v_cndmask_b32_e32 v5, v7, v5, vcc
	v_cndmask_b32_e32 v4, v6, v4, vcc
	v_mul_f64 v[6:7], v[0:1], v[4:5]
.LBB72_116:                             ;   in Loop: Header=BB72_109 Depth=1
	s_or_b64 exec, exec, s[8:9]
	v_cmp_gt_f64_e32 vcc, s[6:7], v[6:7]
	v_cndmask_b32_e64 v0, 0, 1, vcc
	v_lshlrev_b32_e32 v0, 8, v0
	v_ldexp_f64 v[0:1], v[6:7], v0
	v_rsq_f64_e32 v[4:5], v[0:1]
	v_cndmask_b32_e32 v3, 0, v19, vcc
	v_cmp_class_f64_e32 vcc, v[0:1], v17
	v_mul_f64 v[6:7], v[0:1], v[4:5]
	v_mul_f64 v[4:5], v[4:5], 0.5
	v_fma_f64 v[8:9], -v[4:5], v[6:7], 0.5
	v_fmac_f64_e32 v[6:7], v[6:7], v[8:9]
	v_fmac_f64_e32 v[4:5], v[4:5], v[8:9]
	v_fma_f64 v[8:9], -v[6:7], v[6:7], v[0:1]
	v_fmac_f64_e32 v[6:7], v[8:9], v[4:5]
	v_fma_f64 v[8:9], -v[6:7], v[6:7], v[0:1]
	v_fmac_f64_e32 v[6:7], v[8:9], v[4:5]
	v_ldexp_f64 v[4:5], v[6:7], v3
	v_cndmask_b32_e32 v1, v5, v1, vcc
	v_cndmask_b32_e32 v0, v4, v0, vcc
	v_mov_b32_e32 v3, v2
	ds_write_b128 v12, v[0:3]
.LBB72_117:                             ;   in Loop: Header=BB72_109 Depth=1
	s_or_b64 exec, exec, s[4:5]
	s_lshl_b32 s4, s18, 4
	s_mul_i32 s5, s18, 0x210
	s_add_i32 s5, s5, s4
	v_mov_b32_e32 v0, s5
	s_waitcnt lgkmcnt(0)
	ds_read_b128 v[24:27], v0 offset:16896
	v_mov_b32_e32 v0, s4
	v_mad_u32_u24 v3, v10, s24, v0
	ds_read_b128 v[4:7], v3 offset:16896
	s_waitcnt lgkmcnt(1)
	v_cmp_neq_f64_e32 vcc, 0, v[24:25]
	v_cmp_neq_f64_e64 s[4:5], 0, v[26:27]
	s_or_b64 vcc, vcc, s[4:5]
	s_or_b64 s[4:5], vcc, s[2:3]
	v_cndmask_b32_e32 v1, 0, v27, vcc
	s_xor_b64 s[8:9], s[4:5], -1
	v_cndmask_b32_e32 v0, 0, v26, vcc
	v_cndmask_b32_e32 v9, v18, v25, vcc
	v_cndmask_b32_e32 v8, 0, v24, vcc
	s_and_saveexec_b64 s[4:5], s[8:9]
	s_cbranch_execz .LBB72_121
; %bb.118:                              ;   in Loop: Header=BB72_109 Depth=1
	v_mbcnt_lo_u32_b32 v0, exec_lo, 0
	v_mbcnt_hi_u32_b32 v0, exec_hi, v0
	v_cmp_eq_u32_e32 vcc, 0, v0
	s_and_saveexec_b64 s[8:9], vcc
	s_cbranch_execz .LBB72_120
; %bb.119:                              ;   in Loop: Header=BB72_109 Depth=1
	v_mov_b32_e32 v0, s19
	global_atomic_smin v2, v0, s[14:15]
.LBB72_120:                             ;   in Loop: Header=BB72_109 Depth=1
	s_or_b64 exec, exec, s[8:9]
	v_mov_b32_e32 v8, 0
	v_pk_mov_b32 v[0:1], 0, 0
	v_mov_b32_e32 v9, 0x3ff00000
.LBB72_121:                             ;   in Loop: Header=BB72_109 Depth=1
	s_or_b64 exec, exec, s[4:5]
	v_cmp_lt_u32_e32 vcc, s18, v10
	s_and_saveexec_b64 s[4:5], vcc
	s_cbranch_execz .LBB72_108
; %bb.122:                              ;   in Loop: Header=BB72_109 Depth=1
	v_lshl_add_u32 v20, s18, 4, v13
	ds_read_b128 v[24:27], v20 offset:33792
	v_mul_f64 v[20:21], v[0:1], v[0:1]
	v_fmac_f64_e32 v[20:21], v[8:9], v[8:9]
	v_div_scale_f64 v[28:29], s[8:9], v[20:21], v[20:21], 1.0
	v_rcp_f64_e32 v[30:31], v[28:29]
	s_waitcnt lgkmcnt(0)
	v_add_f64 v[24:25], v[4:5], -v[24:25]
	v_add_f64 v[6:7], v[6:7], -v[26:27]
	v_add_u32_e32 v3, 0x4200, v3
	v_fma_f64 v[4:5], -v[28:29], v[30:31], 1.0
	v_fmac_f64_e32 v[30:31], v[30:31], v[4:5]
	v_fma_f64 v[4:5], -v[28:29], v[30:31], 1.0
	v_fmac_f64_e32 v[30:31], v[30:31], v[4:5]
	v_div_scale_f64 v[4:5], vcc, 1.0, v[20:21], 1.0
	v_mul_f64 v[26:27], v[4:5], v[30:31]
	v_fma_f64 v[4:5], -v[28:29], v[26:27], v[4:5]
	s_nop 1
	v_div_fmas_f64 v[4:5], v[4:5], v[30:31], v[26:27]
	v_div_fixup_f64 v[20:21], v[4:5], v[20:21], 1.0
	v_mul_f64 v[4:5], v[0:1], v[6:7]
	v_mul_f64 v[0:1], v[0:1], -v[24:25]
	v_fmac_f64_e32 v[4:5], v[24:25], v[8:9]
	v_fmac_f64_e32 v[0:1], v[6:7], v[8:9]
	v_mul_f64 v[4:5], v[20:21], v[4:5]
	v_mul_f64 v[6:7], v[20:21], v[0:1]
	ds_write_b128 v3, v[4:7]
	s_waitcnt lgkmcnt(0)
	s_and_b64 exec, exec, s[0:1]
	s_cbranch_execz .LBB72_108
; %bb.123:                              ;   in Loop: Header=BB72_109 Depth=1
	s_mov_b64 s[8:9], 0
	v_mov_b32_e32 v0, v16
	v_mov_b32_e32 v1, v15
	;; [unrolled: 1-line block ×3, first 2 shown]
.LBB72_124:                             ;   Parent Loop BB72_109 Depth=1
                                        ; =>  This Inner Loop Header: Depth=2
	ds_read_b128 v[24:27], v1
	ds_read_b128 v[28:31], v0
	v_add_u32_e32 v3, 2, v3
	v_cmp_le_i32_e32 vcc, s46, v3
	v_add_u32_e32 v1, 0x420, v1
	s_or_b64 s[8:9], vcc, s[8:9]
	s_waitcnt lgkmcnt(0)
	v_fmac_f64_e32 v[28:29], v[4:5], v[24:25]
	v_fmac_f64_e32 v[30:31], v[6:7], v[24:25]
	;; [unrolled: 1-line block ×3, first 2 shown]
	v_fma_f64 v[30:31], v[4:5], -v[26:27], v[30:31]
	ds_write_b128 v0, v[28:31]
	v_add_u32_e32 v0, 32, v0
	s_andn2_b64 exec, exec, s[8:9]
	s_cbranch_execnz .LBB72_124
	s_branch .LBB72_108
.LBB72_125:
	s_and_saveexec_b64 s[2:3], s[0:1]
	s_cbranch_execz .LBB72_134
; %bb.126:
	s_mul_i32 s33, s33, s46
	v_add_u32_e32 v0, s33, v10
	s_cmp_lg_u32 s48, 0
	v_mul_lo_u32 v2, v0, s46
	v_mul_u32_u24_e32 v0, 0x210, v10
	s_movk_i32 s6, 0x4200
	v_cmp_gt_i32_e64 s[0:1], s46, v10
	s_cselect_b64 s[4:5], -1, 0
	v_add3_u32 v3, v0, v22, s6
	s_mov_b64 s[6:7], 0
	v_mov_b32_e32 v4, v11
	s_branch .LBB72_129
.LBB72_127:                             ;   in Loop: Header=BB72_129 Depth=1
	ds_read2_b64 v[6:9], v3 offset1:1
	v_ashrrev_i32_e32 v1, 31, v0
	v_lshlrev_b64 v[0:1], 4, v[0:1]
	v_mov_b32_e32 v5, s23
	v_add_co_u32_e32 v0, vcc, s22, v0
	v_addc_co_u32_e32 v1, vcc, v5, v1, vcc
	s_waitcnt lgkmcnt(0)
	global_store_dwordx4 v[0:1], v[6:9], off
.LBB72_128:                             ;   in Loop: Header=BB72_129 Depth=1
	s_or_b64 exec, exec, s[8:9]
	v_add_u32_e32 v4, 2, v4
	v_cmp_le_i32_e32 vcc, s46, v4
	s_or_b64 s[6:7], vcc, s[6:7]
	v_add_u32_e32 v3, 32, v3
	s_andn2_b64 exec, exec, s[6:7]
	s_cbranch_execz .LBB72_134
.LBB72_129:                             ; =>This Inner Loop Header: Depth=1
	s_and_saveexec_b64 s[8:9], s[0:1]
	s_cbranch_execz .LBB72_128
; %bb.130:                              ;   in Loop: Header=BB72_129 Depth=1
	s_and_b64 vcc, exec, s[4:5]
	s_cbranch_vccz .LBB72_132
; %bb.131:                              ;   in Loop: Header=BB72_129 Depth=1
	v_add_u32_e32 v0, s33, v4
	v_mad_u64_u32 v[0:1], s[16:17], v0, s46, v[10:11]
	s_cbranch_execnz .LBB72_127
	s_branch .LBB72_133
.LBB72_132:                             ;   in Loop: Header=BB72_129 Depth=1
                                        ; implicit-def: $vgpr0
.LBB72_133:                             ;   in Loop: Header=BB72_129 Depth=1
	v_add_u32_e32 v0, v2, v4
	s_branch .LBB72_127
.LBB72_134:
	s_or_b64 exec, exec, s[2:3]
	v_or_b32_e32 v0, v11, v10
	v_cmp_eq_u32_e64 s[0:1], 0, v0
.LBB72_135:
	s_and_saveexec_b64 s[2:3], s[0:1]
	s_cbranch_execnz .LBB72_143
.LBB72_136:
	s_endpgm
.LBB72_137:
	s_mov_b64 s[0:1], 0
	s_cbranch_execz .LBB72_135
; %bb.138:
	v_or_b32_e32 v0, v11, v10
	v_cmp_eq_u32_e32 vcc, 0, v0
	s_and_saveexec_b64 s[2:3], vcc
	s_cbranch_execz .LBB72_142
; %bb.139:
	v_mbcnt_lo_u32_b32 v0, exec_lo, 0
	v_mbcnt_hi_u32_b32 v0, exec_hi, v0
	v_cmp_eq_u32_e32 vcc, 0, v0
	s_and_saveexec_b64 s[4:5], vcc
	s_cbranch_execz .LBB72_141
; %bb.140:
	s_add_i32 s6, s20, s21
	v_mov_b32_e32 v0, 0
	v_mov_b32_e32 v1, s6
	global_atomic_smin v0, v1, s[14:15]
.LBB72_141:
	s_or_b64 exec, exec, s[4:5]
	s_or_b64 s[0:1], s[0:1], exec
.LBB72_142:
	s_or_b64 exec, exec, s[2:3]
	s_and_saveexec_b64 s[2:3], s[0:1]
	s_cbranch_execz .LBB72_136
.LBB72_143:
	s_add_u32 s0, s10, s12
	s_addc_u32 s1, s11, s13
	v_mov_b32_e32 v0, 0
	v_mov_b32_e32 v1, 1
	s_waitcnt vmcnt(0)
	global_store_dword v0, v1, s[0:1]
	s_endpgm
	.section	.rodata,"a",@progbits
	.p2align	6, 0x0
	.amdhsa_kernel _ZN9rocsparseL19bsric0_17_32_kernelILi64ELi64ELi32E21rocsparse_complex_numIdEEEv20rocsparse_direction_iiPKiS5_PT2_S5_PiS5_S8_21rocsparse_index_base_
		.amdhsa_group_segment_fixed_size 51456
		.amdhsa_private_segment_fixed_size 0
		.amdhsa_kernarg_size 76
		.amdhsa_user_sgpr_count 6
		.amdhsa_user_sgpr_private_segment_buffer 1
		.amdhsa_user_sgpr_dispatch_ptr 0
		.amdhsa_user_sgpr_queue_ptr 0
		.amdhsa_user_sgpr_kernarg_segment_ptr 1
		.amdhsa_user_sgpr_dispatch_id 0
		.amdhsa_user_sgpr_flat_scratch_init 0
		.amdhsa_user_sgpr_kernarg_preload_length 0
		.amdhsa_user_sgpr_kernarg_preload_offset 0
		.amdhsa_user_sgpr_private_segment_size 0
		.amdhsa_uses_dynamic_stack 0
		.amdhsa_system_sgpr_private_segment_wavefront_offset 0
		.amdhsa_system_sgpr_workgroup_id_x 1
		.amdhsa_system_sgpr_workgroup_id_y 0
		.amdhsa_system_sgpr_workgroup_id_z 0
		.amdhsa_system_sgpr_workgroup_info 0
		.amdhsa_system_vgpr_workitem_id 1
		.amdhsa_next_free_vgpr 70
		.amdhsa_next_free_sgpr 56
		.amdhsa_accum_offset 72
		.amdhsa_reserve_vcc 1
		.amdhsa_reserve_flat_scratch 0
		.amdhsa_float_round_mode_32 0
		.amdhsa_float_round_mode_16_64 0
		.amdhsa_float_denorm_mode_32 3
		.amdhsa_float_denorm_mode_16_64 3
		.amdhsa_dx10_clamp 1
		.amdhsa_ieee_mode 1
		.amdhsa_fp16_overflow 0
		.amdhsa_tg_split 0
		.amdhsa_exception_fp_ieee_invalid_op 0
		.amdhsa_exception_fp_denorm_src 0
		.amdhsa_exception_fp_ieee_div_zero 0
		.amdhsa_exception_fp_ieee_overflow 0
		.amdhsa_exception_fp_ieee_underflow 0
		.amdhsa_exception_fp_ieee_inexact 0
		.amdhsa_exception_int_div_zero 0
	.end_amdhsa_kernel
	.section	.text._ZN9rocsparseL19bsric0_17_32_kernelILi64ELi64ELi32E21rocsparse_complex_numIdEEEv20rocsparse_direction_iiPKiS5_PT2_S5_PiS5_S8_21rocsparse_index_base_,"axG",@progbits,_ZN9rocsparseL19bsric0_17_32_kernelILi64ELi64ELi32E21rocsparse_complex_numIdEEEv20rocsparse_direction_iiPKiS5_PT2_S5_PiS5_S8_21rocsparse_index_base_,comdat
.Lfunc_end72:
	.size	_ZN9rocsparseL19bsric0_17_32_kernelILi64ELi64ELi32E21rocsparse_complex_numIdEEEv20rocsparse_direction_iiPKiS5_PT2_S5_PiS5_S8_21rocsparse_index_base_, .Lfunc_end72-_ZN9rocsparseL19bsric0_17_32_kernelILi64ELi64ELi32E21rocsparse_complex_numIdEEEv20rocsparse_direction_iiPKiS5_PT2_S5_PiS5_S8_21rocsparse_index_base_
                                        ; -- End function
	.section	.AMDGPU.csdata,"",@progbits
; Kernel info:
; codeLenInByte = 6056
; NumSgprs: 60
; NumVgprs: 70
; NumAgprs: 0
; TotalNumVgprs: 70
; ScratchSize: 0
; MemoryBound: 1
; FloatMode: 240
; IeeeMode: 1
; LDSByteSize: 51456 bytes/workgroup (compile time only)
; SGPRBlocks: 7
; VGPRBlocks: 8
; NumSGPRsForWavesPerEU: 60
; NumVGPRsForWavesPerEU: 70
; AccumOffset: 72
; Occupancy: 1
; WaveLimiterHint : 1
; COMPUTE_PGM_RSRC2:SCRATCH_EN: 0
; COMPUTE_PGM_RSRC2:USER_SGPR: 6
; COMPUTE_PGM_RSRC2:TRAP_HANDLER: 0
; COMPUTE_PGM_RSRC2:TGID_X_EN: 1
; COMPUTE_PGM_RSRC2:TGID_Y_EN: 0
; COMPUTE_PGM_RSRC2:TGID_Z_EN: 0
; COMPUTE_PGM_RSRC2:TIDIG_COMP_CNT: 1
; COMPUTE_PGM_RSRC3_GFX90A:ACCUM_OFFSET: 17
; COMPUTE_PGM_RSRC3_GFX90A:TG_SPLIT: 0
	.section	.text._ZN9rocsparseL17bsric0_2_8_kernelILi64ELi128ELi8E21rocsparse_complex_numIdEEEv20rocsparse_direction_iiPKiS5_PT2_S5_PiS5_S8_21rocsparse_index_base_,"axG",@progbits,_ZN9rocsparseL17bsric0_2_8_kernelILi64ELi128ELi8E21rocsparse_complex_numIdEEEv20rocsparse_direction_iiPKiS5_PT2_S5_PiS5_S8_21rocsparse_index_base_,comdat
	.globl	_ZN9rocsparseL17bsric0_2_8_kernelILi64ELi128ELi8E21rocsparse_complex_numIdEEEv20rocsparse_direction_iiPKiS5_PT2_S5_PiS5_S8_21rocsparse_index_base_ ; -- Begin function _ZN9rocsparseL17bsric0_2_8_kernelILi64ELi128ELi8E21rocsparse_complex_numIdEEEv20rocsparse_direction_iiPKiS5_PT2_S5_PiS5_S8_21rocsparse_index_base_
	.p2align	8
	.type	_ZN9rocsparseL17bsric0_2_8_kernelILi64ELi128ELi8E21rocsparse_complex_numIdEEEv20rocsparse_direction_iiPKiS5_PT2_S5_PiS5_S8_21rocsparse_index_base_,@function
_ZN9rocsparseL17bsric0_2_8_kernelILi64ELi128ELi8E21rocsparse_complex_numIdEEEv20rocsparse_direction_iiPKiS5_PT2_S5_PiS5_S8_21rocsparse_index_base_: ; @_ZN9rocsparseL17bsric0_2_8_kernelILi64ELi128ELi8E21rocsparse_complex_numIdEEEv20rocsparse_direction_iiPKiS5_PT2_S5_PiS5_S8_21rocsparse_index_base_
; %bb.0:
	s_load_dwordx8 s[12:19], s[4:5], 0x28
	s_mov_b32 s7, 0
	s_lshl_b64 s[0:1], s[6:7], 2
	v_and_b32_e32 v13, 0x3ff, v0
	v_bfe_u32 v22, v0, 10, 10
	s_waitcnt lgkmcnt(0)
	s_add_u32 s0, s16, s0
	s_addc_u32 s1, s17, s1
	s_load_dword s16, s[0:1], 0x0
	s_waitcnt lgkmcnt(0)
	s_ashr_i32 s17, s16, 31
	s_lshl_b64 s[10:11], s[16:17], 2
	s_add_u32 s0, s12, s10
	s_addc_u32 s1, s13, s11
	s_load_dword s33, s[0:1], 0x0
	s_load_dword s17, s[4:5], 0x48
	s_waitcnt lgkmcnt(0)
	s_cmp_lg_u32 s33, -1
	s_cbranch_scc0 .LBB73_92
; %bb.1:
	s_load_dwordx4 s[20:23], s[4:5], 0x10
	s_load_dwordx2 s[24:25], s[4:5], 0x20
	v_lshlrev_b32_e32 v1, 3, v22
	v_add_u32_e32 v2, v1, v13
	s_waitcnt lgkmcnt(0)
	s_add_u32 s0, s20, s10
	s_addc_u32 s1, s21, s11
	s_load_dword s26, s[0:1], 0x0
	s_waitcnt lgkmcnt(0)
	s_sub_i32 s40, s26, s17
	v_add_u32_e32 v0, s40, v2
	v_cmp_ge_i32_e32 vcc, s33, v0
	s_and_saveexec_b64 s[0:1], vcc
	s_cbranch_execz .LBB73_14
; %bb.2:
	v_add_u32_e32 v2, s26, v2
	v_subrev_u32_e32 v2, s17, v2
	v_add_u32_e32 v2, 64, v2
	s_add_i32 s2, s33, 1
	v_max_i32_e32 v2, s2, v2
	v_not_b32_e32 v3, v13
	v_add3_u32 v2, v2, s17, v3
	v_add_u32_e32 v1, s26, v1
	v_sub_u32_e32 v1, v2, v1
	v_cmp_lt_u32_e32 vcc, 63, v1
	s_mov_b64 s[6:7], -1
	s_and_saveexec_b64 s[2:3], vcc
	s_cbranch_execz .LBB73_11
; %bb.3:
	v_lshrrev_b32_e32 v12, 6, v1
	v_add_u32_e32 v2, -1, v12
	v_add_u32_e32 v1, 64, v0
	v_lshrrev_b32_e32 v3, 1, v2
	v_add_u32_e32 v14, 1, v3
	v_cmp_lt_u32_e32 vcc, 13, v2
	v_pk_mov_b32 v[2:3], v[0:1], v[0:1] op_sel:[0,1]
	s_and_saveexec_b64 s[6:7], vcc
	s_cbranch_execz .LBB73_7
; %bb.4:
	v_and_b32_e32 v15, -8, v14
	s_mov_b64 s[8:9], 0
	v_mov_b32_e32 v16, s23
	v_pk_mov_b32 v[2:3], v[0:1], v[0:1] op_sel:[0,1]
.LBB73_5:                               ; =>This Inner Loop Header: Depth=1
	v_ashrrev_i32_e32 v21, 31, v2
	v_mov_b32_e32 v20, v2
	v_lshlrev_b64 v[20:21], 2, v[20:21]
	v_ashrrev_i32_e32 v19, 31, v3
	v_mov_b32_e32 v18, v3
	v_add_co_u32_e32 v20, vcc, s22, v20
	v_add_u32_e32 v4, 0x80, v2
	v_lshlrev_b64 v[18:19], 2, v[18:19]
	v_addc_co_u32_e32 v21, vcc, v16, v21, vcc
	v_ashrrev_i32_e32 v5, 31, v4
	v_add_co_u32_e32 v18, vcc, s22, v18
	v_add_u32_e32 v6, 0x80, v3
	v_addc_co_u32_e32 v19, vcc, v16, v19, vcc
	v_lshlrev_b64 v[44:45], 2, v[4:5]
	v_ashrrev_i32_e32 v7, 31, v6
	global_load_dword v1, v[20:21], off
	global_load_dword v5, v[18:19], off
	v_add_co_u32_e32 v18, vcc, s22, v44
	v_add_u32_e32 v8, 0x100, v2
	v_lshlrev_b64 v[46:47], 2, v[6:7]
	v_addc_co_u32_e32 v19, vcc, v16, v45, vcc
	v_ashrrev_i32_e32 v9, 31, v8
	v_add_co_u32_e32 v20, vcc, s22, v46
	v_add_u32_e32 v10, 0x100, v3
	v_lshlrev_b64 v[48:49], 2, v[8:9]
	v_addc_co_u32_e32 v21, vcc, v16, v47, vcc
	v_ashrrev_i32_e32 v11, 31, v10
	;; [unrolled: 5-line block ×12, first 2 shown]
	v_add_co_u32_e32 v64, vcc, s22, v68
	v_lshlrev_b64 v[70:71], 2, v[42:43]
	v_addc_co_u32_e32 v65, vcc, v16, v69, vcc
	v_add_co_u32_e32 v66, vcc, s22, v70
	v_addc_co_u32_e32 v67, vcc, v16, v71, vcc
	global_load_dword v7, v[20:21], off
	global_load_dword v9, v[18:19], off
	global_load_dword v11, v[46:47], off
	global_load_dword v17, v[44:45], off
	global_load_dword v23, v[50:51], off
	global_load_dword v25, v[48:49], off
	global_load_dword v27, v[54:55], off
	global_load_dword v29, v[52:53], off
	global_load_dword v31, v[58:59], off
	global_load_dword v33, v[56:57], off
	global_load_dword v35, v[62:63], off
	global_load_dword v37, v[60:61], off
	global_load_dword v39, v[66:67], off
	global_load_dword v41, v[64:65], off
	v_subrev_u32_e32 v19, s40, v2
	v_add_u32_e32 v15, -8, v15
	v_subrev_u32_e32 v18, s40, v3
	v_lshlrev_b32_e32 v19, 2, v19
	v_subrev_u32_e32 v4, s40, v4
	v_cmp_eq_u32_e32 vcc, 0, v15
	s_waitcnt vmcnt(14)
	v_subrev_u32_e32 v5, s17, v5
	v_subrev_u32_e32 v1, s17, v1
	v_add_u32_e32 v3, 0x400, v3
	v_add_u32_e32 v2, 0x400, v2
	v_lshlrev_b32_e32 v18, 2, v18
	v_subrev_u32_e32 v6, s40, v6
	v_subrev_u32_e32 v10, s40, v10
	;; [unrolled: 1-line block ×13, first 2 shown]
	v_lshlrev_b32_e32 v4, 2, v4
	s_or_b64 s[8:9], vcc, s[8:9]
	ds_write_b32 v19, v1 offset:5632
	ds_write_b32 v18, v5 offset:5632
	v_lshlrev_b32_e32 v6, 2, v6
	v_lshlrev_b32_e32 v8, 2, v8
	;; [unrolled: 1-line block ×13, first 2 shown]
	s_waitcnt vmcnt(13)
	v_subrev_u32_e32 v1, s17, v7
	s_waitcnt vmcnt(12)
	v_subrev_u32_e32 v5, s17, v9
	;; [unrolled: 2-line block ×14, first 2 shown]
	ds_write_b32 v4, v5 offset:5632
	ds_write_b32 v6, v1 offset:5632
	;; [unrolled: 1-line block ×14, first 2 shown]
	s_andn2_b64 exec, exec, s[8:9]
	s_cbranch_execnz .LBB73_5
; %bb.6:
	s_or_b64 exec, exec, s[8:9]
.LBB73_7:
	s_or_b64 exec, exec, s[6:7]
	v_and_b32_e32 v1, 7, v14
	v_cmp_ne_u32_e32 vcc, 0, v1
	s_and_saveexec_b64 s[6:7], vcc
	s_cbranch_execz .LBB73_10
; %bb.8:
	s_mov_b64 s[8:9], 0
	v_mov_b32_e32 v4, s23
.LBB73_9:                               ; =>This Inner Loop Header: Depth=1
	v_ashrrev_i32_e32 v9, 31, v2
	v_mov_b32_e32 v8, v2
	v_lshlrev_b64 v[8:9], 2, v[8:9]
	v_ashrrev_i32_e32 v7, 31, v3
	v_mov_b32_e32 v6, v3
	v_add_co_u32_e32 v8, vcc, s22, v8
	v_lshlrev_b64 v[6:7], 2, v[6:7]
	v_addc_co_u32_e32 v9, vcc, v4, v9, vcc
	v_add_co_u32_e32 v6, vcc, s22, v6
	v_addc_co_u32_e32 v7, vcc, v4, v7, vcc
	global_load_dword v5, v[6:7], off
	global_load_dword v10, v[8:9], off
	v_add_u32_e32 v1, -1, v1
	v_subrev_u32_e32 v7, s40, v2
	v_cmp_eq_u32_e32 vcc, 0, v1
	v_subrev_u32_e32 v6, s40, v3
	v_add_u32_e32 v3, 0x80, v3
	v_add_u32_e32 v2, 0x80, v2
	v_lshlrev_b32_e32 v7, 2, v7
	s_or_b64 s[8:9], vcc, s[8:9]
	v_lshlrev_b32_e32 v6, 2, v6
	s_waitcnt vmcnt(1)
	v_subrev_u32_e32 v5, s17, v5
	s_waitcnt vmcnt(0)
	v_subrev_u32_e32 v8, s17, v10
	ds_write_b32 v7, v8 offset:5632
	ds_write_b32 v6, v5 offset:5632
	s_andn2_b64 exec, exec, s[8:9]
	s_cbranch_execnz .LBB73_9
.LBB73_10:
	s_or_b64 exec, exec, s[6:7]
	v_add_u32_e32 v1, 1, v12
	v_and_b32_e32 v2, 0x7fffffe, v1
	v_cmp_ne_u32_e32 vcc, v1, v2
	v_lshl_add_u32 v0, v2, 6, v0
	s_orn2_b64 s[6:7], vcc, exec
.LBB73_11:
	s_or_b64 exec, exec, s[2:3]
	s_and_b64 exec, exec, s[6:7]
	s_cbranch_execz .LBB73_14
; %bb.12:
	v_add_u32_e32 v1, s17, v0
	v_subrev_u32_e32 v1, s26, v1
	v_mov_b32_e32 v2, 0x1600
	v_lshl_add_u32 v4, v1, 2, v2
	v_ashrrev_i32_e32 v1, 31, v0
	v_lshlrev_b64 v[2:3], 2, v[0:1]
	v_mov_b32_e32 v1, s23
	v_add_co_u32_e32 v2, vcc, s22, v2
	v_addc_co_u32_e32 v3, vcc, v1, v3, vcc
	s_mov_b64 s[2:3], 0
.LBB73_13:                              ; =>This Inner Loop Header: Depth=1
	global_load_dword v1, v[2:3], off
	v_add_co_u32_e32 v2, vcc, 0x100, v2
	v_add_u32_e32 v0, 64, v0
	v_addc_co_u32_e32 v3, vcc, 0, v3, vcc
	v_cmp_lt_i32_e32 vcc, s33, v0
	s_or_b64 s[2:3], vcc, s[2:3]
	s_waitcnt vmcnt(0)
	v_subrev_u32_e32 v1, s17, v1
	ds_write_b32 v4, v1
	v_add_u32_e32 v4, 0x100, v4
	s_andn2_b64 exec, exec, s[2:3]
	s_cbranch_execnz .LBB73_13
.LBB73_14:
	s_or_b64 exec, exec, s[0:1]
	s_load_dword s42, s[4:5], 0x0
	s_load_dword s41, s[4:5], 0x8
	v_lshlrev_b32_e32 v24, 4, v13
	s_movk_i32 s43, 0x90
	v_mad_u32_u24 v25, v22, s43, v24
	v_mov_b32_e32 v0, 0
	v_add_u32_e32 v23, 0xd80, v25
	v_mov_b32_e32 v1, v0
	v_mov_b32_e32 v2, v0
	;; [unrolled: 1-line block ×3, first 2 shown]
	s_cmp_ge_i32 s40, s33
	ds_write_b128 v25, v[0:3] offset:3456
	s_waitcnt lgkmcnt(0)
	s_cbranch_scc1 .LBB73_68
; %bb.15:
	s_cmp_eq_u32 s42, 0
	s_cselect_b64 vcc, -1, 0
	s_cmp_lg_u32 s42, 0
	v_cmp_gt_i32_e64 s[0:1], s41, v13
	v_cmp_gt_i32_e64 s[2:3], s41, v22
	s_cselect_b64 s[26:27], -1, 0
	s_and_b64 s[28:29], s[0:1], s[2:3]
	s_cmp_gt_i32 s41, 0
	v_mov_b32_e32 v1, 0x900
	v_or_b32_e32 v2, v13, v22
	s_cselect_b64 s[6:7], -1, 0
	v_mad_u32_u24 v1, v22, s43, v1
	v_cmp_ne_u32_e64 s[4:5], 0, v2
	v_cndmask_b32_e64 v2, 0, 1, s[6:7]
	v_add_u32_e32 v26, v1, v24
	s_mul_i32 s44, s41, s41
	v_mul_lo_u32 v27, v13, s41
	v_mul_lo_u32 v28, v22, s41
	v_add_u32_e32 v29, 0x480, v25
	v_cndmask_b32_e32 v12, v22, v13, vcc
	v_cndmask_b32_e32 v30, v13, v22, vcc
	v_cmp_ne_u32_e64 s[6:7], 1, v2
	v_mov_b32_e32 v31, 0x3ff00000
	s_mov_b32 s30, s40
	s_branch .LBB73_18
.LBB73_16:                              ;   in Loop: Header=BB73_18 Depth=1
	s_or_b64 exec, exec, s[8:9]
	s_add_i32 s30, s30, 1
	s_cmp_ge_i32 s30, s33
	s_cselect_b64 s[36:37], -1, 0
	s_waitcnt vmcnt(0)
	buffer_wbinvl1_vol
.LBB73_17:                              ;   in Loop: Header=BB73_18 Depth=1
	s_and_b64 vcc, exec, s[36:37]
	s_cbranch_vccnz .LBB73_68
.LBB73_18:                              ; =>This Loop Header: Depth=1
                                        ;     Child Loop BB73_23 Depth 2
                                        ;     Child Loop BB73_34 Depth 2
	;; [unrolled: 1-line block ×3, first 2 shown]
                                        ;       Child Loop BB73_65 Depth 3
	s_ashr_i32 s31, s30, 31
	s_lshl_b64 s[8:9], s[30:31], 2
	s_add_u32 s8, s22, s8
	s_addc_u32 s9, s23, s9
	s_load_dword s31, s[8:9], 0x0
	s_waitcnt lgkmcnt(0)
	s_sub_i32 s34, s31, s17
	s_ashr_i32 s35, s34, 31
	s_lshl_b64 s[8:9], s[34:35], 2
	s_add_u32 s36, s12, s8
	s_addc_u32 s37, s13, s9
	s_load_dword s35, s[36:37], 0x0
	s_mov_b64 s[36:37], -1
	s_waitcnt lgkmcnt(0)
	s_cmp_eq_u32 s35, -1
	s_cbranch_scc1 .LBB73_17
; %bb.19:                               ;   in Loop: Header=BB73_18 Depth=1
	s_add_u32 s36, s20, s8
	v_pk_mov_b32 v[2:3], 0, 0
	s_mul_i32 s38, s30, s41
	s_addc_u32 s37, s21, s9
	v_add_u32_e32 v32, s38, v30
	v_pk_mov_b32 v[4:5], v[2:3], v[2:3] op_sel:[0,1]
	s_and_saveexec_b64 s[38:39], s[28:29]
	s_cbranch_execz .LBB73_21
; %bb.20:                               ;   in Loop: Header=BB73_18 Depth=1
	v_mad_u64_u32 v[2:3], s[46:47], v32, s41, v[12:13]
	v_ashrrev_i32_e32 v3, 31, v2
	v_lshlrev_b64 v[2:3], 4, v[2:3]
	v_mov_b32_e32 v4, s25
	v_add_co_u32_e32 v2, vcc, s24, v2
	v_addc_co_u32_e32 v3, vcc, v4, v3, vcc
	global_load_dwordx4 v[2:5], v[2:3], off
.LBB73_21:                              ;   in Loop: Header=BB73_18 Depth=1
	s_or_b64 exec, exec, s[38:39]
	s_load_dword s36, s[36:37], 0x0
	ds_read_b32 v6, v0 offset:5632
	s_mov_b32 s37, 0
	s_waitcnt vmcnt(0)
	ds_write_b128 v26, v[2:5]
	s_waitcnt lgkmcnt(0)
	s_sub_i32 s36, s36, s17
	s_cmp_le_i32 s36, s35
	v_cmp_ge_i32_e32 vcc, s34, v6
	s_cselect_b64 s[38:39], -1, 0
	s_and_b64 s[38:39], s[38:39], vcc
	s_andn2_b64 vcc, exec, s[38:39]
	s_cbranch_vccnz .LBB73_33
; %bb.22:                               ;   in Loop: Header=BB73_18 Depth=1
	s_mov_b32 s45, 0
	s_mov_b32 s46, 0
.LBB73_23:                              ;   Parent Loop BB73_18 Depth=1
                                        ; =>  This Inner Loop Header: Depth=2
	s_ashr_i32 s37, s36, 31
	s_lshl_b64 s[38:39], s[36:37], 2
	s_add_u32 s38, s22, s38
	s_addc_u32 s39, s23, s39
	s_load_dword s37, s[38:39], 0x0
	s_lshl_b32 s38, s46, 2
	v_mov_b32_e32 v2, s38
	ds_read_b32 v2, v2 offset:5632
	s_mov_b64 s[38:39], -1
	s_waitcnt lgkmcnt(0)
	s_sub_i32 s50, s37, s17
                                        ; implicit-def: $sgpr37
                                        ; implicit-def: $sgpr49
                                        ; implicit-def: $sgpr48
	v_cmp_ge_i32_e32 vcc, s50, v2
	v_readfirstlane_b32 s47, v2
	s_cbranch_vccz .LBB73_29
; %bb.24:                               ;   in Loop: Header=BB73_23 Depth=2
	s_cmp_le_i32 s50, s47
                                        ; implicit-def: $sgpr37
                                        ; implicit-def: $sgpr49
                                        ; implicit-def: $sgpr48
	s_cbranch_scc0 .LBB73_26
; %bb.25:                               ;   in Loop: Header=BB73_23 Depth=2
	s_add_i32 s37, s46, s40
	s_mul_i32 s37, s37, s44
	s_lshl_b32 s38, s45, 2
	v_mov_b32_e32 v3, s37
	s_mul_i32 s37, s36, s44
	v_mov_b32_e32 v2, s38
	v_mov_b32_e32 v4, s37
	ds_write2st64_b32 v2, v4, v3 offset0:18 offset1:20
	s_add_i32 s48, s46, 1
	s_add_i32 s49, s36, 1
	;; [unrolled: 1-line block ×3, first 2 shown]
	s_mov_b64 s[38:39], 0
.LBB73_26:                              ;   in Loop: Header=BB73_23 Depth=2
	s_andn2_b64 vcc, exec, s[38:39]
	s_cbranch_vccnz .LBB73_28
; %bb.27:                               ;   in Loop: Header=BB73_23 Depth=2
	s_add_i32 s48, s46, 1
	s_mov_b32 s37, s45
	s_mov_b32 s49, s36
.LBB73_28:                              ;   in Loop: Header=BB73_23 Depth=2
	s_mov_b64 s[38:39], 0
.LBB73_29:                              ;   in Loop: Header=BB73_23 Depth=2
	s_andn2_b64 vcc, exec, s[38:39]
	s_cbranch_vccnz .LBB73_31
; %bb.30:                               ;   in Loop: Header=BB73_23 Depth=2
	s_add_i32 s49, s36, 1
	s_mov_b32 s48, s46
	s_mov_b32 s37, s45
.LBB73_31:                              ;   in Loop: Header=BB73_23 Depth=2
	s_cmp_le_i32 s49, s35
	s_cselect_b64 s[38:39], -1, 0
	s_cmp_le_i32 s47, s34
	s_cselect_b64 s[46:47], -1, 0
	s_and_b64 s[38:39], s[38:39], s[46:47]
	s_and_b64 vcc, exec, s[38:39]
	s_cbranch_vccz .LBB73_33
; %bb.32:                               ;   in Loop: Header=BB73_23 Depth=2
	s_mov_b32 s45, s37
	s_mov_b32 s36, s49
	;; [unrolled: 1-line block ×3, first 2 shown]
	s_branch .LBB73_23
.LBB73_33:                              ;   in Loop: Header=BB73_18 Depth=1
	s_add_u32 s8, s14, s8
	s_addc_u32 s9, s15, s9
	s_waitcnt lgkmcnt(0)
.LBB73_34:                              ;   Parent Loop BB73_18 Depth=1
                                        ; =>  This Inner Loop Header: Depth=2
	global_load_dword v2, v0, s[8:9] glc
	s_waitcnt vmcnt(0)
	v_cmp_eq_u32_e32 vcc, 0, v2
	s_cbranch_vccnz .LBB73_34
; %bb.35:                               ;   in Loop: Header=BB73_18 Depth=1
	v_pk_mov_b32 v[4:5], 0, 0
	v_pk_mov_b32 v[6:7], v[4:5], v[4:5] op_sel:[0,1]
	v_pk_mov_b32 v[8:9], v[4:5], v[4:5] op_sel:[0,1]
	buffer_wbinvl1_vol
	s_and_saveexec_b64 s[8:9], s[28:29]
	s_cbranch_execz .LBB73_37
; %bb.36:                               ;   in Loop: Header=BB73_18 Depth=1
	s_mul_i32 s35, s35, s41
	v_add_u32_e32 v2, s35, v30
	v_mad_u64_u32 v[2:3], s[34:35], v2, s41, v[12:13]
	v_ashrrev_i32_e32 v3, 31, v2
	v_lshlrev_b64 v[2:3], 4, v[2:3]
	v_mov_b32_e32 v6, s25
	v_add_co_u32_e32 v2, vcc, s24, v2
	v_addc_co_u32_e32 v3, vcc, v6, v3, vcc
	global_load_dwordx4 v[6:9], v[2:3], off
.LBB73_37:                              ;   in Loop: Header=BB73_18 Depth=1
	s_or_b64 exec, exec, s[8:9]
	s_cmp_lt_i32 s37, 2
	v_pk_mov_b32 v[2:3], v[4:5], v[4:5] op_sel:[0,1]
	s_waitcnt vmcnt(0)
	ds_write_b128 v25, v[6:9]
	s_waitcnt lgkmcnt(0)
	s_cbranch_scc1 .LBB73_56
; %bb.38:                               ;   in Loop: Header=BB73_18 Depth=1
	v_pk_mov_b32 v[14:15], 0, 0
	s_add_i32 s36, s37, -2
	s_mov_b32 s37, 0
	v_pk_mov_b32 v[16:17], v[14:15], v[14:15] op_sel:[0,1]
	s_and_b64 vcc, exec, s[6:7]
	s_cbranch_vccnz .LBB73_53
.LBB73_39:                              ;   in Loop: Header=BB73_18 Depth=1
	s_lshl_b32 s8, s37, 2
	v_mov_b32_e32 v2, s8
	ds_read2st64_b32 v[2:3], v2 offset0:18 offset1:20
	s_mov_b32 s38, 0
	s_waitcnt lgkmcnt(0)
	v_add_u32_e32 v33, v2, v27
	v_add_u32_e32 v34, v3, v28
	;; [unrolled: 1-line block ×4, first 2 shown]
	s_and_b64 vcc, exec, s[26:27]
	s_cbranch_vccz .LBB73_45
.LBB73_40:                              ;   in Loop: Header=BB73_18 Depth=1
	v_pk_mov_b32 v[4:5], 0, 0
	v_pk_mov_b32 v[8:9], v[4:5], v[4:5] op_sel:[0,1]
	v_pk_mov_b32 v[10:11], v[4:5], v[4:5] op_sel:[0,1]
	s_and_saveexec_b64 s[8:9], s[0:1]
	s_cbranch_execz .LBB73_42
; %bb.41:                               ;   in Loop: Header=BB73_18 Depth=1
	v_ashrrev_i32_e32 v21, 31, v20
	v_lshlrev_b64 v[2:3], 4, v[20:21]
	v_mov_b32_e32 v6, s25
	v_add_co_u32_e32 v2, vcc, s24, v2
	v_addc_co_u32_e32 v3, vcc, v6, v3, vcc
	global_load_dwordx4 v[8:11], v[2:3], off
.LBB73_42:                              ;   in Loop: Header=BB73_18 Depth=1
	s_or_b64 exec, exec, s[8:9]
	s_mov_b64 s[8:9], 0
	v_pk_mov_b32 v[6:7], v[4:5], v[4:5] op_sel:[0,1]
	s_and_saveexec_b64 s[34:35], s[2:3]
	s_cbranch_execz .LBB73_44
; %bb.43:                               ;   in Loop: Header=BB73_18 Depth=1
	v_ashrrev_i32_e32 v19, 31, v18
	v_lshlrev_b64 v[2:3], 4, v[18:19]
	v_mov_b32_e32 v4, s25
	v_add_co_u32_e32 v2, vcc, s24, v2
	v_addc_co_u32_e32 v3, vcc, v4, v3, vcc
	global_load_dwordx4 v[4:7], v[2:3], off
.LBB73_44:                              ;   in Loop: Header=BB73_18 Depth=1
	s_or_b64 exec, exec, s[34:35]
	s_waitcnt vmcnt(0)
	v_fma_f64 v[2:3], v[8:9], v[4:5], v[16:17]
	v_fma_f64 v[4:5], v[10:11], v[4:5], v[14:15]
	v_fmac_f64_e32 v[2:3], v[10:11], v[6:7]
	v_fma_f64 v[4:5], v[8:9], -v[6:7], v[4:5]
	s_and_b64 vcc, exec, s[8:9]
	s_cbranch_vccnz .LBB73_46
	s_branch .LBB73_51
.LBB73_45:                              ;   in Loop: Header=BB73_18 Depth=1
                                        ; implicit-def: $vgpr4_vgpr5
	s_cbranch_execz .LBB73_51
.LBB73_46:                              ;   in Loop: Header=BB73_18 Depth=1
	v_pk_mov_b32 v[2:3], 0, 0
	v_pk_mov_b32 v[6:7], v[2:3], v[2:3] op_sel:[0,1]
	v_pk_mov_b32 v[8:9], v[2:3], v[2:3] op_sel:[0,1]
	s_and_saveexec_b64 s[8:9], s[0:1]
	s_cbranch_execz .LBB73_48
; %bb.47:                               ;   in Loop: Header=BB73_18 Depth=1
	v_add_u32_e32 v4, s38, v33
	v_ashrrev_i32_e32 v5, 31, v4
	v_lshlrev_b64 v[4:5], 4, v[4:5]
	v_mov_b32_e32 v6, s25
	v_add_co_u32_e32 v4, vcc, s24, v4
	v_addc_co_u32_e32 v5, vcc, v6, v5, vcc
	global_load_dwordx4 v[6:9], v[4:5], off
.LBB73_48:                              ;   in Loop: Header=BB73_18 Depth=1
	s_or_b64 exec, exec, s[8:9]
	v_pk_mov_b32 v[4:5], v[2:3], v[2:3] op_sel:[0,1]
	s_and_saveexec_b64 s[8:9], s[2:3]
	s_cbranch_execz .LBB73_50
; %bb.49:                               ;   in Loop: Header=BB73_18 Depth=1
	v_add_u32_e32 v2, s38, v34
	v_ashrrev_i32_e32 v3, 31, v2
	v_lshlrev_b64 v[2:3], 4, v[2:3]
	v_mov_b32_e32 v4, s25
	v_add_co_u32_e32 v2, vcc, s24, v2
	v_addc_co_u32_e32 v3, vcc, v4, v3, vcc
	global_load_dwordx4 v[2:5], v[2:3], off
.LBB73_50:                              ;   in Loop: Header=BB73_18 Depth=1
	s_or_b64 exec, exec, s[8:9]
	s_waitcnt vmcnt(0)
	v_fmac_f64_e32 v[16:17], v[6:7], v[2:3]
	v_fmac_f64_e32 v[16:17], v[8:9], v[4:5]
	v_fmac_f64_e32 v[14:15], v[8:9], v[2:3]
	v_fma_f64 v[4:5], v[6:7], -v[4:5], v[14:15]
	v_pk_mov_b32 v[2:3], v[16:17], v[16:17] op_sel:[0,1]
.LBB73_51:                              ;   in Loop: Header=BB73_18 Depth=1
	s_add_i32 s38, s38, 1
	v_add_u32_e32 v18, s41, v18
	s_cmp_eq_u32 s41, s38
	v_add_u32_e32 v20, s41, v20
	s_cbranch_scc1 .LBB73_54
; %bb.52:                               ;   in Loop: Header=BB73_18 Depth=1
	v_pk_mov_b32 v[14:15], v[4:5], v[4:5] op_sel:[0,1]
	v_pk_mov_b32 v[16:17], v[2:3], v[2:3] op_sel:[0,1]
	s_and_b64 vcc, exec, s[26:27]
	s_cbranch_vccz .LBB73_45
	s_branch .LBB73_40
.LBB73_53:                              ;   in Loop: Header=BB73_18 Depth=1
	v_pk_mov_b32 v[4:5], v[14:15], v[14:15] op_sel:[0,1]
	v_pk_mov_b32 v[2:3], v[16:17], v[16:17] op_sel:[0,1]
.LBB73_54:                              ;   in Loop: Header=BB73_18 Depth=1
	s_add_i32 s8, s37, 1
	s_cmp_eq_u32 s37, s36
	s_cbranch_scc1 .LBB73_56
; %bb.55:                               ;   in Loop: Header=BB73_18 Depth=1
	s_mov_b32 s37, s8
	v_pk_mov_b32 v[14:15], v[4:5], v[4:5] op_sel:[0,1]
	v_pk_mov_b32 v[16:17], v[2:3], v[2:3] op_sel:[0,1]
	s_and_b64 vcc, exec, s[6:7]
	s_cbranch_vccz .LBB73_39
	s_branch .LBB73_53
.LBB73_56:                              ;   in Loop: Header=BB73_18 Depth=1
	s_and_b64 vcc, exec, s[6:7]
	ds_write_b128 v29, v[2:5]
	s_waitcnt lgkmcnt(0)
	s_cbranch_vccnz .LBB73_66
; %bb.57:                               ;   in Loop: Header=BB73_18 Depth=1
	s_mov_b32 s36, 0
	s_mov_b32 s37, 0
	s_branch .LBB73_59
.LBB73_58:                              ;   in Loop: Header=BB73_59 Depth=2
	v_mul_f64 v[18:19], v[10:11], v[10:11]
	v_fmac_f64_e32 v[18:19], v[14:15], v[14:15]
	v_div_scale_f64 v[20:21], s[8:9], v[18:19], v[18:19], 1.0
	v_rcp_f64_e32 v[34:35], v[20:21]
	s_waitcnt lgkmcnt(0)
	v_add_f64 v[6:7], v[2:3], -v[6:7]
	v_add_f64 v[4:5], v[4:5], -v[8:9]
	v_add_u32_e32 v16, 0x900, v16
	v_fma_f64 v[2:3], -v[20:21], v[34:35], 1.0
	v_fmac_f64_e32 v[34:35], v[34:35], v[2:3]
	v_fma_f64 v[2:3], -v[20:21], v[34:35], 1.0
	v_fmac_f64_e32 v[34:35], v[34:35], v[2:3]
	v_div_scale_f64 v[2:3], vcc, 1.0, v[18:19], 1.0
	v_mul_f64 v[8:9], v[2:3], v[34:35]
	v_fma_f64 v[2:3], -v[20:21], v[8:9], v[2:3]
	s_addk_i32 s36, 0x90
	s_nop 0
	v_div_fmas_f64 v[2:3], v[2:3], v[34:35], v[8:9]
	v_div_fixup_f64 v[8:9], v[2:3], v[18:19], 1.0
	v_mul_f64 v[2:3], v[10:11], v[4:5]
	v_fmac_f64_e32 v[2:3], v[6:7], v[14:15]
	v_mul_f64 v[6:7], v[10:11], -v[6:7]
	v_fmac_f64_e32 v[6:7], v[4:5], v[14:15]
	v_mul_f64 v[4:5], v[8:9], v[6:7]
	v_mul_u32_u24_e32 v6, 0x90, v13
	v_mul_f64 v[2:3], v[8:9], v[2:3]
	v_lshl_add_u32 v6, s37, 4, v6
	ds_write_b128 v16, v[2:5]
	s_waitcnt lgkmcnt(0)
	ds_read_b128 v[6:9], v6 offset:2304
	ds_read_b128 v[14:17], v23
	s_add_i32 s37, s37, 1
	s_cmp_eq_u32 s37, s41
	s_waitcnt lgkmcnt(0)
	v_fmac_f64_e32 v[14:15], v[2:3], v[6:7]
	v_fmac_f64_e32 v[16:17], v[4:5], v[6:7]
	;; [unrolled: 1-line block ×3, first 2 shown]
	v_fma_f64 v[16:17], v[2:3], -v[8:9], v[16:17]
	ds_write_b128 v23, v[14:17]
	s_waitcnt lgkmcnt(0)
	s_cbranch_scc1 .LBB73_66
.LBB73_59:                              ;   Parent Loop BB73_18 Depth=1
                                        ; =>  This Loop Header: Depth=2
                                        ;       Child Loop BB73_65 Depth 3
	s_lshl_b32 s8, s37, 4
	s_mul_i32 s9, s37, 0x90
	s_add_i32 s9, s8, s9
	v_mov_b32_e32 v2, s9
	ds_read_b128 v[6:9], v2
	v_mov_b32_e32 v2, s8
	v_mad_u32_u24 v16, v22, s43, v2
	ds_read_b128 v[2:5], v16 offset:2304
	s_waitcnt lgkmcnt(1)
	v_cmp_neq_f64_e32 vcc, 0, v[6:7]
	v_cmp_neq_f64_e64 s[8:9], 0, v[8:9]
	s_or_b64 vcc, vcc, s[8:9]
	s_or_b64 s[8:9], vcc, s[4:5]
	v_cndmask_b32_e32 v11, 0, v9, vcc
	s_xor_b64 s[34:35], s[8:9], -1
	v_cndmask_b32_e32 v10, 0, v8, vcc
	v_cndmask_b32_e32 v15, v31, v7, vcc
	;; [unrolled: 1-line block ×3, first 2 shown]
	s_and_saveexec_b64 s[8:9], s[34:35]
	s_cbranch_execz .LBB73_63
; %bb.60:                               ;   in Loop: Header=BB73_59 Depth=2
	v_mbcnt_lo_u32_b32 v6, exec_lo, 0
	v_mbcnt_hi_u32_b32 v6, exec_hi, v6
	v_cmp_eq_u32_e32 vcc, 0, v6
	s_and_saveexec_b64 s[34:35], vcc
	s_cbranch_execz .LBB73_62
; %bb.61:                               ;   in Loop: Header=BB73_59 Depth=2
	v_mov_b32_e32 v6, s31
	global_atomic_smin v0, v6, s[18:19]
.LBB73_62:                              ;   in Loop: Header=BB73_59 Depth=2
	s_or_b64 exec, exec, s[34:35]
	v_mov_b32_e32 v14, 0
	v_pk_mov_b32 v[10:11], 0, 0
	v_mov_b32_e32 v15, 0x3ff00000
.LBB73_63:                              ;   in Loop: Header=BB73_59 Depth=2
	s_or_b64 exec, exec, s[8:9]
	v_mul_u32_u24_e32 v6, 0x90, v22
	v_lshl_add_u32 v6, s37, 4, v6
	ds_read_b128 v[6:9], v6 offset:1152
	s_cmp_eq_u32 s37, 0
	s_cbranch_scc1 .LBB73_58
; %bb.64:                               ;   in Loop: Header=BB73_59 Depth=2
	s_mov_b32 s8, 0
	v_mov_b32_e32 v17, v1
	s_mov_b32 s9, s36
.LBB73_65:                              ;   Parent Loop BB73_18 Depth=1
                                        ;     Parent Loop BB73_59 Depth=2
                                        ; =>    This Inner Loop Header: Depth=3
	v_mov_b32_e32 v33, s9
	ds_read_b128 v[18:21], v17
	ds_read_b128 v[34:37], v33
	s_add_i32 s8, s8, 1
	s_add_i32 s9, s9, 16
	v_add_u32_e32 v17, 16, v17
	s_cmp_ge_u32 s8, s37
	s_waitcnt lgkmcnt(0)
	v_fmac_f64_e32 v[6:7], v[34:35], v[18:19]
	v_fmac_f64_e32 v[8:9], v[36:37], v[18:19]
	;; [unrolled: 1-line block ×3, first 2 shown]
	v_fma_f64 v[8:9], v[34:35], -v[20:21], v[8:9]
	s_cbranch_scc0 .LBB73_65
	s_branch .LBB73_58
.LBB73_66:                              ;   in Loop: Header=BB73_18 Depth=1
	s_and_saveexec_b64 s[8:9], s[28:29]
	s_cbranch_execz .LBB73_16
; %bb.67:                               ;   in Loop: Header=BB73_18 Depth=1
	v_mad_u64_u32 v[2:3], s[34:35], v32, s41, v[12:13]
	v_ashrrev_i32_e32 v3, 31, v2
	v_lshlrev_b64 v[6:7], 4, v[2:3]
	ds_read2_b64 v[2:5], v26 offset1:1
	v_mov_b32_e32 v8, s25
	v_add_co_u32_e32 v6, vcc, s24, v6
	v_addc_co_u32_e32 v7, vcc, v8, v7, vcc
	s_waitcnt lgkmcnt(0)
	global_store_dwordx4 v[6:7], v[2:5], off
	s_branch .LBB73_16
.LBB73_68:
	s_cmp_eq_u32 s42, 0
	v_max_i32_e32 v0, v13, v22
	s_cselect_b64 vcc, -1, 0
	v_cmp_gt_i32_e64 s[0:1], s41, v0
	v_pk_mov_b32 v[0:1], 0, 0
	v_cndmask_b32_e32 v2, v13, v22, vcc
	s_mul_i32 s33, s33, s41
	v_cndmask_b32_e32 v4, v22, v13, vcc
	v_add_u32_e32 v5, s33, v2
	v_pk_mov_b32 v[2:3], v[0:1], v[0:1] op_sel:[0,1]
	s_and_saveexec_b64 s[2:3], s[0:1]
	s_cbranch_execz .LBB73_70
; %bb.69:
	v_mad_u64_u32 v[0:1], s[4:5], v5, s41, v[4:5]
	v_ashrrev_i32_e32 v1, 31, v0
	v_lshlrev_b64 v[0:1], 4, v[0:1]
	v_mov_b32_e32 v2, s25
	v_add_co_u32_e32 v0, vcc, s24, v0
	v_addc_co_u32_e32 v1, vcc, v2, v1, vcc
	global_load_dwordx4 v[0:3], v[0:1], off
.LBB73_70:
	s_or_b64 exec, exec, s[2:3]
	s_movk_i32 s4, 0x90
	v_mad_u32_u24 v12, v22, s4, v24
	s_movk_i32 s20, 0x900
	s_cmp_lt_i32 s41, 1
	s_waitcnt vmcnt(0)
	ds_write_b128 v12, v[0:3] offset:2304
	s_waitcnt lgkmcnt(0)
	s_cbranch_scc1 .LBB73_87
; %bb.71:
	v_or_b32_e32 v0, v13, v22
	v_mov_b32_e32 v1, 0x900
	v_cmp_ne_u32_e64 s[2:3], 0, v0
	v_lshlrev_b32_e32 v0, 4, v22
	v_mad_u32_u24 v14, v22, s4, v1
	v_mul_u32_u24_e32 v2, 0x90, v22
	s_movk_i32 s5, 0xd80
	s_mov_b32 s6, 0
	s_mov_b32 s21, 0
	s_add_i32 s22, s16, s17
	v_add_u32_e32 v15, v14, v0
	v_add3_u32 v16, v2, v0, s5
	v_mad_u32_u24 v17, v13, s4, v1
	s_brev_b32 s7, 8
	v_mov_b32_e32 v18, 0x260
	v_mov_b32_e32 v19, 0x3ff00000
	;; [unrolled: 1-line block ×4, first 2 shown]
	s_branch .LBB73_73
.LBB73_72:                              ;   in Loop: Header=BB73_73 Depth=1
	s_or_b64 exec, exec, s[4:5]
	s_add_i32 s21, s21, 1
	s_addk_i32 s20, 0xa0
	v_add_u32_e32 v14, 16, v14
	s_cmp_eq_u32 s41, s21
	v_add_u32_e32 v17, 16, v17
	s_waitcnt lgkmcnt(0)
	s_cbranch_scc1 .LBB73_87
.LBB73_73:                              ; =>This Inner Loop Header: Depth=1
	v_cmp_eq_u32_e32 vcc, s21, v22
	s_and_saveexec_b64 s[4:5], vcc
	s_cbranch_execz .LBB73_81
; %bb.74:                               ;   in Loop: Header=BB73_73 Depth=1
	ds_read_b128 v[6:9], v16
	ds_read_b128 v[24:27], v15
	s_waitcnt lgkmcnt(0)
	v_add_f64 v[0:1], v[24:25], -v[6:7]
	v_add_f64 v[10:11], v[26:27], -v[8:9]
	v_xor_b32_e32 v3, 0x80000000, v1
	v_cmp_gt_f64_e32 vcc, 0, v[0:1]
	v_cndmask_b32_e32 v1, v1, v3, vcc
	v_cndmask_b32_e32 v0, v0, v0, vcc
	v_xor_b32_e32 v3, 0x80000000, v11
	v_cmp_gt_f64_e32 vcc, 0, v[10:11]
	v_cndmask_b32_e32 v7, v11, v3, vcc
	v_cndmask_b32_e32 v6, v10, v10, vcc
	v_cmp_ngt_f64_e32 vcc, v[0:1], v[6:7]
                                        ; implicit-def: $vgpr8_vgpr9
	s_and_saveexec_b64 s[8:9], vcc
	s_xor_b64 s[8:9], exec, s[8:9]
	s_cbranch_execz .LBB73_78
; %bb.75:                               ;   in Loop: Header=BB73_73 Depth=1
	v_cmp_neq_f64_e32 vcc, 0, v[10:11]
	v_pk_mov_b32 v[8:9], 0, 0
	s_and_saveexec_b64 s[12:13], vcc
	s_cbranch_execz .LBB73_77
; %bb.76:                               ;   in Loop: Header=BB73_73 Depth=1
	v_div_scale_f64 v[8:9], s[26:27], v[6:7], v[6:7], v[0:1]
	v_rcp_f64_e32 v[10:11], v[8:9]
	v_div_scale_f64 v[24:25], vcc, v[0:1], v[6:7], v[0:1]
	v_fma_f64 v[26:27], -v[8:9], v[10:11], 1.0
	v_fmac_f64_e32 v[10:11], v[10:11], v[26:27]
	v_fma_f64 v[26:27], -v[8:9], v[10:11], 1.0
	v_fmac_f64_e32 v[10:11], v[10:11], v[26:27]
	v_mul_f64 v[26:27], v[24:25], v[10:11]
	v_fma_f64 v[8:9], -v[8:9], v[26:27], v[24:25]
	v_div_fmas_f64 v[8:9], v[8:9], v[10:11], v[26:27]
	v_div_fixup_f64 v[0:1], v[8:9], v[6:7], v[0:1]
	v_fma_f64 v[0:1], v[0:1], v[0:1], 1.0
	v_cmp_gt_f64_e32 vcc, s[6:7], v[0:1]
	v_cndmask_b32_e64 v3, 0, 1, vcc
	v_lshlrev_b32_e32 v3, 8, v3
	v_ldexp_f64 v[0:1], v[0:1], v3
	v_rsq_f64_e32 v[8:9], v[0:1]
	v_cndmask_b32_e32 v3, 0, v20, vcc
	v_cmp_class_f64_e32 vcc, v[0:1], v18
	v_mul_f64 v[10:11], v[0:1], v[8:9]
	v_mul_f64 v[8:9], v[8:9], 0.5
	v_fma_f64 v[24:25], -v[8:9], v[10:11], 0.5
	v_fmac_f64_e32 v[10:11], v[10:11], v[24:25]
	v_fma_f64 v[26:27], -v[10:11], v[10:11], v[0:1]
	v_fmac_f64_e32 v[8:9], v[8:9], v[24:25]
	v_fmac_f64_e32 v[10:11], v[26:27], v[8:9]
	v_fma_f64 v[24:25], -v[10:11], v[10:11], v[0:1]
	v_fmac_f64_e32 v[10:11], v[24:25], v[8:9]
	v_ldexp_f64 v[8:9], v[10:11], v3
	v_cndmask_b32_e32 v1, v9, v1, vcc
	v_cndmask_b32_e32 v0, v8, v0, vcc
	v_mul_f64 v[8:9], v[6:7], v[0:1]
.LBB73_77:                              ;   in Loop: Header=BB73_73 Depth=1
	s_or_b64 exec, exec, s[12:13]
                                        ; implicit-def: $vgpr0_vgpr1
                                        ; implicit-def: $vgpr6_vgpr7
.LBB73_78:                              ;   in Loop: Header=BB73_73 Depth=1
	s_andn2_saveexec_b64 s[8:9], s[8:9]
	s_cbranch_execz .LBB73_80
; %bb.79:                               ;   in Loop: Header=BB73_73 Depth=1
	v_div_scale_f64 v[8:9], s[12:13], v[0:1], v[0:1], v[6:7]
	v_rcp_f64_e32 v[10:11], v[8:9]
	v_div_scale_f64 v[24:25], vcc, v[6:7], v[0:1], v[6:7]
	v_fma_f64 v[26:27], -v[8:9], v[10:11], 1.0
	v_fmac_f64_e32 v[10:11], v[10:11], v[26:27]
	v_fma_f64 v[26:27], -v[8:9], v[10:11], 1.0
	v_fmac_f64_e32 v[10:11], v[10:11], v[26:27]
	v_mul_f64 v[26:27], v[24:25], v[10:11]
	v_fma_f64 v[8:9], -v[8:9], v[26:27], v[24:25]
	v_div_fmas_f64 v[8:9], v[8:9], v[10:11], v[26:27]
	v_div_fixup_f64 v[6:7], v[8:9], v[0:1], v[6:7]
	v_fma_f64 v[6:7], v[6:7], v[6:7], 1.0
	v_cmp_gt_f64_e32 vcc, s[6:7], v[6:7]
	v_cndmask_b32_e64 v3, 0, 1, vcc
	v_lshlrev_b32_e32 v3, 8, v3
	v_ldexp_f64 v[6:7], v[6:7], v3
	v_rsq_f64_e32 v[8:9], v[6:7]
	v_cndmask_b32_e32 v3, 0, v20, vcc
	v_cmp_class_f64_e32 vcc, v[6:7], v18
	v_mul_f64 v[10:11], v[6:7], v[8:9]
	v_mul_f64 v[8:9], v[8:9], 0.5
	v_fma_f64 v[24:25], -v[8:9], v[10:11], 0.5
	v_fmac_f64_e32 v[10:11], v[10:11], v[24:25]
	v_fma_f64 v[26:27], -v[10:11], v[10:11], v[6:7]
	v_fmac_f64_e32 v[8:9], v[8:9], v[24:25]
	v_fmac_f64_e32 v[10:11], v[26:27], v[8:9]
	v_fma_f64 v[24:25], -v[10:11], v[10:11], v[6:7]
	v_fmac_f64_e32 v[10:11], v[24:25], v[8:9]
	v_ldexp_f64 v[8:9], v[10:11], v3
	v_cndmask_b32_e32 v7, v9, v7, vcc
	v_cndmask_b32_e32 v6, v8, v6, vcc
	v_mul_f64 v[8:9], v[0:1], v[6:7]
.LBB73_80:                              ;   in Loop: Header=BB73_73 Depth=1
	s_or_b64 exec, exec, s[8:9]
	v_cmp_gt_f64_e32 vcc, s[6:7], v[8:9]
	v_cndmask_b32_e64 v0, 0, 1, vcc
	v_lshlrev_b32_e32 v0, 8, v0
	v_ldexp_f64 v[0:1], v[8:9], v0
	v_rsq_f64_e32 v[6:7], v[0:1]
	v_cndmask_b32_e32 v3, 0, v20, vcc
	v_cmp_class_f64_e32 vcc, v[0:1], v18
	v_mul_f64 v[8:9], v[0:1], v[6:7]
	v_mul_f64 v[6:7], v[6:7], 0.5
	v_fma_f64 v[10:11], -v[6:7], v[8:9], 0.5
	v_fmac_f64_e32 v[8:9], v[8:9], v[10:11]
	v_fmac_f64_e32 v[6:7], v[6:7], v[10:11]
	v_fma_f64 v[10:11], -v[8:9], v[8:9], v[0:1]
	v_fmac_f64_e32 v[8:9], v[10:11], v[6:7]
	v_fma_f64 v[10:11], -v[8:9], v[8:9], v[0:1]
	v_fmac_f64_e32 v[8:9], v[10:11], v[6:7]
	v_ldexp_f64 v[6:7], v[8:9], v3
	v_cndmask_b32_e32 v1, v7, v1, vcc
	v_cndmask_b32_e32 v0, v6, v0, vcc
	v_mov_b32_e32 v3, v2
	ds_write_b128 v15, v[0:3]
.LBB73_81:                              ;   in Loop: Header=BB73_73 Depth=1
	s_or_b64 exec, exec, s[4:5]
	v_mov_b32_e32 v0, s20
	s_waitcnt lgkmcnt(0)
	ds_read_b128 v[6:9], v0
	s_waitcnt lgkmcnt(0)
	v_cmp_neq_f64_e32 vcc, 0, v[6:7]
	v_cmp_neq_f64_e64 s[4:5], 0, v[8:9]
	s_or_b64 vcc, vcc, s[4:5]
	s_or_b64 s[4:5], vcc, s[2:3]
	v_cndmask_b32_e32 v1, 0, v9, vcc
	v_cndmask_b32_e32 v0, 0, v8, vcc
	s_xor_b64 s[8:9], s[4:5], -1
	v_cndmask_b32_e32 v7, v19, v7, vcc
	v_cndmask_b32_e32 v6, 0, v6, vcc
	s_and_saveexec_b64 s[4:5], s[8:9]
	s_cbranch_execz .LBB73_85
; %bb.82:                               ;   in Loop: Header=BB73_73 Depth=1
	v_mbcnt_lo_u32_b32 v0, exec_lo, 0
	v_mbcnt_hi_u32_b32 v0, exec_hi, v0
	v_cmp_eq_u32_e32 vcc, 0, v0
	s_and_saveexec_b64 s[8:9], vcc
	s_cbranch_execz .LBB73_84
; %bb.83:                               ;   in Loop: Header=BB73_73 Depth=1
	v_mov_b32_e32 v0, s22
	global_atomic_smin v2, v0, s[18:19]
.LBB73_84:                              ;   in Loop: Header=BB73_73 Depth=1
	s_or_b64 exec, exec, s[8:9]
	v_mov_b32_e32 v6, 0
	v_pk_mov_b32 v[0:1], 0, 0
	v_mov_b32_e32 v7, 0x3ff00000
.LBB73_85:                              ;   in Loop: Header=BB73_73 Depth=1
	s_or_b64 exec, exec, s[4:5]
	v_cmp_lt_u32_e32 vcc, s21, v22
	s_and_saveexec_b64 s[4:5], vcc
	s_cbranch_execz .LBB73_72
; %bb.86:                               ;   in Loop: Header=BB73_73 Depth=1
	v_mul_f64 v[28:29], v[0:1], v[0:1]
	v_fmac_f64_e32 v[28:29], v[6:7], v[6:7]
	ds_read_b128 v[8:11], v14
	ds_read_b128 v[24:27], v14 offset:1152
	v_div_scale_f64 v[30:31], s[8:9], v[28:29], v[28:29], 1.0
	v_rcp_f64_e32 v[32:33], v[30:31]
	s_waitcnt lgkmcnt(0)
	v_add_f64 v[24:25], v[8:9], -v[24:25]
	v_add_f64 v[10:11], v[10:11], -v[26:27]
	v_fma_f64 v[8:9], -v[30:31], v[32:33], 1.0
	v_fmac_f64_e32 v[32:33], v[32:33], v[8:9]
	v_fma_f64 v[8:9], -v[30:31], v[32:33], 1.0
	v_fmac_f64_e32 v[32:33], v[32:33], v[8:9]
	v_div_scale_f64 v[8:9], vcc, 1.0, v[28:29], 1.0
	v_mul_f64 v[26:27], v[8:9], v[32:33]
	v_fma_f64 v[8:9], -v[30:31], v[26:27], v[8:9]
	s_nop 1
	v_div_fmas_f64 v[8:9], v[8:9], v[32:33], v[26:27]
	v_div_fixup_f64 v[26:27], v[8:9], v[28:29], 1.0
	v_mul_f64 v[8:9], v[0:1], v[10:11]
	v_mul_f64 v[0:1], v[0:1], -v[24:25]
	v_fmac_f64_e32 v[8:9], v[24:25], v[6:7]
	v_fmac_f64_e32 v[0:1], v[10:11], v[6:7]
	v_mul_f64 v[8:9], v[26:27], v[8:9]
	v_mul_f64 v[10:11], v[26:27], v[0:1]
	ds_write_b128 v14, v[8:11]
	s_waitcnt lgkmcnt(0)
	ds_read_b128 v[24:27], v17
	ds_read_b128 v[28:31], v23
	s_waitcnt lgkmcnt(0)
	v_fmac_f64_e32 v[28:29], v[8:9], v[24:25]
	v_fmac_f64_e32 v[30:31], v[10:11], v[24:25]
	;; [unrolled: 1-line block ×3, first 2 shown]
	v_fma_f64 v[30:31], v[8:9], -v[26:27], v[30:31]
	ds_write_b128 v23, v[28:31]
	s_branch .LBB73_72
.LBB73_87:
	s_and_saveexec_b64 s[2:3], s[0:1]
	s_cbranch_execz .LBB73_89
; %bb.88:
	v_mad_u64_u32 v[0:1], s[0:1], v5, s41, v[4:5]
	v_add_u32_e32 v2, 0x900, v12
	v_ashrrev_i32_e32 v1, 31, v0
	v_lshlrev_b64 v[4:5], 4, v[0:1]
	ds_read2_b64 v[0:3], v2 offset1:1
	v_mov_b32_e32 v6, s25
	v_add_co_u32_e32 v4, vcc, s24, v4
	v_addc_co_u32_e32 v5, vcc, v6, v5, vcc
	s_waitcnt lgkmcnt(0)
	global_store_dwordx4 v[4:5], v[0:3], off
.LBB73_89:
	s_or_b64 exec, exec, s[2:3]
	v_or_b32_e32 v0, v13, v22
	v_cmp_eq_u32_e64 s[0:1], 0, v0
.LBB73_90:
	s_and_saveexec_b64 s[2:3], s[0:1]
	s_cbranch_execnz .LBB73_98
.LBB73_91:
	s_endpgm
.LBB73_92:
	s_mov_b64 s[0:1], 0
	s_cbranch_execz .LBB73_90
; %bb.93:
	v_or_b32_e32 v0, v13, v22
	v_cmp_eq_u32_e32 vcc, 0, v0
	s_and_saveexec_b64 s[2:3], vcc
	s_cbranch_execz .LBB73_97
; %bb.94:
	v_mbcnt_lo_u32_b32 v0, exec_lo, 0
	v_mbcnt_hi_u32_b32 v0, exec_hi, v0
	v_cmp_eq_u32_e32 vcc, 0, v0
	s_and_saveexec_b64 s[4:5], vcc
	s_cbranch_execz .LBB73_96
; %bb.95:
	s_add_i32 s6, s16, s17
	v_mov_b32_e32 v0, 0
	v_mov_b32_e32 v1, s6
	global_atomic_smin v0, v1, s[18:19]
.LBB73_96:
	s_or_b64 exec, exec, s[4:5]
	s_or_b64 s[0:1], s[0:1], exec
.LBB73_97:
	s_or_b64 exec, exec, s[2:3]
	s_and_saveexec_b64 s[2:3], s[0:1]
	s_cbranch_execz .LBB73_91
.LBB73_98:
	s_add_u32 s0, s14, s10
	s_addc_u32 s1, s15, s11
	v_mov_b32_e32 v0, 0
	v_mov_b32_e32 v1, 1
	s_waitcnt vmcnt(0)
	global_store_dword v0, v1, s[0:1]
	s_endpgm
	.section	.rodata,"a",@progbits
	.p2align	6, 0x0
	.amdhsa_kernel _ZN9rocsparseL17bsric0_2_8_kernelILi64ELi128ELi8E21rocsparse_complex_numIdEEEv20rocsparse_direction_iiPKiS5_PT2_S5_PiS5_S8_21rocsparse_index_base_
		.amdhsa_group_segment_fixed_size 6144
		.amdhsa_private_segment_fixed_size 0
		.amdhsa_kernarg_size 76
		.amdhsa_user_sgpr_count 6
		.amdhsa_user_sgpr_private_segment_buffer 1
		.amdhsa_user_sgpr_dispatch_ptr 0
		.amdhsa_user_sgpr_queue_ptr 0
		.amdhsa_user_sgpr_kernarg_segment_ptr 1
		.amdhsa_user_sgpr_dispatch_id 0
		.amdhsa_user_sgpr_flat_scratch_init 0
		.amdhsa_user_sgpr_kernarg_preload_length 0
		.amdhsa_user_sgpr_kernarg_preload_offset 0
		.amdhsa_user_sgpr_private_segment_size 0
		.amdhsa_uses_dynamic_stack 0
		.amdhsa_system_sgpr_private_segment_wavefront_offset 0
		.amdhsa_system_sgpr_workgroup_id_x 1
		.amdhsa_system_sgpr_workgroup_id_y 0
		.amdhsa_system_sgpr_workgroup_id_z 0
		.amdhsa_system_sgpr_workgroup_info 0
		.amdhsa_system_vgpr_workitem_id 1
		.amdhsa_next_free_vgpr 72
		.amdhsa_next_free_sgpr 51
		.amdhsa_accum_offset 72
		.amdhsa_reserve_vcc 1
		.amdhsa_reserve_flat_scratch 0
		.amdhsa_float_round_mode_32 0
		.amdhsa_float_round_mode_16_64 0
		.amdhsa_float_denorm_mode_32 3
		.amdhsa_float_denorm_mode_16_64 3
		.amdhsa_dx10_clamp 1
		.amdhsa_ieee_mode 1
		.amdhsa_fp16_overflow 0
		.amdhsa_tg_split 0
		.amdhsa_exception_fp_ieee_invalid_op 0
		.amdhsa_exception_fp_denorm_src 0
		.amdhsa_exception_fp_ieee_div_zero 0
		.amdhsa_exception_fp_ieee_overflow 0
		.amdhsa_exception_fp_ieee_underflow 0
		.amdhsa_exception_fp_ieee_inexact 0
		.amdhsa_exception_int_div_zero 0
	.end_amdhsa_kernel
	.section	.text._ZN9rocsparseL17bsric0_2_8_kernelILi64ELi128ELi8E21rocsparse_complex_numIdEEEv20rocsparse_direction_iiPKiS5_PT2_S5_PiS5_S8_21rocsparse_index_base_,"axG",@progbits,_ZN9rocsparseL17bsric0_2_8_kernelILi64ELi128ELi8E21rocsparse_complex_numIdEEEv20rocsparse_direction_iiPKiS5_PT2_S5_PiS5_S8_21rocsparse_index_base_,comdat
.Lfunc_end73:
	.size	_ZN9rocsparseL17bsric0_2_8_kernelILi64ELi128ELi8E21rocsparse_complex_numIdEEEv20rocsparse_direction_iiPKiS5_PT2_S5_PiS5_S8_21rocsparse_index_base_, .Lfunc_end73-_ZN9rocsparseL17bsric0_2_8_kernelILi64ELi128ELi8E21rocsparse_complex_numIdEEEv20rocsparse_direction_iiPKiS5_PT2_S5_PiS5_S8_21rocsparse_index_base_
                                        ; -- End function
	.section	.AMDGPU.csdata,"",@progbits
; Kernel info:
; codeLenInByte = 5168
; NumSgprs: 55
; NumVgprs: 72
; NumAgprs: 0
; TotalNumVgprs: 72
; ScratchSize: 0
; MemoryBound: 1
; FloatMode: 240
; IeeeMode: 1
; LDSByteSize: 6144 bytes/workgroup (compile time only)
; SGPRBlocks: 6
; VGPRBlocks: 8
; NumSGPRsForWavesPerEU: 55
; NumVGPRsForWavesPerEU: 72
; AccumOffset: 72
; Occupancy: 3
; WaveLimiterHint : 1
; COMPUTE_PGM_RSRC2:SCRATCH_EN: 0
; COMPUTE_PGM_RSRC2:USER_SGPR: 6
; COMPUTE_PGM_RSRC2:TRAP_HANDLER: 0
; COMPUTE_PGM_RSRC2:TGID_X_EN: 1
; COMPUTE_PGM_RSRC2:TGID_Y_EN: 0
; COMPUTE_PGM_RSRC2:TGID_Z_EN: 0
; COMPUTE_PGM_RSRC2:TIDIG_COMP_CNT: 1
; COMPUTE_PGM_RSRC3_GFX90A:ACCUM_OFFSET: 17
; COMPUTE_PGM_RSRC3_GFX90A:TG_SPLIT: 0
	.section	.text._ZN9rocsparseL18bsric0_9_16_kernelILi64ELi128ELi16E21rocsparse_complex_numIdEEEv20rocsparse_direction_iiPKiS5_PT2_S5_PiS5_S8_21rocsparse_index_base_,"axG",@progbits,_ZN9rocsparseL18bsric0_9_16_kernelILi64ELi128ELi16E21rocsparse_complex_numIdEEEv20rocsparse_direction_iiPKiS5_PT2_S5_PiS5_S8_21rocsparse_index_base_,comdat
	.globl	_ZN9rocsparseL18bsric0_9_16_kernelILi64ELi128ELi16E21rocsparse_complex_numIdEEEv20rocsparse_direction_iiPKiS5_PT2_S5_PiS5_S8_21rocsparse_index_base_ ; -- Begin function _ZN9rocsparseL18bsric0_9_16_kernelILi64ELi128ELi16E21rocsparse_complex_numIdEEEv20rocsparse_direction_iiPKiS5_PT2_S5_PiS5_S8_21rocsparse_index_base_
	.p2align	8
	.type	_ZN9rocsparseL18bsric0_9_16_kernelILi64ELi128ELi16E21rocsparse_complex_numIdEEEv20rocsparse_direction_iiPKiS5_PT2_S5_PiS5_S8_21rocsparse_index_base_,@function
_ZN9rocsparseL18bsric0_9_16_kernelILi64ELi128ELi16E21rocsparse_complex_numIdEEEv20rocsparse_direction_iiPKiS5_PT2_S5_PiS5_S8_21rocsparse_index_base_: ; @_ZN9rocsparseL18bsric0_9_16_kernelILi64ELi128ELi16E21rocsparse_complex_numIdEEEv20rocsparse_direction_iiPKiS5_PT2_S5_PiS5_S8_21rocsparse_index_base_
; %bb.0:
	s_load_dwordx8 s[8:15], s[4:5], 0x28
	s_mov_b32 s7, 0
	s_lshl_b64 s[0:1], s[6:7], 2
	v_and_b32_e32 v11, 0x3ff, v0
	v_bfe_u32 v10, v0, 10, 10
	s_waitcnt lgkmcnt(0)
	s_add_u32 s0, s12, s0
	s_addc_u32 s1, s13, s1
	s_load_dword s20, s[0:1], 0x0
	s_waitcnt lgkmcnt(0)
	s_ashr_i32 s21, s20, 31
	s_lshl_b64 s[12:13], s[20:21], 2
	s_add_u32 s0, s8, s12
	s_addc_u32 s1, s9, s13
	s_load_dword s33, s[0:1], 0x0
	s_load_dword s21, s[4:5], 0x48
	s_waitcnt lgkmcnt(0)
	s_cmp_lg_u32 s33, -1
	s_cbranch_scc0 .LBB74_149
; %bb.1:
	s_load_dwordx4 s[16:19], s[4:5], 0x10
	v_lshlrev_b32_e32 v1, 2, v10
	v_add_u32_e32 v2, v1, v11
	s_waitcnt lgkmcnt(0)
	s_add_u32 s0, s16, s12
	s_addc_u32 s1, s17, s13
	s_load_dword s28, s[0:1], 0x0
	s_waitcnt lgkmcnt(0)
	s_sub_i32 s45, s28, s21
	v_add_u32_e32 v0, s45, v2
	v_cmp_ge_i32_e32 vcc, s33, v0
	s_and_saveexec_b64 s[2:3], vcc
	s_cbranch_execz .LBB74_16
; %bb.2:
	v_add_u32_e32 v2, s28, v2
	v_subrev_u32_e32 v2, s21, v2
	v_add_u32_e32 v2, 64, v2
	s_add_i32 s0, s33, 1
	v_max_i32_e32 v2, s0, v2
	v_not_b32_e32 v3, v11
	v_add3_u32 v2, v2, s21, v3
	v_add_u32_e32 v1, s28, v1
	v_sub_u32_e32 v1, v2, v1
	s_movk_i32 s0, 0x640
	v_cmp_gt_u32_e32 vcc, s0, v1
	s_movk_i32 s0, 0x63f
	v_cmp_lt_u32_e64 s[0:1], s0, v1
	s_and_saveexec_b64 s[6:7], s[0:1]
	s_cbranch_execz .LBB74_13
; %bb.3:
	v_and_b32_e32 v2, 0xffffffc0, v1
	v_add_u32_e32 v2, v0, v2
	v_cmp_ge_i32_e64 s[0:1], v2, v0
	s_mov_b64 s[24:25], -1
	s_and_saveexec_b64 s[22:23], s[0:1]
	s_cbranch_execz .LBB74_12
; %bb.4:
	v_lshrrev_b32_e32 v14, 6, v1
	v_add_u32_e32 v2, -1, v14
	v_add_u32_e32 v1, 64, v0
	v_lshrrev_b32_e32 v3, 1, v2
	v_add_u32_e32 v15, 1, v3
	v_cmp_lt_u32_e64 s[0:1], 13, v2
	v_pk_mov_b32 v[2:3], v[0:1], v[0:1] op_sel:[0,1]
	s_and_saveexec_b64 s[24:25], s[0:1]
	s_cbranch_execz .LBB74_8
; %bb.5:
	v_and_b32_e32 v16, -8, v15
	s_mov_b64 s[26:27], 0
	v_mov_b32_e32 v17, s19
	v_pk_mov_b32 v[2:3], v[0:1], v[0:1] op_sel:[0,1]
.LBB74_6:                               ; =>This Inner Loop Header: Depth=1
	v_ashrrev_i32_e32 v21, 31, v2
	v_mov_b32_e32 v20, v2
	v_lshlrev_b64 v[20:21], 2, v[20:21]
	v_ashrrev_i32_e32 v19, 31, v3
	v_mov_b32_e32 v18, v3
	v_add_co_u32_e64 v20, s[0:1], s18, v20
	v_add_u32_e32 v4, 0x80, v2
	v_lshlrev_b64 v[18:19], 2, v[18:19]
	v_addc_co_u32_e64 v21, s[0:1], v17, v21, s[0:1]
	v_ashrrev_i32_e32 v5, 31, v4
	v_add_co_u32_e64 v18, s[0:1], s18, v18
	v_add_u32_e32 v6, 0x80, v3
	v_addc_co_u32_e64 v19, s[0:1], v17, v19, s[0:1]
	v_lshlrev_b64 v[42:43], 2, v[4:5]
	v_ashrrev_i32_e32 v7, 31, v6
	global_load_dword v1, v[20:21], off
	global_load_dword v5, v[18:19], off
	v_add_co_u32_e64 v18, s[0:1], s18, v42
	v_add_u32_e32 v8, 0x100, v2
	v_lshlrev_b64 v[44:45], 2, v[6:7]
	v_addc_co_u32_e64 v19, s[0:1], v17, v43, s[0:1]
	v_ashrrev_i32_e32 v9, 31, v8
	v_add_co_u32_e64 v20, s[0:1], s18, v44
	v_add_u32_e32 v12, 0x100, v3
	v_lshlrev_b64 v[46:47], 2, v[8:9]
	v_addc_co_u32_e64 v21, s[0:1], v17, v45, s[0:1]
	v_ashrrev_i32_e32 v13, 31, v12
	;; [unrolled: 5-line block ×12, first 2 shown]
	v_add_co_u32_e64 v62, s[0:1], s18, v66
	v_lshlrev_b64 v[68:69], 2, v[40:41]
	v_addc_co_u32_e64 v63, s[0:1], v17, v67, s[0:1]
	v_add_co_u32_e64 v64, s[0:1], s18, v68
	v_addc_co_u32_e64 v65, s[0:1], v17, v69, s[0:1]
	global_load_dword v7, v[20:21], off
	global_load_dword v9, v[18:19], off
	;; [unrolled: 1-line block ×14, first 2 shown]
	v_subrev_u32_e32 v19, s45, v2
	v_add_u32_e32 v16, -8, v16
	v_subrev_u32_e32 v18, s45, v3
	v_lshlrev_b32_e32 v19, 2, v19
	v_subrev_u32_e32 v4, s45, v4
	v_cmp_eq_u32_e64 s[0:1], 0, v16
	s_waitcnt vmcnt(14)
	v_subrev_u32_e32 v5, s21, v5
	v_subrev_u32_e32 v1, s21, v1
	v_add_u32_e32 v3, 0x400, v3
	v_add_u32_e32 v2, 0x400, v2
	v_lshlrev_b32_e32 v18, 2, v18
	v_subrev_u32_e32 v6, s45, v6
	v_subrev_u32_e32 v12, s45, v12
	;; [unrolled: 1-line block ×13, first 2 shown]
	v_lshlrev_b32_e32 v4, 2, v4
	s_or_b64 s[26:27], s[0:1], s[26:27]
	ds_write_b32 v19, v1 offset:18432
	ds_write_b32 v18, v5 offset:18432
	v_lshlrev_b32_e32 v6, 2, v6
	v_lshlrev_b32_e32 v8, 2, v8
	;; [unrolled: 1-line block ×13, first 2 shown]
	s_waitcnt vmcnt(13)
	v_subrev_u32_e32 v1, s21, v7
	s_waitcnt vmcnt(12)
	v_subrev_u32_e32 v5, s21, v9
	;; [unrolled: 2-line block ×14, first 2 shown]
	ds_write_b32 v4, v5 offset:18432
	ds_write_b32 v6, v1 offset:18432
	;; [unrolled: 1-line block ×14, first 2 shown]
	s_andn2_b64 exec, exec, s[26:27]
	s_cbranch_execnz .LBB74_6
; %bb.7:
	s_or_b64 exec, exec, s[26:27]
.LBB74_8:
	s_or_b64 exec, exec, s[24:25]
	v_and_b32_e32 v1, 7, v15
	v_cmp_ne_u32_e64 s[0:1], 0, v1
	s_and_saveexec_b64 s[24:25], s[0:1]
	s_cbranch_execz .LBB74_11
; %bb.9:
	s_mov_b64 s[26:27], 0
	v_mov_b32_e32 v4, s19
.LBB74_10:                              ; =>This Inner Loop Header: Depth=1
	v_ashrrev_i32_e32 v9, 31, v2
	v_mov_b32_e32 v8, v2
	v_lshlrev_b64 v[8:9], 2, v[8:9]
	v_ashrrev_i32_e32 v7, 31, v3
	v_mov_b32_e32 v6, v3
	v_add_co_u32_e64 v8, s[0:1], s18, v8
	v_lshlrev_b64 v[6:7], 2, v[6:7]
	v_addc_co_u32_e64 v9, s[0:1], v4, v9, s[0:1]
	v_add_co_u32_e64 v6, s[0:1], s18, v6
	v_addc_co_u32_e64 v7, s[0:1], v4, v7, s[0:1]
	global_load_dword v5, v[6:7], off
	global_load_dword v12, v[8:9], off
	v_add_u32_e32 v1, -1, v1
	v_subrev_u32_e32 v7, s45, v2
	v_cmp_eq_u32_e64 s[0:1], 0, v1
	v_subrev_u32_e32 v6, s45, v3
	v_add_u32_e32 v3, 0x80, v3
	v_add_u32_e32 v2, 0x80, v2
	v_lshlrev_b32_e32 v7, 2, v7
	s_or_b64 s[26:27], s[0:1], s[26:27]
	v_lshlrev_b32_e32 v6, 2, v6
	s_waitcnt vmcnt(1)
	v_subrev_u32_e32 v5, s21, v5
	s_waitcnt vmcnt(0)
	v_subrev_u32_e32 v8, s21, v12
	ds_write_b32 v7, v8 offset:18432
	ds_write_b32 v6, v5 offset:18432
	s_andn2_b64 exec, exec, s[26:27]
	s_cbranch_execnz .LBB74_10
.LBB74_11:
	s_or_b64 exec, exec, s[24:25]
	v_add_u32_e32 v1, 1, v14
	v_and_b32_e32 v2, 0x7fffffe, v1
	v_cmp_ne_u32_e64 s[0:1], v1, v2
	v_lshl_add_u32 v0, v2, 6, v0
	s_orn2_b64 s[24:25], s[0:1], exec
.LBB74_12:
	s_or_b64 exec, exec, s[22:23]
	s_andn2_b64 s[0:1], vcc, exec
	s_and_b64 s[22:23], s[24:25], exec
	s_or_b64 vcc, s[0:1], s[22:23]
.LBB74_13:
	s_or_b64 exec, exec, s[6:7]
	s_and_b64 exec, exec, vcc
	s_cbranch_execz .LBB74_16
; %bb.14:
	v_add_u32_e32 v1, s21, v0
	v_subrev_u32_e32 v1, s28, v1
	v_mov_b32_e32 v2, 0x4800
	v_lshl_add_u32 v2, v1, 2, v2
	s_mov_b64 s[0:1], 0
	v_mov_b32_e32 v3, s19
.LBB74_15:                              ; =>This Inner Loop Header: Depth=1
	v_ashrrev_i32_e32 v1, 31, v0
	v_lshlrev_b64 v[4:5], 2, v[0:1]
	v_add_co_u32_e32 v4, vcc, s18, v4
	v_addc_co_u32_e32 v5, vcc, v3, v5, vcc
	global_load_dword v1, v[4:5], off
	v_add_u32_e32 v0, 64, v0
	v_cmp_lt_i32_e32 vcc, s33, v0
	s_or_b64 s[0:1], vcc, s[0:1]
	s_waitcnt vmcnt(0)
	v_subrev_u32_e32 v1, s21, v1
	ds_write_b32 v2, v1
	v_add_u32_e32 v2, 0x100, v2
	s_andn2_b64 exec, exec, s[0:1]
	s_cbranch_execnz .LBB74_15
.LBB74_16:
	s_or_b64 exec, exec, s[2:3]
	s_load_dwordx2 s[22:23], s[4:5], 0x20
	v_cmp_gt_u32_e32 vcc, 16, v11
	v_lshlrev_b32_e32 v22, 4, v11
	s_and_saveexec_b64 s[0:1], vcc
	s_cbranch_execz .LBB74_19
; %bb.17:
	v_mul_u32_u24_e32 v0, 0x110, v10
	s_movk_i32 s2, 0x3300
	v_add3_u32 v5, v0, v22, s2
	v_mov_b32_e32 v0, 0
	v_add_u32_e32 v4, -4, v11
	s_mov_b64 s[2:3], 0
	v_mov_b32_e32 v1, v0
	v_mov_b32_e32 v2, v0
	;; [unrolled: 1-line block ×3, first 2 shown]
.LBB74_18:                              ; =>This Inner Loop Header: Depth=1
	v_add_u32_e32 v4, 4, v4
	v_cmp_lt_u32_e32 vcc, 11, v4
	ds_write_b128 v5, v[0:3]
	s_or_b64 s[2:3], vcc, s[2:3]
	v_add_u32_e32 v5, 64, v5
	s_andn2_b64 exec, exec, s[2:3]
	s_cbranch_execnz .LBB74_18
.LBB74_19:
	s_or_b64 exec, exec, s[0:1]
	s_load_dword s44, s[4:5], 0x8
	s_load_dword s46, s[4:5], 0x0
	s_cmp_ge_i32 s45, s33
	s_waitcnt lgkmcnt(0)
	v_cmp_gt_i32_e64 s[0:1], s44, v11
	s_cbranch_scc1 .LBB74_104
; %bb.20:
	v_or_b32_e32 v0, v11, v10
	s_mul_i32 s6, s44, s45
	s_cmp_lg_u32 s46, 0
	v_cmp_ne_u32_e64 s[4:5], 0, v0
	s_movk_i32 s48, 0x110
	v_add_u32_e32 v0, s6, v10
	s_cselect_b64 s[24:25], -1, 0
	s_cmp_gt_i32 s44, 0
	v_mad_u32_u24 v24, v10, s48, v22
	v_mul_lo_u32 v27, s44, v0
	v_mov_b32_e32 v0, 0x2200
	v_cmp_gt_i32_e64 s[2:3], s44, v10
	s_mul_i32 s47, s44, s44
	v_mul_lo_u32 v23, v10, s44
	v_add_u32_e32 v25, 0x1100, v24
	v_mul_lo_u32 v26, v11, s44
	s_cselect_b64 s[26:27], -1, 0
	s_lshl_b32 s49, s44, 2
	v_mad_u32_u24 v28, v10, s48, v0
	v_mad_u32_u24 v29, v11, s48, v0
	v_add_u32_e32 v30, 0x3300, v24
	v_add_u32_e32 v31, 0x2200, v24
	v_mov_b32_e32 v0, 0
	v_mul_u32_u24_e32 v32, 0x110, v10
	v_mov_b32_e32 v33, 0x3ff00000
	s_mov_b32 s28, s45
	s_branch .LBB74_22
.LBB74_21:                              ;   in Loop: Header=BB74_22 Depth=1
	s_or_b64 exec, exec, s[6:7]
	s_add_i32 s28, s28, 1
	s_cmp_ge_i32 s28, s33
	s_waitcnt vmcnt(0)
	buffer_wbinvl1_vol
	v_add_u32_e32 v27, s47, v27
	s_cselect_b64 s[6:7], -1, 0
	s_and_b64 vcc, exec, s[6:7]
	s_cbranch_vccnz .LBB74_104
.LBB74_22:                              ; =>This Loop Header: Depth=1
                                        ;     Child Loop BB74_26 Depth 2
                                        ;     Child Loop BB74_39 Depth 2
	;; [unrolled: 1-line block ×5, first 2 shown]
                                        ;       Child Loop BB74_71 Depth 3
                                        ;     Child Loop BB74_84 Depth 2
                                        ;       Child Loop BB74_90 Depth 3
                                        ;       Child Loop BB74_93 Depth 3
                                        ;     Child Loop BB74_98 Depth 2
	s_ashr_i32 s29, s28, 31
	s_lshl_b64 s[6:7], s[28:29], 2
	s_add_u32 s6, s18, s6
	s_addc_u32 s7, s19, s7
	s_load_dword s50, s[6:7], 0x0
	s_waitcnt lgkmcnt(0)
	s_sub_i32 s30, s50, s21
	s_ashr_i32 s31, s30, 31
	s_lshl_b64 s[6:7], s[30:31], 2
	s_add_u32 s34, s8, s6
	s_addc_u32 s35, s9, s7
	s_load_dword s31, s[34:35], 0x0
	s_waitcnt lgkmcnt(0)
	s_cmp_eq_u32 s31, -1
	s_cbranch_scc1 .LBB74_103
; %bb.23:                               ;   in Loop: Header=BB74_22 Depth=1
	s_add_u32 s34, s16, s6
	s_addc_u32 s35, s17, s7
	s_load_dword s51, s[34:35], 0x0
	s_mul_i32 s29, s28, s44
	s_and_saveexec_b64 s[34:35], s[0:1]
	s_cbranch_execz .LBB74_36
; %bb.24:                               ;   in Loop: Header=BB74_22 Depth=1
	s_mov_b64 s[36:37], 0
	v_mov_b32_e32 v8, v25
	v_mov_b32_e32 v9, v11
	s_branch .LBB74_26
.LBB74_25:                              ;   in Loop: Header=BB74_26 Depth=2
	s_or_b64 exec, exec, s[40:41]
	v_add_u32_e32 v9, 4, v9
	s_waitcnt vmcnt(0)
	ds_write_b128 v8, v[2:5] offset:4352
	v_mov_b32_e32 v1, v0
	v_mov_b32_e32 v2, v0
	;; [unrolled: 1-line block ×3, first 2 shown]
	v_cmp_le_i32_e32 vcc, s44, v9
	ds_write_b128 v8, v[0:3]
	s_or_b64 s[36:37], vcc, s[36:37]
	v_add_u32_e32 v8, 64, v8
	s_andn2_b64 exec, exec, s[36:37]
	s_cbranch_execz .LBB74_36
.LBB74_26:                              ;   Parent Loop BB74_22 Depth=1
                                        ; =>  This Inner Loop Header: Depth=2
	s_and_b64 vcc, exec, s[24:25]
	s_cbranch_vccz .LBB74_31
; %bb.27:                               ;   in Loop: Header=BB74_26 Depth=2
	s_mov_b64 s[40:41], 0
	s_mov_b64 s[38:39], 0
                                        ; implicit-def: $vgpr6
	s_and_saveexec_b64 s[42:43], s[2:3]
	s_xor_b64 s[42:43], exec, s[42:43]
; %bb.28:                               ;   in Loop: Header=BB74_26 Depth=2
	v_add_u32_e32 v1, s29, v9
	s_mov_b64 s[38:39], exec
	v_mad_u64_u32 v[6:7], s[52:53], v1, s44, v[10:11]
; %bb.29:                               ;   in Loop: Header=BB74_26 Depth=2
	s_or_b64 exec, exec, s[42:43]
	s_and_b64 vcc, exec, s[40:41]
	s_cbranch_vccnz .LBB74_32
.LBB74_30:                              ;   in Loop: Header=BB74_26 Depth=2
	v_pk_mov_b32 v[2:3], s[40:41], s[40:41] op_sel:[0,1]
	v_pk_mov_b32 v[4:5], s[40:41], s[40:41] op_sel:[0,1]
	s_and_saveexec_b64 s[40:41], s[38:39]
	s_cbranch_execz .LBB74_25
	s_branch .LBB74_35
.LBB74_31:                              ;   in Loop: Header=BB74_26 Depth=2
	s_mov_b64 s[40:41], -1
	s_mov_b64 s[38:39], 0
                                        ; implicit-def: $vgpr6
	s_cbranch_execz .LBB74_30
.LBB74_32:                              ;   in Loop: Header=BB74_26 Depth=2
                                        ; implicit-def: $vgpr6
	s_and_saveexec_b64 s[40:41], s[2:3]
; %bb.33:                               ;   in Loop: Header=BB74_26 Depth=2
	v_add_u32_e32 v6, v27, v9
	s_or_b64 s[38:39], s[38:39], exec
; %bb.34:                               ;   in Loop: Header=BB74_26 Depth=2
	s_or_b64 exec, exec, s[40:41]
	s_mov_b64 s[40:41], 0
	v_pk_mov_b32 v[2:3], s[40:41], s[40:41] op_sel:[0,1]
	v_pk_mov_b32 v[4:5], s[40:41], s[40:41] op_sel:[0,1]
	s_and_saveexec_b64 s[40:41], s[38:39]
	s_cbranch_execz .LBB74_25
.LBB74_35:                              ;   in Loop: Header=BB74_26 Depth=2
	v_ashrrev_i32_e32 v7, 31, v6
	v_lshlrev_b64 v[2:3], 4, v[6:7]
	v_mov_b32_e32 v1, s23
	v_add_co_u32_e32 v2, vcc, s22, v2
	v_addc_co_u32_e32 v3, vcc, v1, v3, vcc
	global_load_dwordx4 v[2:5], v[2:3], off
	s_branch .LBB74_25
.LBB74_36:                              ;   in Loop: Header=BB74_22 Depth=1
	s_or_b64 exec, exec, s[34:35]
; %bb.37:                               ;   in Loop: Header=BB74_22 Depth=1
	ds_read_b32 v1, v0 offset:18432
	s_waitcnt lgkmcnt(0)
	s_sub_i32 s34, s51, s21
	s_cmp_le_i32 s34, s31
	s_cselect_b64 s[36:37], -1, 0
	s_mov_b32 s40, 0
	v_cmp_ge_i32_e32 vcc, s30, v1
	s_and_b64 s[36:37], s[36:37], vcc
	s_andn2_b64 vcc, exec, s[36:37]
	s_cbranch_vccnz .LBB74_49
; %bb.38:                               ;   in Loop: Header=BB74_22 Depth=1
	s_mov_b32 s38, 0
	s_mov_b32 s39, 0
.LBB74_39:                              ;   Parent Loop BB74_22 Depth=1
                                        ; =>  This Inner Loop Header: Depth=2
	s_ashr_i32 s35, s34, 31
	s_lshl_b64 s[36:37], s[34:35], 2
	s_add_u32 s36, s18, s36
	s_addc_u32 s37, s19, s37
	s_load_dword s35, s[36:37], 0x0
	s_lshl_b32 s36, s39, 2
	v_mov_b32_e32 v1, s36
	ds_read_b32 v1, v1 offset:18432
	s_mov_b64 s[36:37], -1
	s_waitcnt lgkmcnt(0)
	s_sub_i32 s43, s35, s21
                                        ; implicit-def: $sgpr40
                                        ; implicit-def: $sgpr42
                                        ; implicit-def: $sgpr41
	v_cmp_ge_i32_e32 vcc, s43, v1
	v_readfirstlane_b32 s35, v1
	s_cbranch_vccz .LBB74_45
; %bb.40:                               ;   in Loop: Header=BB74_39 Depth=2
	s_cmp_le_i32 s43, s35
                                        ; implicit-def: $sgpr40
                                        ; implicit-def: $sgpr42
                                        ; implicit-def: $sgpr41
	s_cbranch_scc0 .LBB74_42
; %bb.41:                               ;   in Loop: Header=BB74_39 Depth=2
	s_add_i32 s36, s39, s45
	s_mul_i32 s36, s36, s47
	s_lshl_b32 s37, s38, 2
	v_mov_b32_e32 v2, s36
	s_mul_i32 s36, s34, s47
	v_mov_b32_e32 v1, s37
	v_mov_b32_e32 v3, s36
	ds_write2st64_b32 v1, v3, v2 offset0:68 offset1:70
	s_add_i32 s41, s39, 1
	s_add_i32 s42, s34, 1
	;; [unrolled: 1-line block ×3, first 2 shown]
	s_mov_b64 s[36:37], 0
.LBB74_42:                              ;   in Loop: Header=BB74_39 Depth=2
	s_andn2_b64 vcc, exec, s[36:37]
	s_cbranch_vccnz .LBB74_44
; %bb.43:                               ;   in Loop: Header=BB74_39 Depth=2
	s_add_i32 s41, s39, 1
	s_mov_b32 s40, s38
	s_mov_b32 s42, s34
.LBB74_44:                              ;   in Loop: Header=BB74_39 Depth=2
	s_mov_b64 s[36:37], 0
.LBB74_45:                              ;   in Loop: Header=BB74_39 Depth=2
	s_andn2_b64 vcc, exec, s[36:37]
	s_cbranch_vccnz .LBB74_47
; %bb.46:                               ;   in Loop: Header=BB74_39 Depth=2
	s_add_i32 s42, s34, 1
	s_mov_b32 s41, s39
	s_mov_b32 s40, s38
.LBB74_47:                              ;   in Loop: Header=BB74_39 Depth=2
	s_cmp_le_i32 s42, s31
	s_cselect_b64 s[36:37], -1, 0
	s_cmp_le_i32 s35, s30
	s_cselect_b64 s[34:35], -1, 0
	s_and_b64 s[34:35], s[36:37], s[34:35]
	s_and_b64 vcc, exec, s[34:35]
	s_cbranch_vccz .LBB74_49
; %bb.48:                               ;   in Loop: Header=BB74_39 Depth=2
	s_mov_b32 s38, s40
	s_mov_b32 s34, s42
	s_mov_b32 s39, s41
	s_branch .LBB74_39
.LBB74_49:                              ;   in Loop: Header=BB74_22 Depth=1
	s_add_u32 s6, s10, s6
	s_addc_u32 s7, s11, s7
	s_waitcnt lgkmcnt(0)
.LBB74_50:                              ;   Parent Loop BB74_22 Depth=1
                                        ; =>  This Inner Loop Header: Depth=2
	global_load_dword v1, v0, s[6:7] glc
	s_waitcnt vmcnt(0)
	v_cmp_eq_u32_e32 vcc, 0, v1
	s_cbranch_vccnz .LBB74_50
; %bb.51:                               ;   in Loop: Header=BB74_22 Depth=1
	buffer_wbinvl1_vol
	s_and_saveexec_b64 s[6:7], s[0:1]
	s_cbranch_execz .LBB74_64
; %bb.52:                               ;   in Loop: Header=BB74_22 Depth=1
	s_mul_i32 s41, s31, s44
	v_add_u32_e32 v1, s41, v10
	v_mul_lo_u32 v1, v1, s44
	s_mov_b64 s[30:31], 0
	v_mov_b32_e32 v8, v24
	v_mov_b32_e32 v9, v11
	s_branch .LBB74_54
.LBB74_53:                              ;   in Loop: Header=BB74_54 Depth=2
	s_or_b64 exec, exec, s[36:37]
	v_add_u32_e32 v9, 4, v9
	v_cmp_le_i32_e32 vcc, s44, v9
	s_waitcnt vmcnt(0)
	ds_write_b128 v8, v[2:5]
	s_or_b64 s[30:31], vcc, s[30:31]
	v_add_u32_e32 v8, 64, v8
	s_andn2_b64 exec, exec, s[30:31]
	s_cbranch_execz .LBB74_64
.LBB74_54:                              ;   Parent Loop BB74_22 Depth=1
                                        ; =>  This Inner Loop Header: Depth=2
	s_and_b64 vcc, exec, s[24:25]
	s_cbranch_vccz .LBB74_59
; %bb.55:                               ;   in Loop: Header=BB74_54 Depth=2
	s_mov_b64 s[36:37], 0
	s_mov_b64 s[34:35], 0
                                        ; implicit-def: $vgpr6
	s_and_saveexec_b64 s[38:39], s[2:3]
	s_xor_b64 s[38:39], exec, s[38:39]
; %bb.56:                               ;   in Loop: Header=BB74_54 Depth=2
	v_add_u32_e32 v2, s41, v9
	s_mov_b64 s[34:35], exec
	v_mad_u64_u32 v[6:7], s[42:43], v2, s44, v[10:11]
; %bb.57:                               ;   in Loop: Header=BB74_54 Depth=2
	s_or_b64 exec, exec, s[38:39]
	s_and_b64 vcc, exec, s[36:37]
	s_cbranch_vccnz .LBB74_60
.LBB74_58:                              ;   in Loop: Header=BB74_54 Depth=2
	v_pk_mov_b32 v[2:3], s[36:37], s[36:37] op_sel:[0,1]
	v_pk_mov_b32 v[4:5], s[36:37], s[36:37] op_sel:[0,1]
	s_and_saveexec_b64 s[36:37], s[34:35]
	s_cbranch_execz .LBB74_53
	s_branch .LBB74_63
.LBB74_59:                              ;   in Loop: Header=BB74_54 Depth=2
	s_mov_b64 s[36:37], -1
	s_mov_b64 s[34:35], 0
                                        ; implicit-def: $vgpr6
	s_cbranch_execz .LBB74_58
.LBB74_60:                              ;   in Loop: Header=BB74_54 Depth=2
                                        ; implicit-def: $vgpr6
	s_and_saveexec_b64 s[36:37], s[2:3]
; %bb.61:                               ;   in Loop: Header=BB74_54 Depth=2
	v_add_u32_e32 v6, v1, v9
	s_or_b64 s[34:35], s[34:35], exec
; %bb.62:                               ;   in Loop: Header=BB74_54 Depth=2
	s_or_b64 exec, exec, s[36:37]
	s_mov_b64 s[36:37], 0
	v_pk_mov_b32 v[2:3], s[36:37], s[36:37] op_sel:[0,1]
	v_pk_mov_b32 v[4:5], s[36:37], s[36:37] op_sel:[0,1]
	s_and_saveexec_b64 s[36:37], s[34:35]
	s_cbranch_execz .LBB74_53
.LBB74_63:                              ;   in Loop: Header=BB74_54 Depth=2
	v_ashrrev_i32_e32 v7, 31, v6
	v_lshlrev_b64 v[2:3], 4, v[6:7]
	v_mov_b32_e32 v4, s23
	v_add_co_u32_e32 v2, vcc, s22, v2
	v_addc_co_u32_e32 v3, vcc, v4, v3, vcc
	global_load_dwordx4 v[2:5], v[2:3], off
	s_branch .LBB74_53
.LBB74_64:                              ;   in Loop: Header=BB74_22 Depth=1
	s_or_b64 exec, exec, s[6:7]
; %bb.65:                               ;   in Loop: Header=BB74_22 Depth=1
	s_cmp_lt_i32 s40, 2
	s_cbranch_scc1 .LBB74_81
; %bb.66:                               ;   in Loop: Header=BB74_22 Depth=1
	s_add_i32 s38, s40, -2
	s_mov_b32 s39, 0
	s_branch .LBB74_68
.LBB74_67:                              ;   in Loop: Header=BB74_68 Depth=2
	s_or_b64 exec, exec, s[6:7]
	s_add_i32 s6, s39, 1
	s_cmp_eq_u32 s39, s38
	s_mov_b32 s39, s6
	s_cbranch_scc1 .LBB74_81
.LBB74_68:                              ;   Parent Loop BB74_22 Depth=1
                                        ; =>  This Loop Header: Depth=2
                                        ;       Child Loop BB74_71 Depth 3
	s_and_saveexec_b64 s[6:7], s[0:1]
	s_cbranch_execz .LBB74_67
; %bb.69:                               ;   in Loop: Header=BB74_68 Depth=2
	s_lshl_b32 s30, s39, 2
	v_mov_b32_e32 v1, s30
	ds_read2st64_b32 v[2:3], v1 offset0:68 offset1:70
	s_mov_b64 s[30:31], 0
	v_mov_b32_e32 v37, v11
	s_waitcnt lgkmcnt(0)
	v_add_u32_e32 v1, v3, v23
	v_add_u32_e32 v34, v10, v3
	;; [unrolled: 1-line block ×4, first 2 shown]
	s_branch .LBB74_71
.LBB74_70:                              ;   in Loop: Header=BB74_71 Depth=3
	v_lshlrev_b32_e32 v4, 4, v37
	v_mad_u32_u24 v8, v10, s48, v4
	ds_read_b128 v[4:7], v8 offset:4352
	v_add_u32_e32 v37, 4, v37
	v_cmp_le_i32_e32 vcc, s44, v37
	v_add_u32_e32 v35, 4, v35
	s_or_b64 s[30:31], vcc, s[30:31]
	s_waitcnt lgkmcnt(0)
	v_add_f64 v[4:5], v[20:21], v[4:5]
	v_add_f64 v[6:7], v[2:3], v[6:7]
	v_add_u32_e32 v36, s49, v36
	ds_write_b128 v8, v[4:7] offset:4352
	s_andn2_b64 exec, exec, s[30:31]
	s_cbranch_execz .LBB74_67
.LBB74_71:                              ;   Parent Loop BB74_22 Depth=1
                                        ;     Parent Loop BB74_68 Depth=2
                                        ; =>    This Inner Loop Header: Depth=3
	v_pk_mov_b32 v[16:17], 0, 0
	s_mov_b32 s40, 0
	v_mov_b32_e32 v12, v35
	v_mov_b32_e32 v14, v34
	v_pk_mov_b32 v[18:19], v[16:17], v[16:17] op_sel:[0,1]
	s_and_b64 vcc, exec, s[24:25]
	s_cbranch_vccz .LBB74_75
.LBB74_72:                              ;   in Loop: Header=BB74_71 Depth=3
	v_ashrrev_i32_e32 v13, 31, v12
	v_lshlrev_b64 v[2:3], 4, v[12:13]
	v_mov_b32_e32 v4, s23
	v_add_co_u32_e32 v2, vcc, s22, v2
	v_addc_co_u32_e32 v3, vcc, v4, v3, vcc
	global_load_dwordx4 v[2:5], v[2:3], off
	v_pk_mov_b32 v[6:7], 0, 0
	s_mov_b64 s[34:35], 0
	v_pk_mov_b32 v[8:9], v[6:7], v[6:7] op_sel:[0,1]
	s_and_saveexec_b64 s[36:37], s[2:3]
	s_cbranch_execz .LBB74_74
; %bb.73:                               ;   in Loop: Header=BB74_71 Depth=3
	v_ashrrev_i32_e32 v15, 31, v14
	v_lshlrev_b64 v[6:7], 4, v[14:15]
	v_mov_b32_e32 v8, s23
	v_add_co_u32_e32 v6, vcc, s22, v6
	v_addc_co_u32_e32 v7, vcc, v8, v7, vcc
	global_load_dwordx4 v[6:9], v[6:7], off
.LBB74_74:                              ;   in Loop: Header=BB74_71 Depth=3
	s_or_b64 exec, exec, s[36:37]
	s_waitcnt vmcnt(0)
	v_fma_f64 v[20:21], v[2:3], v[6:7], v[18:19]
	v_fmac_f64_e32 v[20:21], v[4:5], v[8:9]
	v_fma_f64 v[4:5], v[4:5], v[6:7], v[16:17]
	v_fma_f64 v[2:3], v[2:3], -v[8:9], v[4:5]
	s_and_b64 vcc, exec, s[34:35]
	s_cbranch_vccnz .LBB74_76
	s_branch .LBB74_79
.LBB74_75:                              ;   in Loop: Header=BB74_71 Depth=3
                                        ; implicit-def: $vgpr2_vgpr3
                                        ; implicit-def: $vgpr20_vgpr21
	s_cbranch_execz .LBB74_79
.LBB74_76:                              ;   in Loop: Header=BB74_71 Depth=3
	v_add_u32_e32 v2, s40, v36
	v_ashrrev_i32_e32 v3, 31, v2
	v_lshlrev_b64 v[2:3], 4, v[2:3]
	v_mov_b32_e32 v4, s23
	v_add_co_u32_e32 v2, vcc, s22, v2
	v_addc_co_u32_e32 v3, vcc, v4, v3, vcc
	global_load_dwordx4 v[2:5], v[2:3], off
	v_pk_mov_b32 v[6:7], 0, 0
	v_pk_mov_b32 v[8:9], v[6:7], v[6:7] op_sel:[0,1]
	s_and_saveexec_b64 s[34:35], s[2:3]
	s_cbranch_execz .LBB74_78
; %bb.77:                               ;   in Loop: Header=BB74_71 Depth=3
	v_add_u32_e32 v6, s40, v1
	v_ashrrev_i32_e32 v7, 31, v6
	v_lshlrev_b64 v[6:7], 4, v[6:7]
	v_mov_b32_e32 v8, s23
	v_add_co_u32_e32 v6, vcc, s22, v6
	v_addc_co_u32_e32 v7, vcc, v8, v7, vcc
	global_load_dwordx4 v[6:9], v[6:7], off
.LBB74_78:                              ;   in Loop: Header=BB74_71 Depth=3
	s_or_b64 exec, exec, s[34:35]
	s_waitcnt vmcnt(0)
	v_fmac_f64_e32 v[18:19], v[2:3], v[6:7]
	v_fmac_f64_e32 v[18:19], v[4:5], v[8:9]
	;; [unrolled: 1-line block ×3, first 2 shown]
	v_fma_f64 v[2:3], v[2:3], -v[8:9], v[16:17]
	v_pk_mov_b32 v[20:21], v[18:19], v[18:19] op_sel:[0,1]
.LBB74_79:                              ;   in Loop: Header=BB74_71 Depth=3
	s_add_i32 s40, s40, 1
	v_add_u32_e32 v14, s44, v14
	s_cmp_eq_u32 s44, s40
	v_add_u32_e32 v12, s44, v12
	s_cbranch_scc1 .LBB74_70
; %bb.80:                               ;   in Loop: Header=BB74_71 Depth=3
	v_pk_mov_b32 v[16:17], v[2:3], v[2:3] op_sel:[0,1]
	v_pk_mov_b32 v[18:19], v[20:21], v[20:21] op_sel:[0,1]
	s_and_b64 vcc, exec, s[24:25]
	s_cbranch_vccnz .LBB74_72
	s_branch .LBB74_75
.LBB74_81:                              ;   in Loop: Header=BB74_22 Depth=1
	s_andn2_b64 vcc, exec, s[26:27]
	s_waitcnt lgkmcnt(0)
	s_cbranch_vccnz .LBB74_94
; %bb.82:                               ;   in Loop: Header=BB74_22 Depth=1
	s_mov_b32 s34, 0
	s_mov_b32 s35, 0
	v_mov_b32_e32 v1, v29
	s_branch .LBB74_84
.LBB74_83:                              ;   in Loop: Header=BB74_84 Depth=2
	s_or_b64 exec, exec, s[6:7]
	s_add_i32 s35, s35, 1
	s_addk_i32 s34, 0x110
	s_cmp_eq_u32 s35, s44
	v_add_u32_e32 v1, 16, v1
	s_waitcnt lgkmcnt(0)
	s_cbranch_scc1 .LBB74_94
.LBB74_84:                              ;   Parent Loop BB74_22 Depth=1
                                        ; =>  This Loop Header: Depth=2
                                        ;       Child Loop BB74_90 Depth 3
                                        ;       Child Loop BB74_93 Depth 3
	s_lshl_b32 s6, s35, 4
	s_mul_i32 s7, s35, 0x110
	s_add_i32 s7, s6, s7
	v_mov_b32_e32 v2, s7
	ds_read_b128 v[6:9], v2
	v_mov_b32_e32 v2, s6
	v_mad_u32_u24 v16, v10, s48, v2
	ds_read_b128 v[2:5], v16 offset:8704
	s_waitcnt lgkmcnt(1)
	v_cmp_neq_f64_e32 vcc, 0, v[6:7]
	v_cmp_neq_f64_e64 s[6:7], 0, v[8:9]
	s_or_b64 vcc, vcc, s[6:7]
	s_or_b64 s[6:7], vcc, s[4:5]
	v_cndmask_b32_e32 v13, v33, v7, vcc
	s_xor_b64 s[30:31], s[6:7], -1
	v_cndmask_b32_e32 v12, 0, v6, vcc
	v_cndmask_b32_e32 v15, 0, v9, vcc
	;; [unrolled: 1-line block ×3, first 2 shown]
	s_and_saveexec_b64 s[6:7], s[30:31]
	s_cbranch_execz .LBB74_88
; %bb.85:                               ;   in Loop: Header=BB74_84 Depth=2
	v_mbcnt_lo_u32_b32 v6, exec_lo, 0
	v_mbcnt_hi_u32_b32 v6, exec_hi, v6
	v_cmp_eq_u32_e32 vcc, 0, v6
	s_and_saveexec_b64 s[30:31], vcc
	s_cbranch_execz .LBB74_87
; %bb.86:                               ;   in Loop: Header=BB74_84 Depth=2
	v_mov_b32_e32 v6, s50
	global_atomic_smin v0, v6, s[14:15]
.LBB74_87:                              ;   in Loop: Header=BB74_84 Depth=2
	s_or_b64 exec, exec, s[30:31]
	v_mov_b32_e32 v12, 0
	v_mov_b32_e32 v13, 0x3ff00000
	v_pk_mov_b32 v[14:15], 0, 0
.LBB74_88:                              ;   in Loop: Header=BB74_84 Depth=2
	s_or_b64 exec, exec, s[6:7]
	v_lshl_add_u32 v6, s35, 4, v32
	ds_read_b128 v[6:9], v6 offset:4352
	s_cmp_eq_u32 s35, 0
	s_cbranch_scc1 .LBB74_91
; %bb.89:                               ;   in Loop: Header=BB74_84 Depth=2
	s_mov_b32 s6, 0
	v_mov_b32_e32 v17, v28
	s_mov_b32 s7, s34
.LBB74_90:                              ;   Parent Loop BB74_22 Depth=1
                                        ;     Parent Loop BB74_84 Depth=2
                                        ; =>    This Inner Loop Header: Depth=3
	v_mov_b32_e32 v34, s7
	ds_read_b128 v[18:21], v17
	ds_read_b128 v[34:37], v34
	s_add_i32 s6, s6, 1
	s_add_i32 s7, s7, 16
	v_add_u32_e32 v17, 16, v17
	s_cmp_ge_u32 s6, s35
	s_waitcnt lgkmcnt(0)
	v_fmac_f64_e32 v[6:7], v[34:35], v[18:19]
	v_fmac_f64_e32 v[8:9], v[36:37], v[18:19]
	;; [unrolled: 1-line block ×3, first 2 shown]
	v_fma_f64 v[8:9], v[34:35], -v[20:21], v[8:9]
	s_cbranch_scc0 .LBB74_90
.LBB74_91:                              ;   in Loop: Header=BB74_84 Depth=2
	v_mul_f64 v[18:19], v[14:15], v[14:15]
	v_fmac_f64_e32 v[18:19], v[12:13], v[12:13]
	v_div_scale_f64 v[20:21], s[6:7], v[18:19], v[18:19], 1.0
	v_rcp_f64_e32 v[34:35], v[20:21]
	s_waitcnt lgkmcnt(0)
	v_add_f64 v[6:7], v[2:3], -v[6:7]
	v_add_f64 v[4:5], v[4:5], -v[8:9]
	v_add_u32_e32 v16, 0x2200, v16
	v_fma_f64 v[2:3], -v[20:21], v[34:35], 1.0
	v_fmac_f64_e32 v[34:35], v[34:35], v[2:3]
	v_fma_f64 v[2:3], -v[20:21], v[34:35], 1.0
	v_fmac_f64_e32 v[34:35], v[34:35], v[2:3]
	v_div_scale_f64 v[2:3], vcc, 1.0, v[18:19], 1.0
	v_mul_f64 v[8:9], v[2:3], v[34:35]
	v_fma_f64 v[2:3], -v[20:21], v[8:9], v[2:3]
	s_nop 1
	v_div_fmas_f64 v[2:3], v[2:3], v[34:35], v[8:9]
	v_div_fixup_f64 v[8:9], v[2:3], v[18:19], 1.0
	v_mul_f64 v[2:3], v[14:15], v[4:5]
	v_fmac_f64_e32 v[2:3], v[6:7], v[12:13]
	v_mul_f64 v[6:7], v[14:15], -v[6:7]
	v_fmac_f64_e32 v[6:7], v[4:5], v[12:13]
	v_mul_f64 v[2:3], v[8:9], v[2:3]
	v_mul_f64 v[4:5], v[8:9], v[6:7]
	ds_write_b128 v16, v[2:5]
	s_waitcnt lgkmcnt(0)
	s_and_saveexec_b64 s[6:7], s[0:1]
	s_cbranch_execz .LBB74_83
; %bb.92:                               ;   in Loop: Header=BB74_84 Depth=2
	s_mov_b64 s[30:31], 0
	v_mov_b32_e32 v6, v30
	v_mov_b32_e32 v7, v1
	;; [unrolled: 1-line block ×3, first 2 shown]
.LBB74_93:                              ;   Parent Loop BB74_22 Depth=1
                                        ;     Parent Loop BB74_84 Depth=2
                                        ; =>    This Inner Loop Header: Depth=3
	ds_read_b128 v[12:15], v7
	ds_read_b128 v[16:19], v6
	v_add_u32_e32 v8, 4, v8
	v_cmp_le_i32_e32 vcc, s44, v8
	v_add_u32_e32 v7, 0x440, v7
	s_or_b64 s[30:31], vcc, s[30:31]
	s_waitcnt lgkmcnt(0)
	v_fmac_f64_e32 v[16:17], v[2:3], v[12:13]
	v_fmac_f64_e32 v[18:19], v[4:5], v[12:13]
	v_fmac_f64_e32 v[16:17], v[4:5], v[14:15]
	v_fma_f64 v[18:19], v[2:3], -v[14:15], v[18:19]
	ds_write_b128 v6, v[16:19]
	v_add_u32_e32 v6, 64, v6
	s_andn2_b64 exec, exec, s[30:31]
	s_cbranch_execnz .LBB74_93
	s_branch .LBB74_83
.LBB74_94:                              ;   in Loop: Header=BB74_22 Depth=1
	s_and_saveexec_b64 s[6:7], s[0:1]
	s_cbranch_execz .LBB74_21
; %bb.95:                               ;   in Loop: Header=BB74_22 Depth=1
	s_mov_b64 s[30:31], 0
	v_mov_b32_e32 v1, v31
	v_mov_b32_e32 v4, v11
	s_branch .LBB74_98
.LBB74_96:                              ;   in Loop: Header=BB74_98 Depth=2
	ds_read2_b64 v[6:9], v1 offset1:1
	v_ashrrev_i32_e32 v3, 31, v2
	v_lshlrev_b64 v[2:3], 4, v[2:3]
	v_mov_b32_e32 v5, s23
	v_add_co_u32_e32 v2, vcc, s22, v2
	v_addc_co_u32_e32 v3, vcc, v5, v3, vcc
	s_waitcnt lgkmcnt(0)
	global_store_dwordx4 v[2:3], v[6:9], off
.LBB74_97:                              ;   in Loop: Header=BB74_98 Depth=2
	s_or_b64 exec, exec, s[34:35]
	v_add_u32_e32 v4, 4, v4
	v_cmp_le_i32_e32 vcc, s44, v4
	s_or_b64 s[30:31], vcc, s[30:31]
	v_add_u32_e32 v1, 64, v1
	s_andn2_b64 exec, exec, s[30:31]
	s_cbranch_execz .LBB74_21
.LBB74_98:                              ;   Parent Loop BB74_22 Depth=1
                                        ; =>  This Inner Loop Header: Depth=2
	s_and_saveexec_b64 s[34:35], s[2:3]
	s_cbranch_execz .LBB74_97
; %bb.99:                               ;   in Loop: Header=BB74_98 Depth=2
	s_and_b64 vcc, exec, s[24:25]
	s_cbranch_vccz .LBB74_101
; %bb.100:                              ;   in Loop: Header=BB74_98 Depth=2
	v_add_u32_e32 v2, s29, v4
	v_mad_u64_u32 v[2:3], s[36:37], v2, s44, v[10:11]
	s_cbranch_execnz .LBB74_96
	s_branch .LBB74_102
.LBB74_101:                             ;   in Loop: Header=BB74_98 Depth=2
                                        ; implicit-def: $vgpr2
.LBB74_102:                             ;   in Loop: Header=BB74_98 Depth=2
	v_add_u32_e32 v2, v27, v4
	s_branch .LBB74_96
.LBB74_103:                             ;   in Loop: Header=BB74_22 Depth=1
                                        ; implicit-def: $sgpr28
                                        ; implicit-def: $vgpr27
	s_cbranch_execz .LBB74_22
.LBB74_104:
	v_cmp_gt_i32_e64 s[0:1], s44, v11
	s_and_saveexec_b64 s[4:5], s[0:1]
	s_cbranch_execz .LBB74_117
; %bb.105:
	s_mul_i32 s26, s33, s44
	v_add_u32_e32 v0, s26, v10
	s_cmp_lg_u32 s46, 0
	v_mul_lo_u32 v6, v0, s44
	v_mul_u32_u24_e32 v0, 0x110, v10
	s_movk_i32 s8, 0x2200
	s_cselect_b64 s[6:7], -1, 0
	v_cmp_gt_i32_e64 s[2:3], s44, v10
	v_add3_u32 v7, v0, v22, s8
	s_mov_b64 s[8:9], 0
	v_mov_b32_e32 v8, v11
	s_branch .LBB74_107
.LBB74_106:                             ;   in Loop: Header=BB74_107 Depth=1
	s_or_b64 exec, exec, s[18:19]
	v_add_u32_e32 v8, 4, v8
	v_cmp_le_i32_e32 vcc, s44, v8
	s_waitcnt vmcnt(0)
	ds_write_b128 v7, v[0:3]
	s_or_b64 s[8:9], vcc, s[8:9]
	v_add_u32_e32 v7, 64, v7
	s_andn2_b64 exec, exec, s[8:9]
	s_cbranch_execz .LBB74_117
.LBB74_107:                             ; =>This Inner Loop Header: Depth=1
	s_and_b64 vcc, exec, s[6:7]
	s_cbranch_vccz .LBB74_112
; %bb.108:                              ;   in Loop: Header=BB74_107 Depth=1
	s_mov_b64 s[18:19], 0
	s_mov_b64 s[16:17], 0
                                        ; implicit-def: $vgpr4
	s_and_saveexec_b64 s[24:25], s[2:3]
	s_xor_b64 s[24:25], exec, s[24:25]
; %bb.109:                              ;   in Loop: Header=BB74_107 Depth=1
	v_add_u32_e32 v0, s26, v8
	s_mov_b64 s[16:17], exec
	v_mad_u64_u32 v[4:5], s[28:29], v0, s44, v[10:11]
; %bb.110:                              ;   in Loop: Header=BB74_107 Depth=1
	s_or_b64 exec, exec, s[24:25]
	s_and_b64 vcc, exec, s[18:19]
	s_cbranch_vccnz .LBB74_113
.LBB74_111:                             ;   in Loop: Header=BB74_107 Depth=1
	v_pk_mov_b32 v[0:1], s[18:19], s[18:19] op_sel:[0,1]
	v_pk_mov_b32 v[2:3], s[18:19], s[18:19] op_sel:[0,1]
	s_and_saveexec_b64 s[18:19], s[16:17]
	s_cbranch_execz .LBB74_106
	s_branch .LBB74_116
.LBB74_112:                             ;   in Loop: Header=BB74_107 Depth=1
	s_mov_b64 s[18:19], -1
	s_mov_b64 s[16:17], 0
                                        ; implicit-def: $vgpr4
	s_cbranch_execz .LBB74_111
.LBB74_113:                             ;   in Loop: Header=BB74_107 Depth=1
                                        ; implicit-def: $vgpr4
	s_and_saveexec_b64 s[18:19], s[2:3]
; %bb.114:                              ;   in Loop: Header=BB74_107 Depth=1
	v_add_u32_e32 v4, v6, v8
	s_or_b64 s[16:17], s[16:17], exec
; %bb.115:                              ;   in Loop: Header=BB74_107 Depth=1
	s_or_b64 exec, exec, s[18:19]
	s_mov_b64 s[18:19], 0
	v_pk_mov_b32 v[0:1], s[18:19], s[18:19] op_sel:[0,1]
	v_pk_mov_b32 v[2:3], s[18:19], s[18:19] op_sel:[0,1]
	s_and_saveexec_b64 s[18:19], s[16:17]
	s_cbranch_execz .LBB74_106
.LBB74_116:                             ;   in Loop: Header=BB74_107 Depth=1
	v_ashrrev_i32_e32 v5, 31, v4
	v_lshlrev_b64 v[0:1], 4, v[4:5]
	v_mov_b32_e32 v2, s23
	v_add_co_u32_e32 v0, vcc, s22, v0
	v_addc_co_u32_e32 v1, vcc, v2, v1, vcc
	global_load_dwordx4 v[0:3], v[0:1], off
	s_branch .LBB74_106
.LBB74_117:
	s_or_b64 exec, exec, s[4:5]
; %bb.118:
	s_cmp_lt_i32 s44, 1
	s_waitcnt lgkmcnt(0)
	s_cbranch_scc1 .LBB74_137
; %bb.119:
	v_or_b32_e32 v0, v11, v10
	v_cmp_ne_u32_e64 s[2:3], 0, v0
	v_lshlrev_b32_e32 v0, 4, v10
	s_movk_i32 s24, 0x110
	v_mad_u32_u24 v0, v10, s24, v0
	v_add_u32_e32 v12, 0x2200, v0
	v_mul_u32_u24_e32 v13, 0x110, v10
	s_movk_i32 s4, 0x3300
	v_add_u32_e32 v14, 0x3300, v0
	v_mov_b32_e32 v0, 0x2200
	s_mov_b32 s6, 0
	s_mov_b32 s18, 0
	s_add_i32 s19, s20, s21
	v_mad_u32_u24 v15, v11, s24, v0
	v_add3_u32 v16, v13, v22, s4
	s_brev_b32 s7, 8
	v_mov_b32_e32 v17, 0x260
	v_mov_b32_e32 v18, 0x3ff00000
	;; [unrolled: 1-line block ×4, first 2 shown]
	s_branch .LBB74_121
.LBB74_120:                             ;   in Loop: Header=BB74_121 Depth=1
	s_or_b64 exec, exec, s[4:5]
	s_add_i32 s18, s18, 1
	s_cmp_eq_u32 s18, s44
	v_add_u32_e32 v15, 16, v15
	s_waitcnt lgkmcnt(0)
	s_cbranch_scc1 .LBB74_137
.LBB74_121:                             ; =>This Loop Header: Depth=1
                                        ;     Child Loop BB74_136 Depth 2
	v_cmp_eq_u32_e32 vcc, s18, v10
	s_and_saveexec_b64 s[4:5], vcc
	s_cbranch_execz .LBB74_129
; %bb.122:                              ;   in Loop: Header=BB74_121 Depth=1
	ds_read_b128 v[4:7], v14
	ds_read_b128 v[24:27], v12
	s_waitcnt lgkmcnt(0)
	v_add_f64 v[0:1], v[24:25], -v[4:5]
	v_add_f64 v[8:9], v[26:27], -v[6:7]
	v_xor_b32_e32 v3, 0x80000000, v1
	v_cmp_gt_f64_e32 vcc, 0, v[0:1]
	v_cndmask_b32_e32 v1, v1, v3, vcc
	v_cndmask_b32_e32 v0, v0, v0, vcc
	v_xor_b32_e32 v3, 0x80000000, v9
	v_cmp_gt_f64_e32 vcc, 0, v[8:9]
	v_cndmask_b32_e32 v5, v9, v3, vcc
	v_cndmask_b32_e32 v4, v8, v8, vcc
	v_cmp_ngt_f64_e32 vcc, v[0:1], v[4:5]
                                        ; implicit-def: $vgpr6_vgpr7
	s_and_saveexec_b64 s[8:9], vcc
	s_xor_b64 s[8:9], exec, s[8:9]
	s_cbranch_execz .LBB74_126
; %bb.123:                              ;   in Loop: Header=BB74_121 Depth=1
	v_cmp_neq_f64_e32 vcc, 0, v[8:9]
	v_pk_mov_b32 v[6:7], 0, 0
	s_and_saveexec_b64 s[16:17], vcc
	s_cbranch_execz .LBB74_125
; %bb.124:                              ;   in Loop: Header=BB74_121 Depth=1
	v_div_scale_f64 v[6:7], s[26:27], v[4:5], v[4:5], v[0:1]
	v_rcp_f64_e32 v[8:9], v[6:7]
	v_div_scale_f64 v[20:21], vcc, v[0:1], v[4:5], v[0:1]
	v_fma_f64 v[24:25], -v[6:7], v[8:9], 1.0
	v_fmac_f64_e32 v[8:9], v[8:9], v[24:25]
	v_fma_f64 v[24:25], -v[6:7], v[8:9], 1.0
	v_fmac_f64_e32 v[8:9], v[8:9], v[24:25]
	v_mul_f64 v[24:25], v[20:21], v[8:9]
	v_fma_f64 v[6:7], -v[6:7], v[24:25], v[20:21]
	v_div_fmas_f64 v[6:7], v[6:7], v[8:9], v[24:25]
	v_div_fixup_f64 v[0:1], v[6:7], v[4:5], v[0:1]
	v_fma_f64 v[0:1], v[0:1], v[0:1], 1.0
	v_cmp_gt_f64_e32 vcc, s[6:7], v[0:1]
	v_cndmask_b32_e64 v3, 0, 1, vcc
	v_lshlrev_b32_e32 v3, 8, v3
	v_ldexp_f64 v[0:1], v[0:1], v3
	v_rsq_f64_e32 v[6:7], v[0:1]
	v_cndmask_b32_e32 v3, 0, v19, vcc
	v_cmp_class_f64_e32 vcc, v[0:1], v17
	v_mul_f64 v[8:9], v[0:1], v[6:7]
	v_mul_f64 v[6:7], v[6:7], 0.5
	v_fma_f64 v[20:21], -v[6:7], v[8:9], 0.5
	v_fmac_f64_e32 v[8:9], v[8:9], v[20:21]
	v_fma_f64 v[24:25], -v[8:9], v[8:9], v[0:1]
	v_fmac_f64_e32 v[6:7], v[6:7], v[20:21]
	v_fmac_f64_e32 v[8:9], v[24:25], v[6:7]
	v_fma_f64 v[20:21], -v[8:9], v[8:9], v[0:1]
	v_fmac_f64_e32 v[8:9], v[20:21], v[6:7]
	v_ldexp_f64 v[6:7], v[8:9], v3
	v_cndmask_b32_e32 v1, v7, v1, vcc
	v_cndmask_b32_e32 v0, v6, v0, vcc
	v_mul_f64 v[6:7], v[4:5], v[0:1]
.LBB74_125:                             ;   in Loop: Header=BB74_121 Depth=1
	s_or_b64 exec, exec, s[16:17]
                                        ; implicit-def: $vgpr0_vgpr1
                                        ; implicit-def: $vgpr4_vgpr5
.LBB74_126:                             ;   in Loop: Header=BB74_121 Depth=1
	s_andn2_saveexec_b64 s[8:9], s[8:9]
	s_cbranch_execz .LBB74_128
; %bb.127:                              ;   in Loop: Header=BB74_121 Depth=1
	v_div_scale_f64 v[6:7], s[16:17], v[0:1], v[0:1], v[4:5]
	v_rcp_f64_e32 v[8:9], v[6:7]
	v_div_scale_f64 v[20:21], vcc, v[4:5], v[0:1], v[4:5]
	v_fma_f64 v[24:25], -v[6:7], v[8:9], 1.0
	v_fmac_f64_e32 v[8:9], v[8:9], v[24:25]
	v_fma_f64 v[24:25], -v[6:7], v[8:9], 1.0
	v_fmac_f64_e32 v[8:9], v[8:9], v[24:25]
	v_mul_f64 v[24:25], v[20:21], v[8:9]
	v_fma_f64 v[6:7], -v[6:7], v[24:25], v[20:21]
	v_div_fmas_f64 v[6:7], v[6:7], v[8:9], v[24:25]
	v_div_fixup_f64 v[4:5], v[6:7], v[0:1], v[4:5]
	v_fma_f64 v[4:5], v[4:5], v[4:5], 1.0
	v_cmp_gt_f64_e32 vcc, s[6:7], v[4:5]
	v_cndmask_b32_e64 v3, 0, 1, vcc
	v_lshlrev_b32_e32 v3, 8, v3
	v_ldexp_f64 v[4:5], v[4:5], v3
	v_rsq_f64_e32 v[6:7], v[4:5]
	v_cndmask_b32_e32 v3, 0, v19, vcc
	v_cmp_class_f64_e32 vcc, v[4:5], v17
	v_mul_f64 v[8:9], v[4:5], v[6:7]
	v_mul_f64 v[6:7], v[6:7], 0.5
	v_fma_f64 v[20:21], -v[6:7], v[8:9], 0.5
	v_fmac_f64_e32 v[8:9], v[8:9], v[20:21]
	v_fma_f64 v[24:25], -v[8:9], v[8:9], v[4:5]
	v_fmac_f64_e32 v[6:7], v[6:7], v[20:21]
	v_fmac_f64_e32 v[8:9], v[24:25], v[6:7]
	v_fma_f64 v[20:21], -v[8:9], v[8:9], v[4:5]
	v_fmac_f64_e32 v[8:9], v[20:21], v[6:7]
	v_ldexp_f64 v[6:7], v[8:9], v3
	v_cndmask_b32_e32 v5, v7, v5, vcc
	v_cndmask_b32_e32 v4, v6, v4, vcc
	v_mul_f64 v[6:7], v[0:1], v[4:5]
.LBB74_128:                             ;   in Loop: Header=BB74_121 Depth=1
	s_or_b64 exec, exec, s[8:9]
	v_cmp_gt_f64_e32 vcc, s[6:7], v[6:7]
	v_cndmask_b32_e64 v0, 0, 1, vcc
	v_lshlrev_b32_e32 v0, 8, v0
	v_ldexp_f64 v[0:1], v[6:7], v0
	v_rsq_f64_e32 v[4:5], v[0:1]
	v_cndmask_b32_e32 v3, 0, v19, vcc
	v_cmp_class_f64_e32 vcc, v[0:1], v17
	v_mul_f64 v[6:7], v[0:1], v[4:5]
	v_mul_f64 v[4:5], v[4:5], 0.5
	v_fma_f64 v[8:9], -v[4:5], v[6:7], 0.5
	v_fmac_f64_e32 v[6:7], v[6:7], v[8:9]
	v_fmac_f64_e32 v[4:5], v[4:5], v[8:9]
	v_fma_f64 v[8:9], -v[6:7], v[6:7], v[0:1]
	v_fmac_f64_e32 v[6:7], v[8:9], v[4:5]
	v_fma_f64 v[8:9], -v[6:7], v[6:7], v[0:1]
	v_fmac_f64_e32 v[6:7], v[8:9], v[4:5]
	v_ldexp_f64 v[4:5], v[6:7], v3
	v_cndmask_b32_e32 v1, v5, v1, vcc
	v_cndmask_b32_e32 v0, v4, v0, vcc
	v_mov_b32_e32 v3, v2
	ds_write_b128 v12, v[0:3]
.LBB74_129:                             ;   in Loop: Header=BB74_121 Depth=1
	s_or_b64 exec, exec, s[4:5]
	s_lshl_b32 s4, s18, 4
	s_mul_i32 s5, s18, 0x110
	s_add_i32 s5, s5, s4
	v_mov_b32_e32 v0, s5
	s_waitcnt lgkmcnt(0)
	ds_read_b128 v[24:27], v0 offset:8704
	v_mov_b32_e32 v0, s4
	v_mad_u32_u24 v3, v10, s24, v0
	ds_read_b128 v[4:7], v3 offset:8704
	s_waitcnt lgkmcnt(1)
	v_cmp_neq_f64_e32 vcc, 0, v[24:25]
	v_cmp_neq_f64_e64 s[4:5], 0, v[26:27]
	s_or_b64 vcc, vcc, s[4:5]
	s_or_b64 s[4:5], vcc, s[2:3]
	v_cndmask_b32_e32 v1, 0, v27, vcc
	s_xor_b64 s[8:9], s[4:5], -1
	v_cndmask_b32_e32 v0, 0, v26, vcc
	v_cndmask_b32_e32 v9, v18, v25, vcc
	;; [unrolled: 1-line block ×3, first 2 shown]
	s_and_saveexec_b64 s[4:5], s[8:9]
	s_cbranch_execz .LBB74_133
; %bb.130:                              ;   in Loop: Header=BB74_121 Depth=1
	v_mbcnt_lo_u32_b32 v0, exec_lo, 0
	v_mbcnt_hi_u32_b32 v0, exec_hi, v0
	v_cmp_eq_u32_e32 vcc, 0, v0
	s_and_saveexec_b64 s[8:9], vcc
	s_cbranch_execz .LBB74_132
; %bb.131:                              ;   in Loop: Header=BB74_121 Depth=1
	v_mov_b32_e32 v0, s19
	global_atomic_smin v2, v0, s[14:15]
.LBB74_132:                             ;   in Loop: Header=BB74_121 Depth=1
	s_or_b64 exec, exec, s[8:9]
	v_mov_b32_e32 v8, 0
	v_pk_mov_b32 v[0:1], 0, 0
	v_mov_b32_e32 v9, 0x3ff00000
.LBB74_133:                             ;   in Loop: Header=BB74_121 Depth=1
	s_or_b64 exec, exec, s[4:5]
	v_cmp_lt_u32_e32 vcc, s18, v10
	s_and_saveexec_b64 s[4:5], vcc
	s_cbranch_execz .LBB74_120
; %bb.134:                              ;   in Loop: Header=BB74_121 Depth=1
	v_lshl_add_u32 v20, s18, 4, v13
	ds_read_b128 v[24:27], v20 offset:13056
	v_mul_f64 v[20:21], v[0:1], v[0:1]
	v_fmac_f64_e32 v[20:21], v[8:9], v[8:9]
	v_div_scale_f64 v[28:29], s[8:9], v[20:21], v[20:21], 1.0
	v_rcp_f64_e32 v[30:31], v[28:29]
	s_waitcnt lgkmcnt(0)
	v_add_f64 v[24:25], v[4:5], -v[24:25]
	v_add_f64 v[6:7], v[6:7], -v[26:27]
	v_add_u32_e32 v3, 0x2200, v3
	v_fma_f64 v[4:5], -v[28:29], v[30:31], 1.0
	v_fmac_f64_e32 v[30:31], v[30:31], v[4:5]
	v_fma_f64 v[4:5], -v[28:29], v[30:31], 1.0
	v_fmac_f64_e32 v[30:31], v[30:31], v[4:5]
	v_div_scale_f64 v[4:5], vcc, 1.0, v[20:21], 1.0
	v_mul_f64 v[26:27], v[4:5], v[30:31]
	v_fma_f64 v[4:5], -v[28:29], v[26:27], v[4:5]
	s_nop 1
	v_div_fmas_f64 v[4:5], v[4:5], v[30:31], v[26:27]
	v_div_fixup_f64 v[20:21], v[4:5], v[20:21], 1.0
	v_mul_f64 v[4:5], v[0:1], v[6:7]
	v_mul_f64 v[0:1], v[0:1], -v[24:25]
	v_fmac_f64_e32 v[4:5], v[24:25], v[8:9]
	v_fmac_f64_e32 v[0:1], v[6:7], v[8:9]
	v_mul_f64 v[4:5], v[20:21], v[4:5]
	v_mul_f64 v[6:7], v[20:21], v[0:1]
	ds_write_b128 v3, v[4:7]
	s_waitcnt lgkmcnt(0)
	s_and_b64 exec, exec, s[0:1]
	s_cbranch_execz .LBB74_120
; %bb.135:                              ;   in Loop: Header=BB74_121 Depth=1
	s_mov_b64 s[8:9], 0
	v_mov_b32_e32 v0, v16
	v_mov_b32_e32 v1, v15
	;; [unrolled: 1-line block ×3, first 2 shown]
.LBB74_136:                             ;   Parent Loop BB74_121 Depth=1
                                        ; =>  This Inner Loop Header: Depth=2
	ds_read_b128 v[24:27], v1
	ds_read_b128 v[28:31], v0
	v_add_u32_e32 v3, 4, v3
	v_cmp_le_i32_e32 vcc, s44, v3
	v_add_u32_e32 v1, 0x440, v1
	s_or_b64 s[8:9], vcc, s[8:9]
	s_waitcnt lgkmcnt(0)
	v_fmac_f64_e32 v[28:29], v[4:5], v[24:25]
	v_fmac_f64_e32 v[30:31], v[6:7], v[24:25]
	v_fmac_f64_e32 v[28:29], v[6:7], v[26:27]
	v_fma_f64 v[30:31], v[4:5], -v[26:27], v[30:31]
	ds_write_b128 v0, v[28:31]
	v_add_u32_e32 v0, 64, v0
	s_andn2_b64 exec, exec, s[8:9]
	s_cbranch_execnz .LBB74_136
	s_branch .LBB74_120
.LBB74_137:
	s_and_saveexec_b64 s[2:3], s[0:1]
	s_cbranch_execz .LBB74_146
; %bb.138:
	s_mul_i32 s33, s33, s44
	v_add_u32_e32 v0, s33, v10
	s_cmp_lg_u32 s46, 0
	v_mul_lo_u32 v2, v0, s44
	v_mul_u32_u24_e32 v0, 0x110, v10
	s_movk_i32 s6, 0x2200
	v_cmp_gt_i32_e64 s[0:1], s44, v10
	s_cselect_b64 s[4:5], -1, 0
	v_add3_u32 v3, v0, v22, s6
	s_mov_b64 s[6:7], 0
	v_mov_b32_e32 v4, v11
	s_branch .LBB74_141
.LBB74_139:                             ;   in Loop: Header=BB74_141 Depth=1
	ds_read2_b64 v[6:9], v3 offset1:1
	v_ashrrev_i32_e32 v1, 31, v0
	v_lshlrev_b64 v[0:1], 4, v[0:1]
	v_mov_b32_e32 v5, s23
	v_add_co_u32_e32 v0, vcc, s22, v0
	v_addc_co_u32_e32 v1, vcc, v5, v1, vcc
	s_waitcnt lgkmcnt(0)
	global_store_dwordx4 v[0:1], v[6:9], off
.LBB74_140:                             ;   in Loop: Header=BB74_141 Depth=1
	s_or_b64 exec, exec, s[8:9]
	v_add_u32_e32 v4, 4, v4
	v_cmp_le_i32_e32 vcc, s44, v4
	s_or_b64 s[6:7], vcc, s[6:7]
	v_add_u32_e32 v3, 64, v3
	s_andn2_b64 exec, exec, s[6:7]
	s_cbranch_execz .LBB74_146
.LBB74_141:                             ; =>This Inner Loop Header: Depth=1
	s_and_saveexec_b64 s[8:9], s[0:1]
	s_cbranch_execz .LBB74_140
; %bb.142:                              ;   in Loop: Header=BB74_141 Depth=1
	s_and_b64 vcc, exec, s[4:5]
	s_cbranch_vccz .LBB74_144
; %bb.143:                              ;   in Loop: Header=BB74_141 Depth=1
	v_add_u32_e32 v0, s33, v4
	v_mad_u64_u32 v[0:1], s[16:17], v0, s44, v[10:11]
	s_cbranch_execnz .LBB74_139
	s_branch .LBB74_145
.LBB74_144:                             ;   in Loop: Header=BB74_141 Depth=1
                                        ; implicit-def: $vgpr0
.LBB74_145:                             ;   in Loop: Header=BB74_141 Depth=1
	v_add_u32_e32 v0, v2, v4
	s_branch .LBB74_139
.LBB74_146:
	s_or_b64 exec, exec, s[2:3]
	v_or_b32_e32 v0, v11, v10
	v_cmp_eq_u32_e64 s[0:1], 0, v0
.LBB74_147:
	s_and_saveexec_b64 s[2:3], s[0:1]
	s_cbranch_execnz .LBB74_155
.LBB74_148:
	s_endpgm
.LBB74_149:
	s_mov_b64 s[0:1], 0
	s_cbranch_execz .LBB74_147
; %bb.150:
	v_or_b32_e32 v0, v11, v10
	v_cmp_eq_u32_e32 vcc, 0, v0
	s_and_saveexec_b64 s[2:3], vcc
	s_cbranch_execz .LBB74_154
; %bb.151:
	v_mbcnt_lo_u32_b32 v0, exec_lo, 0
	v_mbcnt_hi_u32_b32 v0, exec_hi, v0
	v_cmp_eq_u32_e32 vcc, 0, v0
	s_and_saveexec_b64 s[4:5], vcc
	s_cbranch_execz .LBB74_153
; %bb.152:
	s_add_i32 s6, s20, s21
	v_mov_b32_e32 v0, 0
	v_mov_b32_e32 v1, s6
	global_atomic_smin v0, v1, s[14:15]
.LBB74_153:
	s_or_b64 exec, exec, s[4:5]
	s_or_b64 s[0:1], s[0:1], exec
.LBB74_154:
	s_or_b64 exec, exec, s[2:3]
	s_and_saveexec_b64 s[2:3], s[0:1]
	s_cbranch_execz .LBB74_148
.LBB74_155:
	s_add_u32 s0, s10, s12
	s_addc_u32 s1, s11, s13
	v_mov_b32_e32 v0, 0
	v_mov_b32_e32 v1, 1
	s_waitcnt vmcnt(0)
	global_store_dword v0, v1, s[0:1]
	s_endpgm
	.section	.rodata,"a",@progbits
	.p2align	6, 0x0
	.amdhsa_kernel _ZN9rocsparseL18bsric0_9_16_kernelILi64ELi128ELi16E21rocsparse_complex_numIdEEEv20rocsparse_direction_iiPKiS5_PT2_S5_PiS5_S8_21rocsparse_index_base_
		.amdhsa_group_segment_fixed_size 18944
		.amdhsa_private_segment_fixed_size 0
		.amdhsa_kernarg_size 76
		.amdhsa_user_sgpr_count 6
		.amdhsa_user_sgpr_private_segment_buffer 1
		.amdhsa_user_sgpr_dispatch_ptr 0
		.amdhsa_user_sgpr_queue_ptr 0
		.amdhsa_user_sgpr_kernarg_segment_ptr 1
		.amdhsa_user_sgpr_dispatch_id 0
		.amdhsa_user_sgpr_flat_scratch_init 0
		.amdhsa_user_sgpr_kernarg_preload_length 0
		.amdhsa_user_sgpr_kernarg_preload_offset 0
		.amdhsa_user_sgpr_private_segment_size 0
		.amdhsa_uses_dynamic_stack 0
		.amdhsa_system_sgpr_private_segment_wavefront_offset 0
		.amdhsa_system_sgpr_workgroup_id_x 1
		.amdhsa_system_sgpr_workgroup_id_y 0
		.amdhsa_system_sgpr_workgroup_id_z 0
		.amdhsa_system_sgpr_workgroup_info 0
		.amdhsa_system_vgpr_workitem_id 1
		.amdhsa_next_free_vgpr 70
		.amdhsa_next_free_sgpr 54
		.amdhsa_accum_offset 72
		.amdhsa_reserve_vcc 1
		.amdhsa_reserve_flat_scratch 0
		.amdhsa_float_round_mode_32 0
		.amdhsa_float_round_mode_16_64 0
		.amdhsa_float_denorm_mode_32 3
		.amdhsa_float_denorm_mode_16_64 3
		.amdhsa_dx10_clamp 1
		.amdhsa_ieee_mode 1
		.amdhsa_fp16_overflow 0
		.amdhsa_tg_split 0
		.amdhsa_exception_fp_ieee_invalid_op 0
		.amdhsa_exception_fp_denorm_src 0
		.amdhsa_exception_fp_ieee_div_zero 0
		.amdhsa_exception_fp_ieee_overflow 0
		.amdhsa_exception_fp_ieee_underflow 0
		.amdhsa_exception_fp_ieee_inexact 0
		.amdhsa_exception_int_div_zero 0
	.end_amdhsa_kernel
	.section	.text._ZN9rocsparseL18bsric0_9_16_kernelILi64ELi128ELi16E21rocsparse_complex_numIdEEEv20rocsparse_direction_iiPKiS5_PT2_S5_PiS5_S8_21rocsparse_index_base_,"axG",@progbits,_ZN9rocsparseL18bsric0_9_16_kernelILi64ELi128ELi16E21rocsparse_complex_numIdEEEv20rocsparse_direction_iiPKiS5_PT2_S5_PiS5_S8_21rocsparse_index_base_,comdat
.Lfunc_end74:
	.size	_ZN9rocsparseL18bsric0_9_16_kernelILi64ELi128ELi16E21rocsparse_complex_numIdEEEv20rocsparse_direction_iiPKiS5_PT2_S5_PiS5_S8_21rocsparse_index_base_, .Lfunc_end74-_ZN9rocsparseL18bsric0_9_16_kernelILi64ELi128ELi16E21rocsparse_complex_numIdEEEv20rocsparse_direction_iiPKiS5_PT2_S5_PiS5_S8_21rocsparse_index_base_
                                        ; -- End function
	.section	.AMDGPU.csdata,"",@progbits
; Kernel info:
; codeLenInByte = 6292
; NumSgprs: 58
; NumVgprs: 70
; NumAgprs: 0
; TotalNumVgprs: 70
; ScratchSize: 0
; MemoryBound: 1
; FloatMode: 240
; IeeeMode: 1
; LDSByteSize: 18944 bytes/workgroup (compile time only)
; SGPRBlocks: 7
; VGPRBlocks: 8
; NumSGPRsForWavesPerEU: 58
; NumVGPRsForWavesPerEU: 70
; AccumOffset: 72
; Occupancy: 1
; WaveLimiterHint : 1
; COMPUTE_PGM_RSRC2:SCRATCH_EN: 0
; COMPUTE_PGM_RSRC2:USER_SGPR: 6
; COMPUTE_PGM_RSRC2:TRAP_HANDLER: 0
; COMPUTE_PGM_RSRC2:TGID_X_EN: 1
; COMPUTE_PGM_RSRC2:TGID_Y_EN: 0
; COMPUTE_PGM_RSRC2:TGID_Z_EN: 0
; COMPUTE_PGM_RSRC2:TIDIG_COMP_CNT: 1
; COMPUTE_PGM_RSRC3_GFX90A:ACCUM_OFFSET: 17
; COMPUTE_PGM_RSRC3_GFX90A:TG_SPLIT: 0
	.section	.text._ZN9rocsparseL19bsric0_17_32_kernelILi64ELi128ELi32E21rocsparse_complex_numIdEEEv20rocsparse_direction_iiPKiS5_PT2_S5_PiS5_S8_21rocsparse_index_base_,"axG",@progbits,_ZN9rocsparseL19bsric0_17_32_kernelILi64ELi128ELi32E21rocsparse_complex_numIdEEEv20rocsparse_direction_iiPKiS5_PT2_S5_PiS5_S8_21rocsparse_index_base_,comdat
	.globl	_ZN9rocsparseL19bsric0_17_32_kernelILi64ELi128ELi32E21rocsparse_complex_numIdEEEv20rocsparse_direction_iiPKiS5_PT2_S5_PiS5_S8_21rocsparse_index_base_ ; -- Begin function _ZN9rocsparseL19bsric0_17_32_kernelILi64ELi128ELi32E21rocsparse_complex_numIdEEEv20rocsparse_direction_iiPKiS5_PT2_S5_PiS5_S8_21rocsparse_index_base_
	.p2align	8
	.type	_ZN9rocsparseL19bsric0_17_32_kernelILi64ELi128ELi32E21rocsparse_complex_numIdEEEv20rocsparse_direction_iiPKiS5_PT2_S5_PiS5_S8_21rocsparse_index_base_,@function
_ZN9rocsparseL19bsric0_17_32_kernelILi64ELi128ELi32E21rocsparse_complex_numIdEEEv20rocsparse_direction_iiPKiS5_PT2_S5_PiS5_S8_21rocsparse_index_base_: ; @_ZN9rocsparseL19bsric0_17_32_kernelILi64ELi128ELi32E21rocsparse_complex_numIdEEEv20rocsparse_direction_iiPKiS5_PT2_S5_PiS5_S8_21rocsparse_index_base_
; %bb.0:
	s_load_dwordx8 s[8:15], s[4:5], 0x28
	s_mov_b32 s7, 0
	s_lshl_b64 s[0:1], s[6:7], 2
	v_and_b32_e32 v11, 0x3ff, v0
	v_bfe_u32 v10, v0, 10, 10
	s_waitcnt lgkmcnt(0)
	s_add_u32 s0, s12, s0
	s_addc_u32 s1, s13, s1
	s_load_dword s20, s[0:1], 0x0
	s_waitcnt lgkmcnt(0)
	s_ashr_i32 s21, s20, 31
	s_lshl_b64 s[12:13], s[20:21], 2
	s_add_u32 s0, s8, s12
	s_addc_u32 s1, s9, s13
	s_load_dword s33, s[0:1], 0x0
	s_load_dword s21, s[4:5], 0x48
	s_waitcnt lgkmcnt(0)
	s_cmp_lg_u32 s33, -1
	s_cbranch_scc0 .LBB75_137
; %bb.1:
	s_load_dwordx4 s[16:19], s[4:5], 0x10
	v_lshlrev_b32_e32 v1, 1, v10
	v_add_u32_e32 v2, v1, v11
	s_waitcnt lgkmcnt(0)
	s_add_u32 s0, s16, s12
	s_addc_u32 s1, s17, s13
	s_load_dword s28, s[0:1], 0x0
	s_waitcnt lgkmcnt(0)
	s_sub_i32 s47, s28, s21
	v_add_u32_e32 v0, s47, v2
	v_cmp_ge_i32_e32 vcc, s33, v0
	s_and_saveexec_b64 s[2:3], vcc
	s_cbranch_execz .LBB75_16
; %bb.2:
	v_add_u32_e32 v2, s28, v2
	v_subrev_u32_e32 v2, s21, v2
	v_add_u32_e32 v2, 64, v2
	s_add_i32 s0, s33, 1
	v_max_i32_e32 v2, s0, v2
	v_not_b32_e32 v3, v11
	v_add3_u32 v2, v2, s21, v3
	v_add_u32_e32 v1, s28, v1
	v_sub_u32_e32 v1, v2, v1
	s_movk_i32 s0, 0x640
	v_cmp_gt_u32_e32 vcc, s0, v1
	s_movk_i32 s0, 0x63f
	v_cmp_lt_u32_e64 s[0:1], s0, v1
	s_and_saveexec_b64 s[6:7], s[0:1]
	s_cbranch_execz .LBB75_13
; %bb.3:
	v_and_b32_e32 v2, 0xffffffc0, v1
	v_add_u32_e32 v2, v0, v2
	v_cmp_ge_i32_e64 s[0:1], v2, v0
	s_mov_b64 s[24:25], -1
	s_and_saveexec_b64 s[22:23], s[0:1]
	s_cbranch_execz .LBB75_12
; %bb.4:
	v_lshrrev_b32_e32 v14, 6, v1
	v_add_u32_e32 v2, -1, v14
	v_add_u32_e32 v1, 64, v0
	v_lshrrev_b32_e32 v3, 1, v2
	v_add_u32_e32 v15, 1, v3
	v_cmp_lt_u32_e64 s[0:1], 13, v2
	v_pk_mov_b32 v[2:3], v[0:1], v[0:1] op_sel:[0,1]
	s_and_saveexec_b64 s[24:25], s[0:1]
	s_cbranch_execz .LBB75_8
; %bb.5:
	v_and_b32_e32 v16, -8, v15
	s_mov_b64 s[26:27], 0
	v_mov_b32_e32 v17, s19
	v_pk_mov_b32 v[2:3], v[0:1], v[0:1] op_sel:[0,1]
.LBB75_6:                               ; =>This Inner Loop Header: Depth=1
	v_ashrrev_i32_e32 v21, 31, v2
	v_mov_b32_e32 v20, v2
	v_lshlrev_b64 v[20:21], 2, v[20:21]
	v_ashrrev_i32_e32 v19, 31, v3
	v_mov_b32_e32 v18, v3
	v_add_co_u32_e64 v20, s[0:1], s18, v20
	v_add_u32_e32 v4, 0x80, v2
	v_lshlrev_b64 v[18:19], 2, v[18:19]
	v_addc_co_u32_e64 v21, s[0:1], v17, v21, s[0:1]
	v_ashrrev_i32_e32 v5, 31, v4
	v_add_co_u32_e64 v18, s[0:1], s18, v18
	v_add_u32_e32 v6, 0x80, v3
	v_addc_co_u32_e64 v19, s[0:1], v17, v19, s[0:1]
	v_lshlrev_b64 v[42:43], 2, v[4:5]
	v_ashrrev_i32_e32 v7, 31, v6
	global_load_dword v1, v[20:21], off
	global_load_dword v5, v[18:19], off
	v_add_co_u32_e64 v18, s[0:1], s18, v42
	v_add_u32_e32 v8, 0x100, v2
	v_lshlrev_b64 v[44:45], 2, v[6:7]
	v_addc_co_u32_e64 v19, s[0:1], v17, v43, s[0:1]
	v_ashrrev_i32_e32 v9, 31, v8
	v_add_co_u32_e64 v20, s[0:1], s18, v44
	v_add_u32_e32 v12, 0x100, v3
	v_lshlrev_b64 v[46:47], 2, v[8:9]
	v_addc_co_u32_e64 v21, s[0:1], v17, v45, s[0:1]
	v_ashrrev_i32_e32 v13, 31, v12
	;; [unrolled: 5-line block ×12, first 2 shown]
	v_add_co_u32_e64 v62, s[0:1], s18, v66
	v_lshlrev_b64 v[68:69], 2, v[40:41]
	v_addc_co_u32_e64 v63, s[0:1], v17, v67, s[0:1]
	v_add_co_u32_e64 v64, s[0:1], s18, v68
	v_addc_co_u32_e64 v65, s[0:1], v17, v69, s[0:1]
	global_load_dword v7, v[20:21], off
	global_load_dword v9, v[18:19], off
	global_load_dword v13, v[44:45], off
	global_load_dword v23, v[42:43], off
	global_load_dword v25, v[48:49], off
	global_load_dword v27, v[46:47], off
	global_load_dword v29, v[52:53], off
	global_load_dword v31, v[50:51], off
	global_load_dword v33, v[56:57], off
	global_load_dword v35, v[54:55], off
	global_load_dword v37, v[60:61], off
	global_load_dword v39, v[58:59], off
	global_load_dword v41, v[64:65], off
	global_load_dword v66, v[62:63], off
	v_subrev_u32_e32 v19, s47, v2
	v_add_u32_e32 v16, -8, v16
	v_subrev_u32_e32 v18, s47, v3
	v_lshlrev_b32_e32 v19, 2, v19
	v_subrev_u32_e32 v4, s47, v4
	v_cmp_eq_u32_e64 s[0:1], 0, v16
	s_waitcnt vmcnt(14)
	v_subrev_u32_e32 v5, s21, v5
	v_subrev_u32_e32 v1, s21, v1
	v_add_u32_e32 v3, 0x400, v3
	v_add_u32_e32 v2, 0x400, v2
	v_lshlrev_b32_e32 v18, 2, v18
	v_subrev_u32_e32 v6, s47, v6
	v_subrev_u32_e32 v12, s47, v12
	;; [unrolled: 1-line block ×13, first 2 shown]
	v_lshlrev_b32_e32 v4, 2, v4
	s_or_b64 s[26:27], s[0:1], s[26:27]
	ds_write_b32 v19, v1 offset:51712
	ds_write_b32 v18, v5 offset:51712
	v_lshlrev_b32_e32 v6, 2, v6
	v_lshlrev_b32_e32 v8, 2, v8
	;; [unrolled: 1-line block ×13, first 2 shown]
	s_waitcnt vmcnt(13)
	v_subrev_u32_e32 v1, s21, v7
	s_waitcnt vmcnt(12)
	v_subrev_u32_e32 v5, s21, v9
	;; [unrolled: 2-line block ×14, first 2 shown]
	ds_write_b32 v4, v5 offset:51712
	ds_write_b32 v6, v1 offset:51712
	;; [unrolled: 1-line block ×14, first 2 shown]
	s_andn2_b64 exec, exec, s[26:27]
	s_cbranch_execnz .LBB75_6
; %bb.7:
	s_or_b64 exec, exec, s[26:27]
.LBB75_8:
	s_or_b64 exec, exec, s[24:25]
	v_and_b32_e32 v1, 7, v15
	v_cmp_ne_u32_e64 s[0:1], 0, v1
	s_and_saveexec_b64 s[24:25], s[0:1]
	s_cbranch_execz .LBB75_11
; %bb.9:
	s_mov_b64 s[26:27], 0
	v_mov_b32_e32 v4, s19
.LBB75_10:                              ; =>This Inner Loop Header: Depth=1
	v_ashrrev_i32_e32 v9, 31, v2
	v_mov_b32_e32 v8, v2
	v_lshlrev_b64 v[8:9], 2, v[8:9]
	v_ashrrev_i32_e32 v7, 31, v3
	v_mov_b32_e32 v6, v3
	v_add_co_u32_e64 v8, s[0:1], s18, v8
	v_lshlrev_b64 v[6:7], 2, v[6:7]
	v_addc_co_u32_e64 v9, s[0:1], v4, v9, s[0:1]
	v_add_co_u32_e64 v6, s[0:1], s18, v6
	v_addc_co_u32_e64 v7, s[0:1], v4, v7, s[0:1]
	global_load_dword v5, v[6:7], off
	global_load_dword v12, v[8:9], off
	v_add_u32_e32 v1, -1, v1
	v_subrev_u32_e32 v7, s47, v2
	v_cmp_eq_u32_e64 s[0:1], 0, v1
	v_subrev_u32_e32 v6, s47, v3
	v_add_u32_e32 v3, 0x80, v3
	v_add_u32_e32 v2, 0x80, v2
	v_lshlrev_b32_e32 v7, 2, v7
	s_or_b64 s[26:27], s[0:1], s[26:27]
	v_lshlrev_b32_e32 v6, 2, v6
	s_waitcnt vmcnt(1)
	v_subrev_u32_e32 v5, s21, v5
	s_waitcnt vmcnt(0)
	v_subrev_u32_e32 v8, s21, v12
	ds_write_b32 v7, v8 offset:51712
	ds_write_b32 v6, v5 offset:51712
	s_andn2_b64 exec, exec, s[26:27]
	s_cbranch_execnz .LBB75_10
.LBB75_11:
	s_or_b64 exec, exec, s[24:25]
	v_add_u32_e32 v1, 1, v14
	v_and_b32_e32 v2, 0x7fffffe, v1
	v_cmp_ne_u32_e64 s[0:1], v1, v2
	v_lshl_add_u32 v0, v2, 6, v0
	s_orn2_b64 s[24:25], s[0:1], exec
.LBB75_12:
	s_or_b64 exec, exec, s[22:23]
	s_andn2_b64 s[0:1], vcc, exec
	s_and_b64 s[22:23], s[24:25], exec
	s_or_b64 vcc, s[0:1], s[22:23]
.LBB75_13:
	s_or_b64 exec, exec, s[6:7]
	s_and_b64 exec, exec, vcc
	s_cbranch_execz .LBB75_16
; %bb.14:
	v_add_u32_e32 v1, s21, v0
	v_subrev_u32_e32 v1, s28, v1
	v_mov_b32_e32 v2, 0xca00
	v_lshl_add_u32 v2, v1, 2, v2
	s_mov_b64 s[0:1], 0
	v_mov_b32_e32 v3, s19
.LBB75_15:                              ; =>This Inner Loop Header: Depth=1
	v_ashrrev_i32_e32 v1, 31, v0
	v_lshlrev_b64 v[4:5], 2, v[0:1]
	v_add_co_u32_e32 v4, vcc, s18, v4
	v_addc_co_u32_e32 v5, vcc, v3, v5, vcc
	global_load_dword v1, v[4:5], off
	v_add_u32_e32 v0, 64, v0
	v_cmp_lt_i32_e32 vcc, s33, v0
	s_or_b64 s[0:1], vcc, s[0:1]
	s_waitcnt vmcnt(0)
	v_subrev_u32_e32 v1, s21, v1
	ds_write_b32 v2, v1
	v_add_u32_e32 v2, 0x100, v2
	s_andn2_b64 exec, exec, s[0:1]
	s_cbranch_execnz .LBB75_15
.LBB75_16:
	s_or_b64 exec, exec, s[2:3]
	s_load_dwordx2 s[22:23], s[4:5], 0x20
	v_cmp_gt_u32_e32 vcc, 32, v11
	v_lshlrev_b32_e32 v22, 4, v11
	s_and_saveexec_b64 s[0:1], vcc
	s_cbranch_execz .LBB75_19
; %bb.17:
	v_mul_u32_u24_e32 v0, 0x210, v10
	s_mov_b32 s2, 0x8400
	v_add3_u32 v5, v0, v22, s2
	v_mov_b32_e32 v0, 0
	v_add_u32_e32 v4, -2, v11
	s_mov_b64 s[2:3], 0
	v_mov_b32_e32 v1, v0
	v_mov_b32_e32 v2, v0
	;; [unrolled: 1-line block ×3, first 2 shown]
.LBB75_18:                              ; =>This Inner Loop Header: Depth=1
	v_add_u32_e32 v4, 2, v4
	v_cmp_lt_u32_e32 vcc, 29, v4
	ds_write_b128 v5, v[0:3]
	s_or_b64 s[2:3], vcc, s[2:3]
	v_add_u32_e32 v5, 32, v5
	s_andn2_b64 exec, exec, s[2:3]
	s_cbranch_execnz .LBB75_18
.LBB75_19:
	s_or_b64 exec, exec, s[0:1]
	s_load_dword s46, s[4:5], 0x8
	s_load_dword s48, s[4:5], 0x0
	s_cmp_ge_i32 s47, s33
	s_waitcnt lgkmcnt(0)
	v_cmp_gt_i32_e64 s[0:1], s46, v11
	s_cbranch_scc1 .LBB75_92
; %bb.20:
	s_cmp_eq_u32 s48, 0
	v_or_b32_e32 v0, v11, v10
	s_mul_i32 s6, s46, s47
	s_cselect_b64 s[24:25], -1, 0
	s_cmp_lg_u32 s48, 0
	v_cmp_ne_u32_e64 s[4:5], 0, v0
	s_movk_i32 s50, 0x210
	v_add_u32_e32 v0, s6, v10
	s_cselect_b64 s[26:27], -1, 0
	s_cmp_gt_i32 s46, 0
	v_mad_u32_u24 v24, v10, s50, v22
	v_mul_lo_u32 v26, s46, v0
	v_mov_b32_e32 v0, 0x4200
	s_mul_i32 s49, s46, s46
	v_cmp_gt_i32_e64 s[2:3], s46, v10
	v_mul_lo_u32 v23, v10, s46
	v_mul_lo_u32 v25, v11, s46
	s_cselect_b64 s[28:29], -1, 0
	s_lshl_b32 s51, s46, 1
	v_mad_u32_u24 v27, v10, s50, v0
	v_mad_u32_u24 v28, v11, s50, v0
	v_add_u32_e32 v29, 0x8400, v24
	v_add_u32_e32 v30, 0x4200, v24
	v_mov_b32_e32 v0, 0
	v_mul_u32_u24_e32 v31, 0x210, v10
	v_mov_b32_e32 v32, 0x3ff00000
	s_mov_b32 s30, s47
	s_branch .LBB75_22
.LBB75_21:                              ;   in Loop: Header=BB75_22 Depth=1
	s_or_b64 exec, exec, s[6:7]
	s_add_i32 s30, s30, 1
	s_cmp_ge_i32 s30, s33
	s_waitcnt vmcnt(0)
	buffer_wbinvl1_vol
	v_add_u32_e32 v26, s49, v26
	s_cselect_b64 s[6:7], -1, 0
	s_and_b64 vcc, exec, s[6:7]
	s_cbranch_vccnz .LBB75_92
.LBB75_22:                              ; =>This Loop Header: Depth=1
                                        ;     Child Loop BB75_26 Depth 2
                                        ;     Child Loop BB75_39 Depth 2
	;; [unrolled: 1-line block ×4, first 2 shown]
                                        ;       Child Loop BB75_57 Depth 3
                                        ;     Child Loop BB75_70 Depth 2
                                        ;       Child Loop BB75_77 Depth 3
                                        ;       Child Loop BB75_81 Depth 3
                                        ;     Child Loop BB75_86 Depth 2
	s_ashr_i32 s31, s30, 31
	s_lshl_b64 s[6:7], s[30:31], 2
	s_add_u32 s6, s18, s6
	s_addc_u32 s7, s19, s7
	s_load_dword s52, s[6:7], 0x0
	s_waitcnt lgkmcnt(0)
	s_sub_i32 s34, s52, s21
	s_ashr_i32 s35, s34, 31
	s_lshl_b64 s[6:7], s[34:35], 2
	s_add_u32 s36, s8, s6
	s_addc_u32 s37, s9, s7
	s_load_dword s53, s[36:37], 0x0
	s_waitcnt lgkmcnt(0)
	s_cmp_eq_u32 s53, -1
	s_cbranch_scc1 .LBB75_91
; %bb.23:                               ;   in Loop: Header=BB75_22 Depth=1
	s_add_u32 s36, s16, s6
	s_addc_u32 s37, s17, s7
	s_load_dword s35, s[36:37], 0x0
	s_mul_i32 s31, s30, s46
	s_and_saveexec_b64 s[36:37], s[0:1]
	s_cbranch_execz .LBB75_36
; %bb.24:                               ;   in Loop: Header=BB75_22 Depth=1
	s_mov_b64 s[38:39], 0
	v_mov_b32_e32 v8, v24
	v_mov_b32_e32 v9, v11
	s_branch .LBB75_26
.LBB75_25:                              ;   in Loop: Header=BB75_26 Depth=2
	s_or_b64 exec, exec, s[42:43]
	v_add_u32_e32 v9, 2, v9
	s_waitcnt vmcnt(0)
	ds_write_b128 v8, v[2:5] offset:16896
	v_mov_b32_e32 v1, v0
	v_mov_b32_e32 v2, v0
	;; [unrolled: 1-line block ×3, first 2 shown]
	v_cmp_le_i32_e32 vcc, s46, v9
	ds_write_b128 v8, v[0:3]
	s_or_b64 s[38:39], vcc, s[38:39]
	v_add_u32_e32 v8, 32, v8
	s_andn2_b64 exec, exec, s[38:39]
	s_cbranch_execz .LBB75_36
.LBB75_26:                              ;   Parent Loop BB75_22 Depth=1
                                        ; =>  This Inner Loop Header: Depth=2
	s_and_b64 vcc, exec, s[26:27]
	s_cbranch_vccz .LBB75_30
; %bb.27:                               ;   in Loop: Header=BB75_26 Depth=2
	s_mov_b64 s[42:43], 0
	s_mov_b64 s[40:41], 0
                                        ; implicit-def: $vgpr6
	s_and_saveexec_b64 s[44:45], s[2:3]
	s_xor_b64 s[44:45], exec, s[44:45]
; %bb.28:                               ;   in Loop: Header=BB75_26 Depth=2
	v_add_u32_e32 v1, s31, v9
	s_mov_b64 s[40:41], exec
	v_mad_u64_u32 v[6:7], s[54:55], v1, s46, v[10:11]
; %bb.29:                               ;   in Loop: Header=BB75_26 Depth=2
	s_or_b64 exec, exec, s[44:45]
	s_and_b64 vcc, exec, s[42:43]
	s_cbranch_vccnz .LBB75_31
	s_branch .LBB75_34
.LBB75_30:                              ;   in Loop: Header=BB75_26 Depth=2
	s_mov_b64 s[42:43], -1
	s_mov_b64 s[40:41], 0
                                        ; implicit-def: $vgpr6
	s_cbranch_execz .LBB75_34
.LBB75_31:                              ;   in Loop: Header=BB75_26 Depth=2
                                        ; implicit-def: $vgpr6
	s_and_saveexec_b64 s[42:43], s[2:3]
; %bb.32:                               ;   in Loop: Header=BB75_26 Depth=2
	v_add_u32_e32 v6, v26, v9
	s_or_b64 s[40:41], s[40:41], exec
; %bb.33:                               ;   in Loop: Header=BB75_26 Depth=2
	s_or_b64 exec, exec, s[42:43]
	s_mov_b64 s[42:43], 0
.LBB75_34:                              ;   in Loop: Header=BB75_26 Depth=2
	v_pk_mov_b32 v[2:3], s[42:43], s[42:43] op_sel:[0,1]
	v_pk_mov_b32 v[4:5], s[42:43], s[42:43] op_sel:[0,1]
	s_and_saveexec_b64 s[42:43], s[40:41]
	s_cbranch_execz .LBB75_25
; %bb.35:                               ;   in Loop: Header=BB75_26 Depth=2
	v_ashrrev_i32_e32 v7, 31, v6
	v_lshlrev_b64 v[2:3], 4, v[6:7]
	v_mov_b32_e32 v1, s23
	v_add_co_u32_e32 v2, vcc, s22, v2
	v_addc_co_u32_e32 v3, vcc, v1, v3, vcc
	global_load_dwordx4 v[2:5], v[2:3], off
	s_branch .LBB75_25
.LBB75_36:                              ;   in Loop: Header=BB75_22 Depth=1
	s_or_b64 exec, exec, s[36:37]
; %bb.37:                               ;   in Loop: Header=BB75_22 Depth=1
	ds_read_b32 v1, v0 offset:51712
	s_waitcnt lgkmcnt(0)
	s_sub_i32 s36, s35, s21
	s_cmp_le_i32 s36, s53
	s_cselect_b64 s[38:39], -1, 0
	s_mov_b32 s37, 0
	v_cmp_ge_i32_e32 vcc, s34, v1
	s_and_b64 s[38:39], s[38:39], vcc
	s_andn2_b64 vcc, exec, s[38:39]
	s_cbranch_vccnz .LBB75_49
; %bb.38:                               ;   in Loop: Header=BB75_22 Depth=1
	s_mov_b32 s35, 0
	s_mov_b32 s40, 0
.LBB75_39:                              ;   Parent Loop BB75_22 Depth=1
                                        ; =>  This Inner Loop Header: Depth=2
	s_ashr_i32 s37, s36, 31
	s_lshl_b64 s[38:39], s[36:37], 2
	s_add_u32 s38, s18, s38
	s_addc_u32 s39, s19, s39
	s_load_dword s37, s[38:39], 0x0
	s_lshl_b32 s38, s40, 2
	v_mov_b32_e32 v1, s38
	ds_read_b32 v1, v1 offset:51712
	s_mov_b64 s[38:39], -1
	s_waitcnt lgkmcnt(0)
	s_sub_i32 s44, s37, s21
                                        ; implicit-def: $sgpr37
                                        ; implicit-def: $sgpr43
                                        ; implicit-def: $sgpr42
	v_cmp_ge_i32_e32 vcc, s44, v1
	v_readfirstlane_b32 s41, v1
	s_cbranch_vccz .LBB75_45
; %bb.40:                               ;   in Loop: Header=BB75_39 Depth=2
	s_cmp_le_i32 s44, s41
                                        ; implicit-def: $sgpr37
                                        ; implicit-def: $sgpr43
                                        ; implicit-def: $sgpr42
	s_cbranch_scc0 .LBB75_42
; %bb.41:                               ;   in Loop: Header=BB75_39 Depth=2
	s_add_i32 s37, s40, s47
	s_mul_i32 s37, s37, s49
	s_lshl_b32 s38, s35, 2
	v_mov_b32_e32 v2, s37
	s_mul_i32 s37, s36, s49
	v_mov_b32_e32 v1, s38
	v_mov_b32_e32 v3, s37
	ds_write2st64_b32 v1, v3, v2 offset0:198 offset1:200
	s_add_i32 s42, s40, 1
	s_add_i32 s43, s36, 1
	;; [unrolled: 1-line block ×3, first 2 shown]
	s_mov_b64 s[38:39], 0
.LBB75_42:                              ;   in Loop: Header=BB75_39 Depth=2
	s_andn2_b64 vcc, exec, s[38:39]
	s_cbranch_vccnz .LBB75_44
; %bb.43:                               ;   in Loop: Header=BB75_39 Depth=2
	s_add_i32 s42, s40, 1
	s_mov_b32 s37, s35
	s_mov_b32 s43, s36
.LBB75_44:                              ;   in Loop: Header=BB75_39 Depth=2
	s_mov_b64 s[38:39], 0
.LBB75_45:                              ;   in Loop: Header=BB75_39 Depth=2
	s_andn2_b64 vcc, exec, s[38:39]
	s_cbranch_vccnz .LBB75_47
; %bb.46:                               ;   in Loop: Header=BB75_39 Depth=2
	s_add_i32 s43, s36, 1
	s_mov_b32 s42, s40
	s_mov_b32 s37, s35
.LBB75_47:                              ;   in Loop: Header=BB75_39 Depth=2
	s_cmp_le_i32 s43, s53
	s_cselect_b64 s[38:39], -1, 0
	s_cmp_le_i32 s41, s34
	s_cselect_b64 s[40:41], -1, 0
	s_and_b64 s[38:39], s[38:39], s[40:41]
	s_and_b64 vcc, exec, s[38:39]
	s_cbranch_vccz .LBB75_49
; %bb.48:                               ;   in Loop: Header=BB75_39 Depth=2
	s_mov_b32 s35, s37
	s_mov_b32 s36, s43
	;; [unrolled: 1-line block ×3, first 2 shown]
	s_branch .LBB75_39
.LBB75_49:                              ;   in Loop: Header=BB75_22 Depth=1
	s_add_u32 s6, s10, s6
	s_addc_u32 s7, s11, s7
	s_waitcnt lgkmcnt(0)
.LBB75_50:                              ;   Parent Loop BB75_22 Depth=1
                                        ; =>  This Inner Loop Header: Depth=2
	global_load_dword v1, v0, s[6:7] glc
	s_waitcnt vmcnt(0)
	v_cmp_eq_u32_e32 vcc, 0, v1
	s_cbranch_vccnz .LBB75_50
; %bb.51:                               ;   in Loop: Header=BB75_22 Depth=1
	s_cmp_lt_i32 s37, 2
	buffer_wbinvl1_vol
	s_cbranch_scc1 .LBB75_67
; %bb.52:                               ;   in Loop: Header=BB75_22 Depth=1
	s_add_i32 s40, s37, -2
	s_mov_b32 s41, 0
	s_branch .LBB75_54
.LBB75_53:                              ;   in Loop: Header=BB75_54 Depth=2
	s_or_b64 exec, exec, s[6:7]
	s_add_i32 s6, s41, 1
	s_cmp_eq_u32 s41, s40
	s_mov_b32 s41, s6
	s_cbranch_scc1 .LBB75_67
.LBB75_54:                              ;   Parent Loop BB75_22 Depth=1
                                        ; =>  This Loop Header: Depth=2
                                        ;       Child Loop BB75_57 Depth 3
	s_and_saveexec_b64 s[6:7], s[0:1]
	s_cbranch_execz .LBB75_53
; %bb.55:                               ;   in Loop: Header=BB75_54 Depth=2
	s_lshl_b32 s34, s41, 2
	v_mov_b32_e32 v1, s34
	ds_read2st64_b32 v[2:3], v1 offset0:198 offset1:200
	s_mov_b64 s[34:35], 0
	v_mov_b32_e32 v36, v11
	s_waitcnt lgkmcnt(0)
	v_add_u32_e32 v1, v3, v23
	v_add_u32_e32 v33, v10, v3
	;; [unrolled: 1-line block ×4, first 2 shown]
	s_branch .LBB75_57
.LBB75_56:                              ;   in Loop: Header=BB75_57 Depth=3
	v_lshlrev_b32_e32 v4, 4, v36
	v_mad_u32_u24 v8, v10, s50, v4
	ds_read_b128 v[4:7], v8
	v_add_u32_e32 v36, 2, v36
	v_cmp_le_i32_e32 vcc, s46, v36
	v_add_u32_e32 v34, 2, v34
	s_or_b64 s[34:35], vcc, s[34:35]
	s_waitcnt lgkmcnt(0)
	v_add_f64 v[4:5], v[20:21], v[4:5]
	v_add_f64 v[6:7], v[2:3], v[6:7]
	v_add_u32_e32 v35, s51, v35
	ds_write_b128 v8, v[4:7]
	s_andn2_b64 exec, exec, s[34:35]
	s_cbranch_execz .LBB75_53
.LBB75_57:                              ;   Parent Loop BB75_22 Depth=1
                                        ;     Parent Loop BB75_54 Depth=2
                                        ; =>    This Inner Loop Header: Depth=3
	v_pk_mov_b32 v[16:17], 0, 0
	s_mov_b32 s42, 0
	v_mov_b32_e32 v12, v34
	v_mov_b32_e32 v14, v33
	v_pk_mov_b32 v[18:19], v[16:17], v[16:17] op_sel:[0,1]
	s_and_b64 vcc, exec, s[26:27]
	s_cbranch_vccz .LBB75_61
.LBB75_58:                              ;   in Loop: Header=BB75_57 Depth=3
	v_ashrrev_i32_e32 v13, 31, v12
	v_lshlrev_b64 v[2:3], 4, v[12:13]
	v_mov_b32_e32 v4, s23
	v_add_co_u32_e32 v2, vcc, s22, v2
	v_addc_co_u32_e32 v3, vcc, v4, v3, vcc
	global_load_dwordx4 v[2:5], v[2:3], off
	v_pk_mov_b32 v[6:7], 0, 0
	s_mov_b64 s[36:37], 0
	v_pk_mov_b32 v[8:9], v[6:7], v[6:7] op_sel:[0,1]
	s_and_saveexec_b64 s[38:39], s[2:3]
	s_cbranch_execz .LBB75_60
; %bb.59:                               ;   in Loop: Header=BB75_57 Depth=3
	v_ashrrev_i32_e32 v15, 31, v14
	v_lshlrev_b64 v[6:7], 4, v[14:15]
	v_mov_b32_e32 v8, s23
	v_add_co_u32_e32 v6, vcc, s22, v6
	v_addc_co_u32_e32 v7, vcc, v8, v7, vcc
	global_load_dwordx4 v[6:9], v[6:7], off
.LBB75_60:                              ;   in Loop: Header=BB75_57 Depth=3
	s_or_b64 exec, exec, s[38:39]
	s_waitcnt vmcnt(0)
	v_fma_f64 v[20:21], v[2:3], v[6:7], v[18:19]
	v_fmac_f64_e32 v[20:21], v[4:5], v[8:9]
	v_fma_f64 v[4:5], v[4:5], v[6:7], v[16:17]
	v_fma_f64 v[2:3], v[2:3], -v[8:9], v[4:5]
	s_and_b64 vcc, exec, s[36:37]
	s_cbranch_vccnz .LBB75_62
	s_branch .LBB75_65
.LBB75_61:                              ;   in Loop: Header=BB75_57 Depth=3
                                        ; implicit-def: $vgpr2_vgpr3
                                        ; implicit-def: $vgpr20_vgpr21
	s_cbranch_execz .LBB75_65
.LBB75_62:                              ;   in Loop: Header=BB75_57 Depth=3
	v_add_u32_e32 v2, s42, v35
	v_ashrrev_i32_e32 v3, 31, v2
	v_lshlrev_b64 v[2:3], 4, v[2:3]
	v_mov_b32_e32 v4, s23
	v_add_co_u32_e32 v2, vcc, s22, v2
	v_addc_co_u32_e32 v3, vcc, v4, v3, vcc
	global_load_dwordx4 v[2:5], v[2:3], off
	v_pk_mov_b32 v[6:7], 0, 0
	v_pk_mov_b32 v[8:9], v[6:7], v[6:7] op_sel:[0,1]
	s_and_saveexec_b64 s[36:37], s[2:3]
	s_cbranch_execz .LBB75_64
; %bb.63:                               ;   in Loop: Header=BB75_57 Depth=3
	v_add_u32_e32 v6, s42, v1
	v_ashrrev_i32_e32 v7, 31, v6
	v_lshlrev_b64 v[6:7], 4, v[6:7]
	v_mov_b32_e32 v8, s23
	v_add_co_u32_e32 v6, vcc, s22, v6
	v_addc_co_u32_e32 v7, vcc, v8, v7, vcc
	global_load_dwordx4 v[6:9], v[6:7], off
.LBB75_64:                              ;   in Loop: Header=BB75_57 Depth=3
	s_or_b64 exec, exec, s[36:37]
	s_waitcnt vmcnt(0)
	v_fmac_f64_e32 v[18:19], v[2:3], v[6:7]
	v_fmac_f64_e32 v[18:19], v[4:5], v[8:9]
	;; [unrolled: 1-line block ×3, first 2 shown]
	v_fma_f64 v[2:3], v[2:3], -v[8:9], v[16:17]
	v_pk_mov_b32 v[20:21], v[18:19], v[18:19] op_sel:[0,1]
.LBB75_65:                              ;   in Loop: Header=BB75_57 Depth=3
	s_add_i32 s42, s42, 1
	v_add_u32_e32 v14, s46, v14
	s_cmp_eq_u32 s46, s42
	v_add_u32_e32 v12, s46, v12
	s_cbranch_scc1 .LBB75_56
; %bb.66:                               ;   in Loop: Header=BB75_57 Depth=3
	v_pk_mov_b32 v[16:17], v[2:3], v[2:3] op_sel:[0,1]
	v_pk_mov_b32 v[18:19], v[20:21], v[20:21] op_sel:[0,1]
	s_and_b64 vcc, exec, s[26:27]
	s_cbranch_vccz .LBB75_61
	s_branch .LBB75_58
.LBB75_67:                              ;   in Loop: Header=BB75_22 Depth=1
	s_andn2_b64 vcc, exec, s[28:29]
	s_waitcnt lgkmcnt(0)
	s_cbranch_vccnz .LBB75_82
; %bb.68:                               ;   in Loop: Header=BB75_22 Depth=1
	s_mul_i32 s36, s49, s53
	s_mov_b32 s37, 0
	v_mov_b32_e32 v1, v28
	s_mov_b32 s38, s36
	s_branch .LBB75_70
.LBB75_69:                              ;   in Loop: Header=BB75_70 Depth=2
	s_or_b64 exec, exec, s[6:7]
	s_add_i32 s37, s37, 1
	s_add_i32 s38, s38, 1
	s_cmp_eq_u32 s37, s46
	v_add_u32_e32 v1, 16, v1
	s_waitcnt lgkmcnt(0)
	s_cbranch_scc1 .LBB75_82
.LBB75_70:                              ;   Parent Loop BB75_22 Depth=1
                                        ; =>  This Loop Header: Depth=2
                                        ;       Child Loop BB75_77 Depth 3
                                        ;       Child Loop BB75_81 Depth 3
	s_mul_i32 s39, s37, s46
	s_add_i32 s39, s39, s36
	s_add_i32 s6, s39, s37
	s_ashr_i32 s7, s6, 31
	s_lshl_b64 s[6:7], s[6:7], 4
	s_add_u32 s6, s22, s6
	s_addc_u32 s7, s23, s7
	global_load_dwordx4 v[6:9], v0, s[6:7]
	v_lshl_add_u32 v16, s37, 4, v31
	ds_read_b128 v[2:5], v16 offset:16896
	s_waitcnt vmcnt(0)
	v_cmp_neq_f64_e32 vcc, 0, v[6:7]
	v_cmp_neq_f64_e64 s[6:7], 0, v[8:9]
	s_or_b64 vcc, vcc, s[6:7]
	s_or_b64 s[6:7], vcc, s[4:5]
	v_cndmask_b32_e32 v13, v32, v7, vcc
	v_cndmask_b32_e32 v12, 0, v6, vcc
	;; [unrolled: 1-line block ×3, first 2 shown]
	s_xor_b64 s[34:35], s[6:7], -1
	v_cndmask_b32_e32 v14, 0, v8, vcc
	s_and_saveexec_b64 s[6:7], s[34:35]
	s_cbranch_execz .LBB75_74
; %bb.71:                               ;   in Loop: Header=BB75_70 Depth=2
	v_mbcnt_lo_u32_b32 v6, exec_lo, 0
	v_mbcnt_hi_u32_b32 v6, exec_hi, v6
	v_cmp_eq_u32_e32 vcc, 0, v6
	s_and_saveexec_b64 s[34:35], vcc
	s_cbranch_execz .LBB75_73
; %bb.72:                               ;   in Loop: Header=BB75_70 Depth=2
	v_mov_b32_e32 v6, s52
	global_atomic_smin v0, v6, s[14:15]
.LBB75_73:                              ;   in Loop: Header=BB75_70 Depth=2
	s_or_b64 exec, exec, s[34:35]
	v_mov_b32_e32 v12, 0
	v_mov_b32_e32 v13, 0x3ff00000
	v_pk_mov_b32 v[14:15], 0, 0
.LBB75_74:                              ;   in Loop: Header=BB75_70 Depth=2
	s_or_b64 exec, exec, s[6:7]
	ds_read_b128 v[6:9], v16
	s_cmp_eq_u32 s37, 0
	s_cbranch_scc1 .LBB75_79
; %bb.75:                               ;   in Loop: Header=BB75_70 Depth=2
	s_mov_b32 s34, 0
	s_mov_b32 s35, s38
	v_mov_b32_e32 v17, v27
	s_branch .LBB75_77
.LBB75_76:                              ;   in Loop: Header=BB75_77 Depth=3
	s_ashr_i32 s7, s6, 31
	s_lshl_b64 s[6:7], s[6:7], 4
	s_add_u32 s6, s22, s6
	s_addc_u32 s7, s23, s7
	global_load_dwordx4 v[18:21], v0, s[6:7]
	ds_read_b128 v[34:37], v17
	s_add_i32 s34, s34, 1
	s_add_i32 s35, s35, s46
	s_cmp_ge_u32 s34, s37
	v_add_u32_e32 v17, 16, v17
	s_waitcnt vmcnt(0) lgkmcnt(0)
	v_fmac_f64_e32 v[6:7], v[18:19], v[34:35]
	v_fmac_f64_e32 v[8:9], v[20:21], v[34:35]
	;; [unrolled: 1-line block ×3, first 2 shown]
	v_fma_f64 v[8:9], v[18:19], -v[36:37], v[8:9]
	s_cbranch_scc1 .LBB75_79
.LBB75_77:                              ;   Parent Loop BB75_22 Depth=1
                                        ;     Parent Loop BB75_70 Depth=2
                                        ; =>    This Inner Loop Header: Depth=3
	s_andn2_b64 vcc, exec, s[24:25]
	s_mov_b32 s6, s35
	s_cbranch_vccnz .LBB75_76
; %bb.78:                               ;   in Loop: Header=BB75_77 Depth=3
	s_add_i32 s6, s34, s39
	s_branch .LBB75_76
.LBB75_79:                              ;   in Loop: Header=BB75_70 Depth=2
	v_mul_f64 v[18:19], v[14:15], v[14:15]
	v_fmac_f64_e32 v[18:19], v[12:13], v[12:13]
	v_div_scale_f64 v[20:21], s[6:7], v[18:19], v[18:19], 1.0
	v_rcp_f64_e32 v[34:35], v[20:21]
	s_waitcnt lgkmcnt(0)
	v_add_f64 v[6:7], v[2:3], -v[6:7]
	v_add_f64 v[4:5], v[4:5], -v[8:9]
	v_add_u32_e32 v16, 0x4200, v16
	v_fma_f64 v[2:3], -v[20:21], v[34:35], 1.0
	v_fmac_f64_e32 v[34:35], v[34:35], v[2:3]
	v_fma_f64 v[2:3], -v[20:21], v[34:35], 1.0
	v_fmac_f64_e32 v[34:35], v[34:35], v[2:3]
	v_div_scale_f64 v[2:3], vcc, 1.0, v[18:19], 1.0
	v_mul_f64 v[8:9], v[2:3], v[34:35]
	v_fma_f64 v[2:3], -v[20:21], v[8:9], v[2:3]
	s_nop 1
	v_div_fmas_f64 v[2:3], v[2:3], v[34:35], v[8:9]
	v_div_fixup_f64 v[8:9], v[2:3], v[18:19], 1.0
	v_mul_f64 v[2:3], v[14:15], v[4:5]
	v_fmac_f64_e32 v[2:3], v[6:7], v[12:13]
	v_mul_f64 v[6:7], v[14:15], -v[6:7]
	v_fmac_f64_e32 v[6:7], v[4:5], v[12:13]
	v_mul_f64 v[2:3], v[8:9], v[2:3]
	v_mul_f64 v[4:5], v[8:9], v[6:7]
	ds_write_b128 v16, v[2:5]
	s_waitcnt lgkmcnt(0)
	s_and_saveexec_b64 s[6:7], s[0:1]
	s_cbranch_execz .LBB75_69
; %bb.80:                               ;   in Loop: Header=BB75_70 Depth=2
	s_mov_b64 s[34:35], 0
	v_mov_b32_e32 v6, v29
	v_mov_b32_e32 v7, v1
	;; [unrolled: 1-line block ×3, first 2 shown]
.LBB75_81:                              ;   Parent Loop BB75_22 Depth=1
                                        ;     Parent Loop BB75_70 Depth=2
                                        ; =>    This Inner Loop Header: Depth=3
	ds_read_b128 v[12:15], v7
	ds_read_b128 v[16:19], v6
	v_add_u32_e32 v8, 2, v8
	v_cmp_le_i32_e32 vcc, s46, v8
	v_add_u32_e32 v7, 0x420, v7
	s_or_b64 s[34:35], vcc, s[34:35]
	s_waitcnt lgkmcnt(0)
	v_fmac_f64_e32 v[16:17], v[2:3], v[12:13]
	v_fmac_f64_e32 v[18:19], v[4:5], v[12:13]
	;; [unrolled: 1-line block ×3, first 2 shown]
	v_fma_f64 v[18:19], v[2:3], -v[14:15], v[18:19]
	ds_write_b128 v6, v[16:19]
	v_add_u32_e32 v6, 32, v6
	s_andn2_b64 exec, exec, s[34:35]
	s_cbranch_execnz .LBB75_81
	s_branch .LBB75_69
.LBB75_82:                              ;   in Loop: Header=BB75_22 Depth=1
	s_and_saveexec_b64 s[6:7], s[0:1]
	s_cbranch_execz .LBB75_21
; %bb.83:                               ;   in Loop: Header=BB75_22 Depth=1
	s_mov_b64 s[34:35], 0
	v_mov_b32_e32 v1, v30
	v_mov_b32_e32 v4, v11
	s_branch .LBB75_86
.LBB75_84:                              ;   in Loop: Header=BB75_86 Depth=2
	ds_read2_b64 v[6:9], v1 offset1:1
	v_ashrrev_i32_e32 v3, 31, v2
	v_lshlrev_b64 v[2:3], 4, v[2:3]
	v_mov_b32_e32 v5, s23
	v_add_co_u32_e32 v2, vcc, s22, v2
	v_addc_co_u32_e32 v3, vcc, v5, v3, vcc
	s_waitcnt lgkmcnt(0)
	global_store_dwordx4 v[2:3], v[6:9], off
.LBB75_85:                              ;   in Loop: Header=BB75_86 Depth=2
	s_or_b64 exec, exec, s[36:37]
	v_add_u32_e32 v4, 2, v4
	v_cmp_le_i32_e32 vcc, s46, v4
	s_or_b64 s[34:35], vcc, s[34:35]
	v_add_u32_e32 v1, 32, v1
	s_andn2_b64 exec, exec, s[34:35]
	s_cbranch_execz .LBB75_21
.LBB75_86:                              ;   Parent Loop BB75_22 Depth=1
                                        ; =>  This Inner Loop Header: Depth=2
	s_and_saveexec_b64 s[36:37], s[2:3]
	s_cbranch_execz .LBB75_85
; %bb.87:                               ;   in Loop: Header=BB75_86 Depth=2
	s_and_b64 vcc, exec, s[26:27]
	s_cbranch_vccz .LBB75_89
; %bb.88:                               ;   in Loop: Header=BB75_86 Depth=2
	v_add_u32_e32 v2, s31, v4
	v_mad_u64_u32 v[2:3], s[38:39], v2, s46, v[10:11]
	s_cbranch_execnz .LBB75_84
	s_branch .LBB75_90
.LBB75_89:                              ;   in Loop: Header=BB75_86 Depth=2
                                        ; implicit-def: $vgpr2
.LBB75_90:                              ;   in Loop: Header=BB75_86 Depth=2
	v_add_u32_e32 v2, v26, v4
	s_branch .LBB75_84
.LBB75_91:                              ;   in Loop: Header=BB75_22 Depth=1
                                        ; implicit-def: $sgpr30
                                        ; implicit-def: $vgpr26
	s_cbranch_execz .LBB75_22
.LBB75_92:
	v_cmp_gt_i32_e64 s[0:1], s46, v11
	s_and_saveexec_b64 s[4:5], s[0:1]
	s_cbranch_execz .LBB75_105
; %bb.93:
	s_mul_i32 s26, s33, s46
	v_add_u32_e32 v0, s26, v10
	s_cmp_lg_u32 s48, 0
	v_mul_lo_u32 v6, v0, s46
	v_mul_u32_u24_e32 v0, 0x210, v10
	s_movk_i32 s8, 0x4200
	s_cselect_b64 s[6:7], -1, 0
	v_cmp_gt_i32_e64 s[2:3], s46, v10
	v_add3_u32 v7, v0, v22, s8
	s_mov_b64 s[8:9], 0
	v_mov_b32_e32 v8, v11
	s_branch .LBB75_95
.LBB75_94:                              ;   in Loop: Header=BB75_95 Depth=1
	s_or_b64 exec, exec, s[18:19]
	v_add_u32_e32 v8, 2, v8
	v_cmp_le_i32_e32 vcc, s46, v8
	s_waitcnt vmcnt(0)
	ds_write_b128 v7, v[0:3]
	s_or_b64 s[8:9], vcc, s[8:9]
	v_add_u32_e32 v7, 32, v7
	s_andn2_b64 exec, exec, s[8:9]
	s_cbranch_execz .LBB75_105
.LBB75_95:                              ; =>This Inner Loop Header: Depth=1
	s_and_b64 vcc, exec, s[6:7]
	s_cbranch_vccz .LBB75_100
; %bb.96:                               ;   in Loop: Header=BB75_95 Depth=1
	s_mov_b64 s[18:19], 0
	s_mov_b64 s[16:17], 0
                                        ; implicit-def: $vgpr4
	s_and_saveexec_b64 s[24:25], s[2:3]
	s_xor_b64 s[24:25], exec, s[24:25]
; %bb.97:                               ;   in Loop: Header=BB75_95 Depth=1
	v_add_u32_e32 v0, s26, v8
	s_mov_b64 s[16:17], exec
	v_mad_u64_u32 v[4:5], s[28:29], v0, s46, v[10:11]
; %bb.98:                               ;   in Loop: Header=BB75_95 Depth=1
	s_or_b64 exec, exec, s[24:25]
	s_and_b64 vcc, exec, s[18:19]
	s_cbranch_vccnz .LBB75_101
.LBB75_99:                              ;   in Loop: Header=BB75_95 Depth=1
	v_pk_mov_b32 v[0:1], s[18:19], s[18:19] op_sel:[0,1]
	v_pk_mov_b32 v[2:3], s[18:19], s[18:19] op_sel:[0,1]
	s_and_saveexec_b64 s[18:19], s[16:17]
	s_cbranch_execz .LBB75_94
	s_branch .LBB75_104
.LBB75_100:                             ;   in Loop: Header=BB75_95 Depth=1
	s_mov_b64 s[18:19], -1
	s_mov_b64 s[16:17], 0
                                        ; implicit-def: $vgpr4
	s_cbranch_execz .LBB75_99
.LBB75_101:                             ;   in Loop: Header=BB75_95 Depth=1
                                        ; implicit-def: $vgpr4
	s_and_saveexec_b64 s[18:19], s[2:3]
; %bb.102:                              ;   in Loop: Header=BB75_95 Depth=1
	v_add_u32_e32 v4, v6, v8
	s_or_b64 s[16:17], s[16:17], exec
; %bb.103:                              ;   in Loop: Header=BB75_95 Depth=1
	s_or_b64 exec, exec, s[18:19]
	s_mov_b64 s[18:19], 0
	v_pk_mov_b32 v[0:1], s[18:19], s[18:19] op_sel:[0,1]
	v_pk_mov_b32 v[2:3], s[18:19], s[18:19] op_sel:[0,1]
	s_and_saveexec_b64 s[18:19], s[16:17]
	s_cbranch_execz .LBB75_94
.LBB75_104:                             ;   in Loop: Header=BB75_95 Depth=1
	v_ashrrev_i32_e32 v5, 31, v4
	v_lshlrev_b64 v[0:1], 4, v[4:5]
	v_mov_b32_e32 v2, s23
	v_add_co_u32_e32 v0, vcc, s22, v0
	v_addc_co_u32_e32 v1, vcc, v2, v1, vcc
	global_load_dwordx4 v[0:3], v[0:1], off
	s_branch .LBB75_94
.LBB75_105:
	s_or_b64 exec, exec, s[4:5]
; %bb.106:
	s_cmp_lt_i32 s46, 1
	s_waitcnt lgkmcnt(0)
	s_cbranch_scc1 .LBB75_125
; %bb.107:
	v_or_b32_e32 v0, v11, v10
	v_cmp_ne_u32_e64 s[2:3], 0, v0
	v_lshlrev_b32_e32 v0, 4, v10
	s_movk_i32 s24, 0x210
	v_mad_u32_u24 v0, v10, s24, v0
	v_add_u32_e32 v12, 0x4200, v0
	v_mul_u32_u24_e32 v13, 0x210, v10
	s_mov_b32 s4, 0x8400
	v_add_u32_e32 v14, 0x8400, v0
	v_mov_b32_e32 v0, 0x4200
	s_mov_b32 s6, 0
	s_mov_b32 s18, 0
	s_add_i32 s19, s20, s21
	v_mad_u32_u24 v15, v11, s24, v0
	v_add3_u32 v16, v13, v22, s4
	s_brev_b32 s7, 8
	v_mov_b32_e32 v17, 0x260
	v_mov_b32_e32 v18, 0x3ff00000
	;; [unrolled: 1-line block ×4, first 2 shown]
	s_branch .LBB75_109
.LBB75_108:                             ;   in Loop: Header=BB75_109 Depth=1
	s_or_b64 exec, exec, s[4:5]
	s_add_i32 s18, s18, 1
	s_cmp_eq_u32 s18, s46
	v_add_u32_e32 v15, 16, v15
	s_waitcnt lgkmcnt(0)
	s_cbranch_scc1 .LBB75_125
.LBB75_109:                             ; =>This Loop Header: Depth=1
                                        ;     Child Loop BB75_124 Depth 2
	v_cmp_eq_u32_e32 vcc, s18, v10
	s_and_saveexec_b64 s[4:5], vcc
	s_cbranch_execz .LBB75_117
; %bb.110:                              ;   in Loop: Header=BB75_109 Depth=1
	ds_read_b128 v[4:7], v14
	ds_read_b128 v[24:27], v12
	s_waitcnt lgkmcnt(0)
	v_add_f64 v[0:1], v[24:25], -v[4:5]
	v_add_f64 v[8:9], v[26:27], -v[6:7]
	v_xor_b32_e32 v3, 0x80000000, v1
	v_cmp_gt_f64_e32 vcc, 0, v[0:1]
	v_cndmask_b32_e32 v1, v1, v3, vcc
	v_cndmask_b32_e32 v0, v0, v0, vcc
	v_xor_b32_e32 v3, 0x80000000, v9
	v_cmp_gt_f64_e32 vcc, 0, v[8:9]
	v_cndmask_b32_e32 v5, v9, v3, vcc
	v_cndmask_b32_e32 v4, v8, v8, vcc
	v_cmp_ngt_f64_e32 vcc, v[0:1], v[4:5]
                                        ; implicit-def: $vgpr6_vgpr7
	s_and_saveexec_b64 s[8:9], vcc
	s_xor_b64 s[8:9], exec, s[8:9]
	s_cbranch_execz .LBB75_114
; %bb.111:                              ;   in Loop: Header=BB75_109 Depth=1
	v_cmp_neq_f64_e32 vcc, 0, v[8:9]
	v_pk_mov_b32 v[6:7], 0, 0
	s_and_saveexec_b64 s[16:17], vcc
	s_cbranch_execz .LBB75_113
; %bb.112:                              ;   in Loop: Header=BB75_109 Depth=1
	v_div_scale_f64 v[6:7], s[26:27], v[4:5], v[4:5], v[0:1]
	v_rcp_f64_e32 v[8:9], v[6:7]
	v_div_scale_f64 v[20:21], vcc, v[0:1], v[4:5], v[0:1]
	v_fma_f64 v[24:25], -v[6:7], v[8:9], 1.0
	v_fmac_f64_e32 v[8:9], v[8:9], v[24:25]
	v_fma_f64 v[24:25], -v[6:7], v[8:9], 1.0
	v_fmac_f64_e32 v[8:9], v[8:9], v[24:25]
	v_mul_f64 v[24:25], v[20:21], v[8:9]
	v_fma_f64 v[6:7], -v[6:7], v[24:25], v[20:21]
	v_div_fmas_f64 v[6:7], v[6:7], v[8:9], v[24:25]
	v_div_fixup_f64 v[0:1], v[6:7], v[4:5], v[0:1]
	v_fma_f64 v[0:1], v[0:1], v[0:1], 1.0
	v_cmp_gt_f64_e32 vcc, s[6:7], v[0:1]
	v_cndmask_b32_e64 v3, 0, 1, vcc
	v_lshlrev_b32_e32 v3, 8, v3
	v_ldexp_f64 v[0:1], v[0:1], v3
	v_rsq_f64_e32 v[6:7], v[0:1]
	v_cndmask_b32_e32 v3, 0, v19, vcc
	v_cmp_class_f64_e32 vcc, v[0:1], v17
	v_mul_f64 v[8:9], v[0:1], v[6:7]
	v_mul_f64 v[6:7], v[6:7], 0.5
	v_fma_f64 v[20:21], -v[6:7], v[8:9], 0.5
	v_fmac_f64_e32 v[8:9], v[8:9], v[20:21]
	v_fma_f64 v[24:25], -v[8:9], v[8:9], v[0:1]
	v_fmac_f64_e32 v[6:7], v[6:7], v[20:21]
	v_fmac_f64_e32 v[8:9], v[24:25], v[6:7]
	v_fma_f64 v[20:21], -v[8:9], v[8:9], v[0:1]
	v_fmac_f64_e32 v[8:9], v[20:21], v[6:7]
	v_ldexp_f64 v[6:7], v[8:9], v3
	v_cndmask_b32_e32 v1, v7, v1, vcc
	v_cndmask_b32_e32 v0, v6, v0, vcc
	v_mul_f64 v[6:7], v[4:5], v[0:1]
.LBB75_113:                             ;   in Loop: Header=BB75_109 Depth=1
	s_or_b64 exec, exec, s[16:17]
                                        ; implicit-def: $vgpr0_vgpr1
                                        ; implicit-def: $vgpr4_vgpr5
.LBB75_114:                             ;   in Loop: Header=BB75_109 Depth=1
	s_andn2_saveexec_b64 s[8:9], s[8:9]
	s_cbranch_execz .LBB75_116
; %bb.115:                              ;   in Loop: Header=BB75_109 Depth=1
	v_div_scale_f64 v[6:7], s[16:17], v[0:1], v[0:1], v[4:5]
	v_rcp_f64_e32 v[8:9], v[6:7]
	v_div_scale_f64 v[20:21], vcc, v[4:5], v[0:1], v[4:5]
	v_fma_f64 v[24:25], -v[6:7], v[8:9], 1.0
	v_fmac_f64_e32 v[8:9], v[8:9], v[24:25]
	v_fma_f64 v[24:25], -v[6:7], v[8:9], 1.0
	v_fmac_f64_e32 v[8:9], v[8:9], v[24:25]
	v_mul_f64 v[24:25], v[20:21], v[8:9]
	v_fma_f64 v[6:7], -v[6:7], v[24:25], v[20:21]
	v_div_fmas_f64 v[6:7], v[6:7], v[8:9], v[24:25]
	v_div_fixup_f64 v[4:5], v[6:7], v[0:1], v[4:5]
	v_fma_f64 v[4:5], v[4:5], v[4:5], 1.0
	v_cmp_gt_f64_e32 vcc, s[6:7], v[4:5]
	v_cndmask_b32_e64 v3, 0, 1, vcc
	v_lshlrev_b32_e32 v3, 8, v3
	v_ldexp_f64 v[4:5], v[4:5], v3
	v_rsq_f64_e32 v[6:7], v[4:5]
	v_cndmask_b32_e32 v3, 0, v19, vcc
	v_cmp_class_f64_e32 vcc, v[4:5], v17
	v_mul_f64 v[8:9], v[4:5], v[6:7]
	v_mul_f64 v[6:7], v[6:7], 0.5
	v_fma_f64 v[20:21], -v[6:7], v[8:9], 0.5
	v_fmac_f64_e32 v[8:9], v[8:9], v[20:21]
	v_fma_f64 v[24:25], -v[8:9], v[8:9], v[4:5]
	v_fmac_f64_e32 v[6:7], v[6:7], v[20:21]
	v_fmac_f64_e32 v[8:9], v[24:25], v[6:7]
	v_fma_f64 v[20:21], -v[8:9], v[8:9], v[4:5]
	v_fmac_f64_e32 v[8:9], v[20:21], v[6:7]
	v_ldexp_f64 v[6:7], v[8:9], v3
	v_cndmask_b32_e32 v5, v7, v5, vcc
	v_cndmask_b32_e32 v4, v6, v4, vcc
	v_mul_f64 v[6:7], v[0:1], v[4:5]
.LBB75_116:                             ;   in Loop: Header=BB75_109 Depth=1
	s_or_b64 exec, exec, s[8:9]
	v_cmp_gt_f64_e32 vcc, s[6:7], v[6:7]
	v_cndmask_b32_e64 v0, 0, 1, vcc
	v_lshlrev_b32_e32 v0, 8, v0
	v_ldexp_f64 v[0:1], v[6:7], v0
	v_rsq_f64_e32 v[4:5], v[0:1]
	v_cndmask_b32_e32 v3, 0, v19, vcc
	v_cmp_class_f64_e32 vcc, v[0:1], v17
	v_mul_f64 v[6:7], v[0:1], v[4:5]
	v_mul_f64 v[4:5], v[4:5], 0.5
	v_fma_f64 v[8:9], -v[4:5], v[6:7], 0.5
	v_fmac_f64_e32 v[6:7], v[6:7], v[8:9]
	v_fmac_f64_e32 v[4:5], v[4:5], v[8:9]
	v_fma_f64 v[8:9], -v[6:7], v[6:7], v[0:1]
	v_fmac_f64_e32 v[6:7], v[8:9], v[4:5]
	v_fma_f64 v[8:9], -v[6:7], v[6:7], v[0:1]
	v_fmac_f64_e32 v[6:7], v[8:9], v[4:5]
	v_ldexp_f64 v[4:5], v[6:7], v3
	v_cndmask_b32_e32 v1, v5, v1, vcc
	v_cndmask_b32_e32 v0, v4, v0, vcc
	v_mov_b32_e32 v3, v2
	ds_write_b128 v12, v[0:3]
.LBB75_117:                             ;   in Loop: Header=BB75_109 Depth=1
	s_or_b64 exec, exec, s[4:5]
	s_lshl_b32 s4, s18, 4
	s_mul_i32 s5, s18, 0x210
	s_add_i32 s5, s5, s4
	v_mov_b32_e32 v0, s5
	s_waitcnt lgkmcnt(0)
	ds_read_b128 v[24:27], v0 offset:16896
	v_mov_b32_e32 v0, s4
	v_mad_u32_u24 v3, v10, s24, v0
	ds_read_b128 v[4:7], v3 offset:16896
	s_waitcnt lgkmcnt(1)
	v_cmp_neq_f64_e32 vcc, 0, v[24:25]
	v_cmp_neq_f64_e64 s[4:5], 0, v[26:27]
	s_or_b64 vcc, vcc, s[4:5]
	s_or_b64 s[4:5], vcc, s[2:3]
	v_cndmask_b32_e32 v1, 0, v27, vcc
	s_xor_b64 s[8:9], s[4:5], -1
	v_cndmask_b32_e32 v0, 0, v26, vcc
	v_cndmask_b32_e32 v9, v18, v25, vcc
	;; [unrolled: 1-line block ×3, first 2 shown]
	s_and_saveexec_b64 s[4:5], s[8:9]
	s_cbranch_execz .LBB75_121
; %bb.118:                              ;   in Loop: Header=BB75_109 Depth=1
	v_mbcnt_lo_u32_b32 v0, exec_lo, 0
	v_mbcnt_hi_u32_b32 v0, exec_hi, v0
	v_cmp_eq_u32_e32 vcc, 0, v0
	s_and_saveexec_b64 s[8:9], vcc
	s_cbranch_execz .LBB75_120
; %bb.119:                              ;   in Loop: Header=BB75_109 Depth=1
	v_mov_b32_e32 v0, s19
	global_atomic_smin v2, v0, s[14:15]
.LBB75_120:                             ;   in Loop: Header=BB75_109 Depth=1
	s_or_b64 exec, exec, s[8:9]
	v_mov_b32_e32 v8, 0
	v_pk_mov_b32 v[0:1], 0, 0
	v_mov_b32_e32 v9, 0x3ff00000
.LBB75_121:                             ;   in Loop: Header=BB75_109 Depth=1
	s_or_b64 exec, exec, s[4:5]
	v_cmp_lt_u32_e32 vcc, s18, v10
	s_and_saveexec_b64 s[4:5], vcc
	s_cbranch_execz .LBB75_108
; %bb.122:                              ;   in Loop: Header=BB75_109 Depth=1
	v_lshl_add_u32 v20, s18, 4, v13
	ds_read_b128 v[24:27], v20 offset:33792
	v_mul_f64 v[20:21], v[0:1], v[0:1]
	v_fmac_f64_e32 v[20:21], v[8:9], v[8:9]
	v_div_scale_f64 v[28:29], s[8:9], v[20:21], v[20:21], 1.0
	v_rcp_f64_e32 v[30:31], v[28:29]
	s_waitcnt lgkmcnt(0)
	v_add_f64 v[24:25], v[4:5], -v[24:25]
	v_add_f64 v[6:7], v[6:7], -v[26:27]
	v_add_u32_e32 v3, 0x4200, v3
	v_fma_f64 v[4:5], -v[28:29], v[30:31], 1.0
	v_fmac_f64_e32 v[30:31], v[30:31], v[4:5]
	v_fma_f64 v[4:5], -v[28:29], v[30:31], 1.0
	v_fmac_f64_e32 v[30:31], v[30:31], v[4:5]
	v_div_scale_f64 v[4:5], vcc, 1.0, v[20:21], 1.0
	v_mul_f64 v[26:27], v[4:5], v[30:31]
	v_fma_f64 v[4:5], -v[28:29], v[26:27], v[4:5]
	s_nop 1
	v_div_fmas_f64 v[4:5], v[4:5], v[30:31], v[26:27]
	v_div_fixup_f64 v[20:21], v[4:5], v[20:21], 1.0
	v_mul_f64 v[4:5], v[0:1], v[6:7]
	v_mul_f64 v[0:1], v[0:1], -v[24:25]
	v_fmac_f64_e32 v[4:5], v[24:25], v[8:9]
	v_fmac_f64_e32 v[0:1], v[6:7], v[8:9]
	v_mul_f64 v[4:5], v[20:21], v[4:5]
	v_mul_f64 v[6:7], v[20:21], v[0:1]
	ds_write_b128 v3, v[4:7]
	s_waitcnt lgkmcnt(0)
	s_and_b64 exec, exec, s[0:1]
	s_cbranch_execz .LBB75_108
; %bb.123:                              ;   in Loop: Header=BB75_109 Depth=1
	s_mov_b64 s[8:9], 0
	v_mov_b32_e32 v0, v16
	v_mov_b32_e32 v1, v15
	;; [unrolled: 1-line block ×3, first 2 shown]
.LBB75_124:                             ;   Parent Loop BB75_109 Depth=1
                                        ; =>  This Inner Loop Header: Depth=2
	ds_read_b128 v[24:27], v1
	ds_read_b128 v[28:31], v0
	v_add_u32_e32 v3, 2, v3
	v_cmp_le_i32_e32 vcc, s46, v3
	v_add_u32_e32 v1, 0x420, v1
	s_or_b64 s[8:9], vcc, s[8:9]
	s_waitcnt lgkmcnt(0)
	v_fmac_f64_e32 v[28:29], v[4:5], v[24:25]
	v_fmac_f64_e32 v[30:31], v[6:7], v[24:25]
	;; [unrolled: 1-line block ×3, first 2 shown]
	v_fma_f64 v[30:31], v[4:5], -v[26:27], v[30:31]
	ds_write_b128 v0, v[28:31]
	v_add_u32_e32 v0, 32, v0
	s_andn2_b64 exec, exec, s[8:9]
	s_cbranch_execnz .LBB75_124
	s_branch .LBB75_108
.LBB75_125:
	s_and_saveexec_b64 s[2:3], s[0:1]
	s_cbranch_execz .LBB75_134
; %bb.126:
	s_mul_i32 s33, s33, s46
	v_add_u32_e32 v0, s33, v10
	s_cmp_lg_u32 s48, 0
	v_mul_lo_u32 v2, v0, s46
	v_mul_u32_u24_e32 v0, 0x210, v10
	s_movk_i32 s6, 0x4200
	v_cmp_gt_i32_e64 s[0:1], s46, v10
	s_cselect_b64 s[4:5], -1, 0
	v_add3_u32 v3, v0, v22, s6
	s_mov_b64 s[6:7], 0
	v_mov_b32_e32 v4, v11
	s_branch .LBB75_129
.LBB75_127:                             ;   in Loop: Header=BB75_129 Depth=1
	ds_read2_b64 v[6:9], v3 offset1:1
	v_ashrrev_i32_e32 v1, 31, v0
	v_lshlrev_b64 v[0:1], 4, v[0:1]
	v_mov_b32_e32 v5, s23
	v_add_co_u32_e32 v0, vcc, s22, v0
	v_addc_co_u32_e32 v1, vcc, v5, v1, vcc
	s_waitcnt lgkmcnt(0)
	global_store_dwordx4 v[0:1], v[6:9], off
.LBB75_128:                             ;   in Loop: Header=BB75_129 Depth=1
	s_or_b64 exec, exec, s[8:9]
	v_add_u32_e32 v4, 2, v4
	v_cmp_le_i32_e32 vcc, s46, v4
	s_or_b64 s[6:7], vcc, s[6:7]
	v_add_u32_e32 v3, 32, v3
	s_andn2_b64 exec, exec, s[6:7]
	s_cbranch_execz .LBB75_134
.LBB75_129:                             ; =>This Inner Loop Header: Depth=1
	s_and_saveexec_b64 s[8:9], s[0:1]
	s_cbranch_execz .LBB75_128
; %bb.130:                              ;   in Loop: Header=BB75_129 Depth=1
	s_and_b64 vcc, exec, s[4:5]
	s_cbranch_vccz .LBB75_132
; %bb.131:                              ;   in Loop: Header=BB75_129 Depth=1
	v_add_u32_e32 v0, s33, v4
	v_mad_u64_u32 v[0:1], s[16:17], v0, s46, v[10:11]
	s_cbranch_execnz .LBB75_127
	s_branch .LBB75_133
.LBB75_132:                             ;   in Loop: Header=BB75_129 Depth=1
                                        ; implicit-def: $vgpr0
.LBB75_133:                             ;   in Loop: Header=BB75_129 Depth=1
	v_add_u32_e32 v0, v2, v4
	s_branch .LBB75_127
.LBB75_134:
	s_or_b64 exec, exec, s[2:3]
	v_or_b32_e32 v0, v11, v10
	v_cmp_eq_u32_e64 s[0:1], 0, v0
.LBB75_135:
	s_and_saveexec_b64 s[2:3], s[0:1]
	s_cbranch_execnz .LBB75_143
.LBB75_136:
	s_endpgm
.LBB75_137:
	s_mov_b64 s[0:1], 0
	s_cbranch_execz .LBB75_135
; %bb.138:
	v_or_b32_e32 v0, v11, v10
	v_cmp_eq_u32_e32 vcc, 0, v0
	s_and_saveexec_b64 s[2:3], vcc
	s_cbranch_execz .LBB75_142
; %bb.139:
	v_mbcnt_lo_u32_b32 v0, exec_lo, 0
	v_mbcnt_hi_u32_b32 v0, exec_hi, v0
	v_cmp_eq_u32_e32 vcc, 0, v0
	s_and_saveexec_b64 s[4:5], vcc
	s_cbranch_execz .LBB75_141
; %bb.140:
	s_add_i32 s6, s20, s21
	v_mov_b32_e32 v0, 0
	v_mov_b32_e32 v1, s6
	global_atomic_smin v0, v1, s[14:15]
.LBB75_141:
	s_or_b64 exec, exec, s[4:5]
	s_or_b64 s[0:1], s[0:1], exec
.LBB75_142:
	s_or_b64 exec, exec, s[2:3]
	s_and_saveexec_b64 s[2:3], s[0:1]
	s_cbranch_execz .LBB75_136
.LBB75_143:
	s_add_u32 s0, s10, s12
	s_addc_u32 s1, s11, s13
	v_mov_b32_e32 v0, 0
	v_mov_b32_e32 v1, 1
	s_waitcnt vmcnt(0)
	global_store_dword v0, v1, s[0:1]
	s_endpgm
	.section	.rodata,"a",@progbits
	.p2align	6, 0x0
	.amdhsa_kernel _ZN9rocsparseL19bsric0_17_32_kernelILi64ELi128ELi32E21rocsparse_complex_numIdEEEv20rocsparse_direction_iiPKiS5_PT2_S5_PiS5_S8_21rocsparse_index_base_
		.amdhsa_group_segment_fixed_size 52224
		.amdhsa_private_segment_fixed_size 0
		.amdhsa_kernarg_size 76
		.amdhsa_user_sgpr_count 6
		.amdhsa_user_sgpr_private_segment_buffer 1
		.amdhsa_user_sgpr_dispatch_ptr 0
		.amdhsa_user_sgpr_queue_ptr 0
		.amdhsa_user_sgpr_kernarg_segment_ptr 1
		.amdhsa_user_sgpr_dispatch_id 0
		.amdhsa_user_sgpr_flat_scratch_init 0
		.amdhsa_user_sgpr_kernarg_preload_length 0
		.amdhsa_user_sgpr_kernarg_preload_offset 0
		.amdhsa_user_sgpr_private_segment_size 0
		.amdhsa_uses_dynamic_stack 0
		.amdhsa_system_sgpr_private_segment_wavefront_offset 0
		.amdhsa_system_sgpr_workgroup_id_x 1
		.amdhsa_system_sgpr_workgroup_id_y 0
		.amdhsa_system_sgpr_workgroup_id_z 0
		.amdhsa_system_sgpr_workgroup_info 0
		.amdhsa_system_vgpr_workitem_id 1
		.amdhsa_next_free_vgpr 70
		.amdhsa_next_free_sgpr 56
		.amdhsa_accum_offset 72
		.amdhsa_reserve_vcc 1
		.amdhsa_reserve_flat_scratch 0
		.amdhsa_float_round_mode_32 0
		.amdhsa_float_round_mode_16_64 0
		.amdhsa_float_denorm_mode_32 3
		.amdhsa_float_denorm_mode_16_64 3
		.amdhsa_dx10_clamp 1
		.amdhsa_ieee_mode 1
		.amdhsa_fp16_overflow 0
		.amdhsa_tg_split 0
		.amdhsa_exception_fp_ieee_invalid_op 0
		.amdhsa_exception_fp_denorm_src 0
		.amdhsa_exception_fp_ieee_div_zero 0
		.amdhsa_exception_fp_ieee_overflow 0
		.amdhsa_exception_fp_ieee_underflow 0
		.amdhsa_exception_fp_ieee_inexact 0
		.amdhsa_exception_int_div_zero 0
	.end_amdhsa_kernel
	.section	.text._ZN9rocsparseL19bsric0_17_32_kernelILi64ELi128ELi32E21rocsparse_complex_numIdEEEv20rocsparse_direction_iiPKiS5_PT2_S5_PiS5_S8_21rocsparse_index_base_,"axG",@progbits,_ZN9rocsparseL19bsric0_17_32_kernelILi64ELi128ELi32E21rocsparse_complex_numIdEEEv20rocsparse_direction_iiPKiS5_PT2_S5_PiS5_S8_21rocsparse_index_base_,comdat
.Lfunc_end75:
	.size	_ZN9rocsparseL19bsric0_17_32_kernelILi64ELi128ELi32E21rocsparse_complex_numIdEEEv20rocsparse_direction_iiPKiS5_PT2_S5_PiS5_S8_21rocsparse_index_base_, .Lfunc_end75-_ZN9rocsparseL19bsric0_17_32_kernelILi64ELi128ELi32E21rocsparse_complex_numIdEEEv20rocsparse_direction_iiPKiS5_PT2_S5_PiS5_S8_21rocsparse_index_base_
                                        ; -- End function
	.section	.AMDGPU.csdata,"",@progbits
; Kernel info:
; codeLenInByte = 6056
; NumSgprs: 60
; NumVgprs: 70
; NumAgprs: 0
; TotalNumVgprs: 70
; ScratchSize: 0
; MemoryBound: 1
; FloatMode: 240
; IeeeMode: 1
; LDSByteSize: 52224 bytes/workgroup (compile time only)
; SGPRBlocks: 7
; VGPRBlocks: 8
; NumSGPRsForWavesPerEU: 60
; NumVGPRsForWavesPerEU: 70
; AccumOffset: 72
; Occupancy: 1
; WaveLimiterHint : 1
; COMPUTE_PGM_RSRC2:SCRATCH_EN: 0
; COMPUTE_PGM_RSRC2:USER_SGPR: 6
; COMPUTE_PGM_RSRC2:TRAP_HANDLER: 0
; COMPUTE_PGM_RSRC2:TGID_X_EN: 1
; COMPUTE_PGM_RSRC2:TGID_Y_EN: 0
; COMPUTE_PGM_RSRC2:TGID_Z_EN: 0
; COMPUTE_PGM_RSRC2:TIDIG_COMP_CNT: 1
; COMPUTE_PGM_RSRC3_GFX90A:ACCUM_OFFSET: 17
; COMPUTE_PGM_RSRC3_GFX90A:TG_SPLIT: 0
	.text
	.p2alignl 6, 3212836864
	.fill 256, 4, 3212836864
	.type	__hip_cuid_b478dba815407a6c,@object ; @__hip_cuid_b478dba815407a6c
	.section	.bss,"aw",@nobits
	.globl	__hip_cuid_b478dba815407a6c
__hip_cuid_b478dba815407a6c:
	.byte	0                               ; 0x0
	.size	__hip_cuid_b478dba815407a6c, 1

	.ident	"AMD clang version 19.0.0git (https://github.com/RadeonOpenCompute/llvm-project roc-6.4.0 25133 c7fe45cf4b819c5991fe208aaa96edf142730f1d)"
	.section	".note.GNU-stack","",@progbits
	.addrsig
	.addrsig_sym __hip_cuid_b478dba815407a6c
	.amdgpu_metadata
---
amdhsa.kernels:
  - .agpr_count:     0
    .args:
      - .offset:         0
        .size:           4
        .value_kind:     by_value
      - .offset:         4
        .size:           4
        .value_kind:     by_value
      - .offset:         8
        .size:           4
        .value_kind:     by_value
      - .actual_access:  read_only
        .address_space:  global
        .offset:         16
        .size:           8
        .value_kind:     global_buffer
      - .actual_access:  read_only
        .address_space:  global
        .offset:         24
        .size:           8
        .value_kind:     global_buffer
      - .address_space:  global
        .offset:         32
        .size:           8
        .value_kind:     global_buffer
      - .actual_access:  read_only
        .address_space:  global
        .offset:         40
        .size:           8
        .value_kind:     global_buffer
      - .address_space:  global
        .offset:         48
        .size:           8
        .value_kind:     global_buffer
      - .actual_access:  read_only
        .address_space:  global
        .offset:         56
        .size:           8
        .value_kind:     global_buffer
      - .address_space:  global
        .offset:         64
        .size:           8
        .value_kind:     global_buffer
      - .offset:         72
        .size:           4
        .value_kind:     by_value
    .group_segment_fixed_size: 0
    .kernarg_segment_align: 8
    .kernarg_segment_size: 76
    .language:       OpenCL C
    .language_version:
      - 2
      - 0
    .max_flat_workgroup_size: 32
    .name:           _ZN9rocsparseL23bsric0_binsearch_kernelILj32ELj32ELb0EfEEv20rocsparse_direction_iiPKiS3_PT2_S3_PiS3_S6_21rocsparse_index_base_
    .private_segment_fixed_size: 0
    .sgpr_count:     62
    .sgpr_spill_count: 0
    .symbol:         _ZN9rocsparseL23bsric0_binsearch_kernelILj32ELj32ELb0EfEEv20rocsparse_direction_iiPKiS3_PT2_S3_PiS3_S6_21rocsparse_index_base_.kd
    .uniform_work_group_size: 1
    .uses_dynamic_stack: false
    .vgpr_count:     45
    .vgpr_spill_count: 0
    .wavefront_size: 64
  - .agpr_count:     0
    .args:
      - .offset:         0
        .size:           4
        .value_kind:     by_value
      - .offset:         4
        .size:           4
        .value_kind:     by_value
      - .offset:         8
        .size:           4
        .value_kind:     by_value
      - .actual_access:  read_only
        .address_space:  global
        .offset:         16
        .size:           8
        .value_kind:     global_buffer
      - .actual_access:  read_only
        .address_space:  global
        .offset:         24
        .size:           8
        .value_kind:     global_buffer
      - .address_space:  global
        .offset:         32
        .size:           8
        .value_kind:     global_buffer
      - .actual_access:  read_only
        .address_space:  global
        .offset:         40
        .size:           8
        .value_kind:     global_buffer
      - .address_space:  global
        .offset:         48
        .size:           8
        .value_kind:     global_buffer
      - .actual_access:  read_only
        .address_space:  global
        .offset:         56
        .size:           8
        .value_kind:     global_buffer
      - .address_space:  global
        .offset:         64
        .size:           8
        .value_kind:     global_buffer
      - .offset:         72
        .size:           4
        .value_kind:     by_value
    .group_segment_fixed_size: 0
    .kernarg_segment_align: 8
    .kernarg_segment_size: 76
    .language:       OpenCL C
    .language_version:
      - 2
      - 0
    .max_flat_workgroup_size: 64
    .name:           _ZN9rocsparseL23bsric0_binsearch_kernelILj64ELj64ELb1EfEEv20rocsparse_direction_iiPKiS3_PT2_S3_PiS3_S6_21rocsparse_index_base_
    .private_segment_fixed_size: 0
    .sgpr_count:     62
    .sgpr_spill_count: 0
    .symbol:         _ZN9rocsparseL23bsric0_binsearch_kernelILj64ELj64ELb1EfEEv20rocsparse_direction_iiPKiS3_PT2_S3_PiS3_S6_21rocsparse_index_base_.kd
    .uniform_work_group_size: 1
    .uses_dynamic_stack: false
    .vgpr_count:     45
    .vgpr_spill_count: 0
    .wavefront_size: 64
  - .agpr_count:     0
    .args:
      - .offset:         0
        .size:           4
        .value_kind:     by_value
      - .offset:         4
        .size:           4
        .value_kind:     by_value
      - .offset:         8
        .size:           4
        .value_kind:     by_value
      - .actual_access:  read_only
        .address_space:  global
        .offset:         16
        .size:           8
        .value_kind:     global_buffer
      - .actual_access:  read_only
        .address_space:  global
        .offset:         24
        .size:           8
        .value_kind:     global_buffer
      - .address_space:  global
        .offset:         32
        .size:           8
        .value_kind:     global_buffer
      - .actual_access:  read_only
        .address_space:  global
        .offset:         40
        .size:           8
        .value_kind:     global_buffer
      - .address_space:  global
        .offset:         48
        .size:           8
        .value_kind:     global_buffer
      - .actual_access:  read_only
        .address_space:  global
        .offset:         56
        .size:           8
        .value_kind:     global_buffer
      - .address_space:  global
        .offset:         64
        .size:           8
        .value_kind:     global_buffer
      - .offset:         72
        .size:           4
        .value_kind:     by_value
    .group_segment_fixed_size: 416
    .kernarg_segment_align: 8
    .kernarg_segment_size: 76
    .language:       OpenCL C
    .language_version:
      - 2
      - 0
    .max_flat_workgroup_size: 1
    .name:           _ZN9rocsparseL26bsric0_2_8_unrolled_kernelILi1ELi32ELi1EfEEv20rocsparse_direction_iiPKiS3_PT2_S3_PiS3_S6_21rocsparse_index_base_
    .private_segment_fixed_size: 0
    .sgpr_count:     43
    .sgpr_spill_count: 0
    .symbol:         _ZN9rocsparseL26bsric0_2_8_unrolled_kernelILi1ELi32ELi1EfEEv20rocsparse_direction_iiPKiS3_PT2_S3_PiS3_S6_21rocsparse_index_base_.kd
    .uniform_work_group_size: 1
    .uses_dynamic_stack: false
    .vgpr_count:     54
    .vgpr_spill_count: 0
    .wavefront_size: 64
  - .agpr_count:     0
    .args:
      - .offset:         0
        .size:           4
        .value_kind:     by_value
      - .offset:         4
        .size:           4
        .value_kind:     by_value
      - .offset:         8
        .size:           4
        .value_kind:     by_value
      - .actual_access:  read_only
        .address_space:  global
        .offset:         16
        .size:           8
        .value_kind:     global_buffer
      - .actual_access:  read_only
        .address_space:  global
        .offset:         24
        .size:           8
        .value_kind:     global_buffer
      - .address_space:  global
        .offset:         32
        .size:           8
        .value_kind:     global_buffer
      - .actual_access:  read_only
        .address_space:  global
        .offset:         40
        .size:           8
        .value_kind:     global_buffer
      - .address_space:  global
        .offset:         48
        .size:           8
        .value_kind:     global_buffer
      - .actual_access:  read_only
        .address_space:  global
        .offset:         56
        .size:           8
        .value_kind:     global_buffer
      - .address_space:  global
        .offset:         64
        .size:           8
        .value_kind:     global_buffer
      - .offset:         72
        .size:           4
        .value_kind:     by_value
    .group_segment_fixed_size: 504
    .kernarg_segment_align: 8
    .kernarg_segment_size: 76
    .language:       OpenCL C
    .language_version:
      - 2
      - 0
    .max_flat_workgroup_size: 4
    .name:           _ZN9rocsparseL26bsric0_2_8_unrolled_kernelILi4ELi32ELi2EfEEv20rocsparse_direction_iiPKiS3_PT2_S3_PiS3_S6_21rocsparse_index_base_
    .private_segment_fixed_size: 0
    .sgpr_count:     44
    .sgpr_spill_count: 0
    .symbol:         _ZN9rocsparseL26bsric0_2_8_unrolled_kernelILi4ELi32ELi2EfEEv20rocsparse_direction_iiPKiS3_PT2_S3_PiS3_S6_21rocsparse_index_base_.kd
    .uniform_work_group_size: 1
    .uses_dynamic_stack: false
    .vgpr_count:     72
    .vgpr_spill_count: 0
    .wavefront_size: 64
  - .agpr_count:     0
    .args:
      - .offset:         0
        .size:           4
        .value_kind:     by_value
      - .offset:         4
        .size:           4
        .value_kind:     by_value
      - .offset:         8
        .size:           4
        .value_kind:     by_value
      - .actual_access:  read_only
        .address_space:  global
        .offset:         16
        .size:           8
        .value_kind:     global_buffer
      - .actual_access:  read_only
        .address_space:  global
        .offset:         24
        .size:           8
        .value_kind:     global_buffer
      - .address_space:  global
        .offset:         32
        .size:           8
        .value_kind:     global_buffer
      - .actual_access:  read_only
        .address_space:  global
        .offset:         40
        .size:           8
        .value_kind:     global_buffer
      - .address_space:  global
        .offset:         48
        .size:           8
        .value_kind:     global_buffer
      - .actual_access:  read_only
        .address_space:  global
        .offset:         56
        .size:           8
        .value_kind:     global_buffer
      - .address_space:  global
        .offset:         64
        .size:           8
        .value_kind:     global_buffer
      - .offset:         72
        .size:           4
        .value_kind:     by_value
    .group_segment_fixed_size: 576
    .kernarg_segment_align: 8
    .kernarg_segment_size: 76
    .language:       OpenCL C
    .language_version:
      - 2
      - 0
    .max_flat_workgroup_size: 9
    .name:           _ZN9rocsparseL26bsric0_2_8_unrolled_kernelILi9ELi32ELi3EfEEv20rocsparse_direction_iiPKiS3_PT2_S3_PiS3_S6_21rocsparse_index_base_
    .private_segment_fixed_size: 0
    .sgpr_count:     44
    .sgpr_spill_count: 0
    .symbol:         _ZN9rocsparseL26bsric0_2_8_unrolled_kernelILi9ELi32ELi3EfEEv20rocsparse_direction_iiPKiS3_PT2_S3_PiS3_S6_21rocsparse_index_base_.kd
    .uniform_work_group_size: 1
    .uses_dynamic_stack: false
    .vgpr_count:     72
    .vgpr_spill_count: 0
    .wavefront_size: 64
  - .agpr_count:     0
    .args:
      - .offset:         0
        .size:           4
        .value_kind:     by_value
      - .offset:         4
        .size:           4
        .value_kind:     by_value
      - .offset:         8
        .size:           4
        .value_kind:     by_value
      - .actual_access:  read_only
        .address_space:  global
        .offset:         16
        .size:           8
        .value_kind:     global_buffer
      - .actual_access:  read_only
        .address_space:  global
        .offset:         24
        .size:           8
        .value_kind:     global_buffer
      - .address_space:  global
        .offset:         32
        .size:           8
        .value_kind:     global_buffer
      - .actual_access:  read_only
        .address_space:  global
        .offset:         40
        .size:           8
        .value_kind:     global_buffer
      - .address_space:  global
        .offset:         48
        .size:           8
        .value_kind:     global_buffer
      - .actual_access:  read_only
        .address_space:  global
        .offset:         56
        .size:           8
        .value_kind:     global_buffer
      - .address_space:  global
        .offset:         64
        .size:           8
        .value_kind:     global_buffer
      - .offset:         72
        .size:           4
        .value_kind:     by_value
    .group_segment_fixed_size: 704
    .kernarg_segment_align: 8
    .kernarg_segment_size: 76
    .language:       OpenCL C
    .language_version:
      - 2
      - 0
    .max_flat_workgroup_size: 16
    .name:           _ZN9rocsparseL26bsric0_2_8_unrolled_kernelILi16ELi32ELi4EfEEv20rocsparse_direction_iiPKiS3_PT2_S3_PiS3_S6_21rocsparse_index_base_
    .private_segment_fixed_size: 0
    .sgpr_count:     44
    .sgpr_spill_count: 0
    .symbol:         _ZN9rocsparseL26bsric0_2_8_unrolled_kernelILi16ELi32ELi4EfEEv20rocsparse_direction_iiPKiS3_PT2_S3_PiS3_S6_21rocsparse_index_base_.kd
    .uniform_work_group_size: 1
    .uses_dynamic_stack: false
    .vgpr_count:     72
    .vgpr_spill_count: 0
    .wavefront_size: 64
  - .agpr_count:     0
    .args:
      - .offset:         0
        .size:           4
        .value_kind:     by_value
      - .offset:         4
        .size:           4
        .value_kind:     by_value
      - .offset:         8
        .size:           4
        .value_kind:     by_value
      - .actual_access:  read_only
        .address_space:  global
        .offset:         16
        .size:           8
        .value_kind:     global_buffer
      - .actual_access:  read_only
        .address_space:  global
        .offset:         24
        .size:           8
        .value_kind:     global_buffer
      - .address_space:  global
        .offset:         32
        .size:           8
        .value_kind:     global_buffer
      - .actual_access:  read_only
        .address_space:  global
        .offset:         40
        .size:           8
        .value_kind:     global_buffer
      - .address_space:  global
        .offset:         48
        .size:           8
        .value_kind:     global_buffer
      - .actual_access:  read_only
        .address_space:  global
        .offset:         56
        .size:           8
        .value_kind:     global_buffer
      - .address_space:  global
        .offset:         64
        .size:           8
        .value_kind:     global_buffer
      - .offset:         72
        .size:           4
        .value_kind:     by_value
    .group_segment_fixed_size: 888
    .kernarg_segment_align: 8
    .kernarg_segment_size: 76
    .language:       OpenCL C
    .language_version:
      - 2
      - 0
    .max_flat_workgroup_size: 25
    .name:           _ZN9rocsparseL26bsric0_2_8_unrolled_kernelILi25ELi32ELi5EfEEv20rocsparse_direction_iiPKiS3_PT2_S3_PiS3_S6_21rocsparse_index_base_
    .private_segment_fixed_size: 0
    .sgpr_count:     44
    .sgpr_spill_count: 0
    .symbol:         _ZN9rocsparseL26bsric0_2_8_unrolled_kernelILi25ELi32ELi5EfEEv20rocsparse_direction_iiPKiS3_PT2_S3_PiS3_S6_21rocsparse_index_base_.kd
    .uniform_work_group_size: 1
    .uses_dynamic_stack: false
    .vgpr_count:     72
    .vgpr_spill_count: 0
    .wavefront_size: 64
  - .agpr_count:     0
    .args:
      - .offset:         0
        .size:           4
        .value_kind:     by_value
      - .offset:         4
        .size:           4
        .value_kind:     by_value
      - .offset:         8
        .size:           4
        .value_kind:     by_value
      - .actual_access:  read_only
        .address_space:  global
        .offset:         16
        .size:           8
        .value_kind:     global_buffer
      - .actual_access:  read_only
        .address_space:  global
        .offset:         24
        .size:           8
        .value_kind:     global_buffer
      - .address_space:  global
        .offset:         32
        .size:           8
        .value_kind:     global_buffer
      - .actual_access:  read_only
        .address_space:  global
        .offset:         40
        .size:           8
        .value_kind:     global_buffer
      - .address_space:  global
        .offset:         48
        .size:           8
        .value_kind:     global_buffer
      - .actual_access:  read_only
        .address_space:  global
        .offset:         56
        .size:           8
        .value_kind:     global_buffer
      - .address_space:  global
        .offset:         64
        .size:           8
        .value_kind:     global_buffer
      - .offset:         72
        .size:           4
        .value_kind:     by_value
    .group_segment_fixed_size: 1088
    .kernarg_segment_align: 8
    .kernarg_segment_size: 76
    .language:       OpenCL C
    .language_version:
      - 2
      - 0
    .max_flat_workgroup_size: 36
    .name:           _ZN9rocsparseL26bsric0_2_8_unrolled_kernelILi36ELi32ELi6EfEEv20rocsparse_direction_iiPKiS3_PT2_S3_PiS3_S6_21rocsparse_index_base_
    .private_segment_fixed_size: 0
    .sgpr_count:     44
    .sgpr_spill_count: 0
    .symbol:         _ZN9rocsparseL26bsric0_2_8_unrolled_kernelILi36ELi32ELi6EfEEv20rocsparse_direction_iiPKiS3_PT2_S3_PiS3_S6_21rocsparse_index_base_.kd
    .uniform_work_group_size: 1
    .uses_dynamic_stack: false
    .vgpr_count:     72
    .vgpr_spill_count: 0
    .wavefront_size: 64
  - .agpr_count:     0
    .args:
      - .offset:         0
        .size:           4
        .value_kind:     by_value
      - .offset:         4
        .size:           4
        .value_kind:     by_value
      - .offset:         8
        .size:           4
        .value_kind:     by_value
      - .actual_access:  read_only
        .address_space:  global
        .offset:         16
        .size:           8
        .value_kind:     global_buffer
      - .actual_access:  read_only
        .address_space:  global
        .offset:         24
        .size:           8
        .value_kind:     global_buffer
      - .address_space:  global
        .offset:         32
        .size:           8
        .value_kind:     global_buffer
      - .actual_access:  read_only
        .address_space:  global
        .offset:         40
        .size:           8
        .value_kind:     global_buffer
      - .address_space:  global
        .offset:         48
        .size:           8
        .value_kind:     global_buffer
      - .actual_access:  read_only
        .address_space:  global
        .offset:         56
        .size:           8
        .value_kind:     global_buffer
      - .address_space:  global
        .offset:         64
        .size:           8
        .value_kind:     global_buffer
      - .offset:         72
        .size:           4
        .value_kind:     by_value
    .group_segment_fixed_size: 1280
    .kernarg_segment_align: 8
    .kernarg_segment_size: 76
    .language:       OpenCL C
    .language_version:
      - 2
      - 0
    .max_flat_workgroup_size: 49
    .name:           _ZN9rocsparseL26bsric0_2_8_unrolled_kernelILi49ELi32ELi7EfEEv20rocsparse_direction_iiPKiS3_PT2_S3_PiS3_S6_21rocsparse_index_base_
    .private_segment_fixed_size: 0
    .sgpr_count:     44
    .sgpr_spill_count: 0
    .symbol:         _ZN9rocsparseL26bsric0_2_8_unrolled_kernelILi49ELi32ELi7EfEEv20rocsparse_direction_iiPKiS3_PT2_S3_PiS3_S6_21rocsparse_index_base_.kd
    .uniform_work_group_size: 1
    .uses_dynamic_stack: false
    .vgpr_count:     72
    .vgpr_spill_count: 0
    .wavefront_size: 64
  - .agpr_count:     0
    .args:
      - .offset:         0
        .size:           4
        .value_kind:     by_value
      - .offset:         4
        .size:           4
        .value_kind:     by_value
      - .offset:         8
        .size:           4
        .value_kind:     by_value
      - .actual_access:  read_only
        .address_space:  global
        .offset:         16
        .size:           8
        .value_kind:     global_buffer
      - .actual_access:  read_only
        .address_space:  global
        .offset:         24
        .size:           8
        .value_kind:     global_buffer
      - .address_space:  global
        .offset:         32
        .size:           8
        .value_kind:     global_buffer
      - .actual_access:  read_only
        .address_space:  global
        .offset:         40
        .size:           8
        .value_kind:     global_buffer
      - .address_space:  global
        .offset:         48
        .size:           8
        .value_kind:     global_buffer
      - .actual_access:  read_only
        .address_space:  global
        .offset:         56
        .size:           8
        .value_kind:     global_buffer
      - .address_space:  global
        .offset:         64
        .size:           8
        .value_kind:     global_buffer
      - .offset:         72
        .size:           4
        .value_kind:     by_value
    .group_segment_fixed_size: 1536
    .kernarg_segment_align: 8
    .kernarg_segment_size: 76
    .language:       OpenCL C
    .language_version:
      - 2
      - 0
    .max_flat_workgroup_size: 64
    .name:           _ZN9rocsparseL26bsric0_2_8_unrolled_kernelILi64ELi32ELi8EfEEv20rocsparse_direction_iiPKiS3_PT2_S3_PiS3_S6_21rocsparse_index_base_
    .private_segment_fixed_size: 0
    .sgpr_count:     44
    .sgpr_spill_count: 0
    .symbol:         _ZN9rocsparseL26bsric0_2_8_unrolled_kernelILi64ELi32ELi8EfEEv20rocsparse_direction_iiPKiS3_PT2_S3_PiS3_S6_21rocsparse_index_base_.kd
    .uniform_work_group_size: 1
    .uses_dynamic_stack: false
    .vgpr_count:     72
    .vgpr_spill_count: 0
    .wavefront_size: 64
  - .agpr_count:     0
    .args:
      - .offset:         0
        .size:           4
        .value_kind:     by_value
      - .offset:         4
        .size:           4
        .value_kind:     by_value
      - .offset:         8
        .size:           4
        .value_kind:     by_value
      - .actual_access:  read_only
        .address_space:  global
        .offset:         16
        .size:           8
        .value_kind:     global_buffer
      - .actual_access:  read_only
        .address_space:  global
        .offset:         24
        .size:           8
        .value_kind:     global_buffer
      - .address_space:  global
        .offset:         32
        .size:           8
        .value_kind:     global_buffer
      - .actual_access:  read_only
        .address_space:  global
        .offset:         40
        .size:           8
        .value_kind:     global_buffer
      - .address_space:  global
        .offset:         48
        .size:           8
        .value_kind:     global_buffer
      - .actual_access:  read_only
        .address_space:  global
        .offset:         56
        .size:           8
        .value_kind:     global_buffer
      - .address_space:  global
        .offset:         64
        .size:           8
        .value_kind:     global_buffer
      - .offset:         72
        .size:           4
        .value_kind:     by_value
    .group_segment_fixed_size: 4736
    .kernarg_segment_align: 8
    .kernarg_segment_size: 76
    .language:       OpenCL C
    .language_version:
      - 2
      - 0
    .max_flat_workgroup_size: 64
    .name:           _ZN9rocsparseL18bsric0_9_16_kernelILi64ELi32ELi16EfEEv20rocsparse_direction_iiPKiS3_PT2_S3_PiS3_S6_21rocsparse_index_base_
    .private_segment_fixed_size: 0
    .sgpr_count:     70
    .sgpr_spill_count: 0
    .symbol:         _ZN9rocsparseL18bsric0_9_16_kernelILi64ELi32ELi16EfEEv20rocsparse_direction_iiPKiS3_PT2_S3_PiS3_S6_21rocsparse_index_base_.kd
    .uniform_work_group_size: 1
    .uses_dynamic_stack: false
    .vgpr_count:     72
    .vgpr_spill_count: 0
    .wavefront_size: 64
  - .agpr_count:     0
    .args:
      - .offset:         0
        .size:           4
        .value_kind:     by_value
      - .offset:         4
        .size:           4
        .value_kind:     by_value
      - .offset:         8
        .size:           4
        .value_kind:     by_value
      - .actual_access:  read_only
        .address_space:  global
        .offset:         16
        .size:           8
        .value_kind:     global_buffer
      - .actual_access:  read_only
        .address_space:  global
        .offset:         24
        .size:           8
        .value_kind:     global_buffer
      - .address_space:  global
        .offset:         32
        .size:           8
        .value_kind:     global_buffer
      - .actual_access:  read_only
        .address_space:  global
        .offset:         40
        .size:           8
        .value_kind:     global_buffer
      - .address_space:  global
        .offset:         48
        .size:           8
        .value_kind:     global_buffer
      - .actual_access:  read_only
        .address_space:  global
        .offset:         56
        .size:           8
        .value_kind:     global_buffer
      - .address_space:  global
        .offset:         64
        .size:           8
        .value_kind:     global_buffer
      - .offset:         72
        .size:           4
        .value_kind:     by_value
    .group_segment_fixed_size: 13056
    .kernarg_segment_align: 8
    .kernarg_segment_size: 76
    .language:       OpenCL C
    .language_version:
      - 2
      - 0
    .max_flat_workgroup_size: 64
    .name:           _ZN9rocsparseL19bsric0_17_32_kernelILi64ELi32ELi32EfEEv20rocsparse_direction_iiPKiS3_PT2_S3_PiS3_S6_21rocsparse_index_base_
    .private_segment_fixed_size: 0
    .sgpr_count:     72
    .sgpr_spill_count: 0
    .symbol:         _ZN9rocsparseL19bsric0_17_32_kernelILi64ELi32ELi32EfEEv20rocsparse_direction_iiPKiS3_PT2_S3_PiS3_S6_21rocsparse_index_base_.kd
    .uniform_work_group_size: 1
    .uses_dynamic_stack: false
    .vgpr_count:     70
    .vgpr_spill_count: 0
    .wavefront_size: 64
  - .agpr_count:     0
    .args:
      - .offset:         0
        .size:           4
        .value_kind:     by_value
      - .offset:         4
        .size:           4
        .value_kind:     by_value
      - .offset:         8
        .size:           4
        .value_kind:     by_value
      - .actual_access:  read_only
        .address_space:  global
        .offset:         16
        .size:           8
        .value_kind:     global_buffer
      - .actual_access:  read_only
        .address_space:  global
        .offset:         24
        .size:           8
        .value_kind:     global_buffer
      - .address_space:  global
        .offset:         32
        .size:           8
        .value_kind:     global_buffer
      - .actual_access:  read_only
        .address_space:  global
        .offset:         40
        .size:           8
        .value_kind:     global_buffer
      - .address_space:  global
        .offset:         48
        .size:           8
        .value_kind:     global_buffer
      - .actual_access:  read_only
        .address_space:  global
        .offset:         56
        .size:           8
        .value_kind:     global_buffer
      - .address_space:  global
        .offset:         64
        .size:           8
        .value_kind:     global_buffer
      - .offset:         72
        .size:           4
        .value_kind:     by_value
    .group_segment_fixed_size: 0
    .kernarg_segment_align: 8
    .kernarg_segment_size: 76
    .language:       OpenCL C
    .language_version:
      - 2
      - 0
    .max_flat_workgroup_size: 64
    .name:           _ZN9rocsparseL23bsric0_binsearch_kernelILj64ELj64ELb0EfEEv20rocsparse_direction_iiPKiS3_PT2_S3_PiS3_S6_21rocsparse_index_base_
    .private_segment_fixed_size: 0
    .sgpr_count:     62
    .sgpr_spill_count: 0
    .symbol:         _ZN9rocsparseL23bsric0_binsearch_kernelILj64ELj64ELb0EfEEv20rocsparse_direction_iiPKiS3_PT2_S3_PiS3_S6_21rocsparse_index_base_.kd
    .uniform_work_group_size: 1
    .uses_dynamic_stack: false
    .vgpr_count:     45
    .vgpr_spill_count: 0
    .wavefront_size: 64
  - .agpr_count:     0
    .args:
      - .offset:         0
        .size:           4
        .value_kind:     by_value
      - .offset:         4
        .size:           4
        .value_kind:     by_value
      - .offset:         8
        .size:           4
        .value_kind:     by_value
      - .actual_access:  read_only
        .address_space:  global
        .offset:         16
        .size:           8
        .value_kind:     global_buffer
      - .actual_access:  read_only
        .address_space:  global
        .offset:         24
        .size:           8
        .value_kind:     global_buffer
      - .address_space:  global
        .offset:         32
        .size:           8
        .value_kind:     global_buffer
      - .actual_access:  read_only
        .address_space:  global
        .offset:         40
        .size:           8
        .value_kind:     global_buffer
      - .address_space:  global
        .offset:         48
        .size:           8
        .value_kind:     global_buffer
      - .actual_access:  read_only
        .address_space:  global
        .offset:         56
        .size:           8
        .value_kind:     global_buffer
      - .address_space:  global
        .offset:         64
        .size:           8
        .value_kind:     global_buffer
      - .offset:         72
        .size:           4
        .value_kind:     by_value
    .group_segment_fixed_size: 1920
    .kernarg_segment_align: 8
    .kernarg_segment_size: 76
    .language:       OpenCL C
    .language_version:
      - 2
      - 0
    .max_flat_workgroup_size: 64
    .name:           _ZN9rocsparseL17bsric0_2_8_kernelILi64ELi64ELi8EfEEv20rocsparse_direction_iiPKiS3_PT2_S3_PiS3_S6_21rocsparse_index_base_
    .private_segment_fixed_size: 0
    .sgpr_count:     59
    .sgpr_spill_count: 0
    .symbol:         _ZN9rocsparseL17bsric0_2_8_kernelILi64ELi64ELi8EfEEv20rocsparse_direction_iiPKiS3_PT2_S3_PiS3_S6_21rocsparse_index_base_.kd
    .uniform_work_group_size: 1
    .uses_dynamic_stack: false
    .vgpr_count:     70
    .vgpr_spill_count: 0
    .wavefront_size: 64
  - .agpr_count:     0
    .args:
      - .offset:         0
        .size:           4
        .value_kind:     by_value
      - .offset:         4
        .size:           4
        .value_kind:     by_value
      - .offset:         8
        .size:           4
        .value_kind:     by_value
      - .actual_access:  read_only
        .address_space:  global
        .offset:         16
        .size:           8
        .value_kind:     global_buffer
      - .actual_access:  read_only
        .address_space:  global
        .offset:         24
        .size:           8
        .value_kind:     global_buffer
      - .address_space:  global
        .offset:         32
        .size:           8
        .value_kind:     global_buffer
      - .actual_access:  read_only
        .address_space:  global
        .offset:         40
        .size:           8
        .value_kind:     global_buffer
      - .address_space:  global
        .offset:         48
        .size:           8
        .value_kind:     global_buffer
      - .actual_access:  read_only
        .address_space:  global
        .offset:         56
        .size:           8
        .value_kind:     global_buffer
      - .address_space:  global
        .offset:         64
        .size:           8
        .value_kind:     global_buffer
      - .offset:         72
        .size:           4
        .value_kind:     by_value
    .group_segment_fixed_size: 5120
    .kernarg_segment_align: 8
    .kernarg_segment_size: 76
    .language:       OpenCL C
    .language_version:
      - 2
      - 0
    .max_flat_workgroup_size: 64
    .name:           _ZN9rocsparseL18bsric0_9_16_kernelILi64ELi64ELi16EfEEv20rocsparse_direction_iiPKiS3_PT2_S3_PiS3_S6_21rocsparse_index_base_
    .private_segment_fixed_size: 0
    .sgpr_count:     70
    .sgpr_spill_count: 0
    .symbol:         _ZN9rocsparseL18bsric0_9_16_kernelILi64ELi64ELi16EfEEv20rocsparse_direction_iiPKiS3_PT2_S3_PiS3_S6_21rocsparse_index_base_.kd
    .uniform_work_group_size: 1
    .uses_dynamic_stack: false
    .vgpr_count:     72
    .vgpr_spill_count: 0
    .wavefront_size: 64
  - .agpr_count:     0
    .args:
      - .offset:         0
        .size:           4
        .value_kind:     by_value
      - .offset:         4
        .size:           4
        .value_kind:     by_value
      - .offset:         8
        .size:           4
        .value_kind:     by_value
      - .actual_access:  read_only
        .address_space:  global
        .offset:         16
        .size:           8
        .value_kind:     global_buffer
      - .actual_access:  read_only
        .address_space:  global
        .offset:         24
        .size:           8
        .value_kind:     global_buffer
      - .address_space:  global
        .offset:         32
        .size:           8
        .value_kind:     global_buffer
      - .actual_access:  read_only
        .address_space:  global
        .offset:         40
        .size:           8
        .value_kind:     global_buffer
      - .address_space:  global
        .offset:         48
        .size:           8
        .value_kind:     global_buffer
      - .actual_access:  read_only
        .address_space:  global
        .offset:         56
        .size:           8
        .value_kind:     global_buffer
      - .address_space:  global
        .offset:         64
        .size:           8
        .value_kind:     global_buffer
      - .offset:         72
        .size:           4
        .value_kind:     by_value
    .group_segment_fixed_size: 13440
    .kernarg_segment_align: 8
    .kernarg_segment_size: 76
    .language:       OpenCL C
    .language_version:
      - 2
      - 0
    .max_flat_workgroup_size: 64
    .name:           _ZN9rocsparseL19bsric0_17_32_kernelILi64ELi64ELi32EfEEv20rocsparse_direction_iiPKiS3_PT2_S3_PiS3_S6_21rocsparse_index_base_
    .private_segment_fixed_size: 0
    .sgpr_count:     72
    .sgpr_spill_count: 0
    .symbol:         _ZN9rocsparseL19bsric0_17_32_kernelILi64ELi64ELi32EfEEv20rocsparse_direction_iiPKiS3_PT2_S3_PiS3_S6_21rocsparse_index_base_.kd
    .uniform_work_group_size: 1
    .uses_dynamic_stack: false
    .vgpr_count:     70
    .vgpr_spill_count: 0
    .wavefront_size: 64
  - .agpr_count:     0
    .args:
      - .offset:         0
        .size:           4
        .value_kind:     by_value
      - .offset:         4
        .size:           4
        .value_kind:     by_value
      - .offset:         8
        .size:           4
        .value_kind:     by_value
      - .actual_access:  read_only
        .address_space:  global
        .offset:         16
        .size:           8
        .value_kind:     global_buffer
      - .actual_access:  read_only
        .address_space:  global
        .offset:         24
        .size:           8
        .value_kind:     global_buffer
      - .address_space:  global
        .offset:         32
        .size:           8
        .value_kind:     global_buffer
      - .actual_access:  read_only
        .address_space:  global
        .offset:         40
        .size:           8
        .value_kind:     global_buffer
      - .address_space:  global
        .offset:         48
        .size:           8
        .value_kind:     global_buffer
      - .actual_access:  read_only
        .address_space:  global
        .offset:         56
        .size:           8
        .value_kind:     global_buffer
      - .address_space:  global
        .offset:         64
        .size:           8
        .value_kind:     global_buffer
      - .offset:         72
        .size:           4
        .value_kind:     by_value
    .group_segment_fixed_size: 2688
    .kernarg_segment_align: 8
    .kernarg_segment_size: 76
    .language:       OpenCL C
    .language_version:
      - 2
      - 0
    .max_flat_workgroup_size: 64
    .name:           _ZN9rocsparseL17bsric0_2_8_kernelILi64ELi128ELi8EfEEv20rocsparse_direction_iiPKiS3_PT2_S3_PiS3_S6_21rocsparse_index_base_
    .private_segment_fixed_size: 0
    .sgpr_count:     59
    .sgpr_spill_count: 0
    .symbol:         _ZN9rocsparseL17bsric0_2_8_kernelILi64ELi128ELi8EfEEv20rocsparse_direction_iiPKiS3_PT2_S3_PiS3_S6_21rocsparse_index_base_.kd
    .uniform_work_group_size: 1
    .uses_dynamic_stack: false
    .vgpr_count:     70
    .vgpr_spill_count: 0
    .wavefront_size: 64
  - .agpr_count:     0
    .args:
      - .offset:         0
        .size:           4
        .value_kind:     by_value
      - .offset:         4
        .size:           4
        .value_kind:     by_value
      - .offset:         8
        .size:           4
        .value_kind:     by_value
      - .actual_access:  read_only
        .address_space:  global
        .offset:         16
        .size:           8
        .value_kind:     global_buffer
      - .actual_access:  read_only
        .address_space:  global
        .offset:         24
        .size:           8
        .value_kind:     global_buffer
      - .address_space:  global
        .offset:         32
        .size:           8
        .value_kind:     global_buffer
      - .actual_access:  read_only
        .address_space:  global
        .offset:         40
        .size:           8
        .value_kind:     global_buffer
      - .address_space:  global
        .offset:         48
        .size:           8
        .value_kind:     global_buffer
      - .actual_access:  read_only
        .address_space:  global
        .offset:         56
        .size:           8
        .value_kind:     global_buffer
      - .address_space:  global
        .offset:         64
        .size:           8
        .value_kind:     global_buffer
      - .offset:         72
        .size:           4
        .value_kind:     by_value
    .group_segment_fixed_size: 5888
    .kernarg_segment_align: 8
    .kernarg_segment_size: 76
    .language:       OpenCL C
    .language_version:
      - 2
      - 0
    .max_flat_workgroup_size: 64
    .name:           _ZN9rocsparseL18bsric0_9_16_kernelILi64ELi128ELi16EfEEv20rocsparse_direction_iiPKiS3_PT2_S3_PiS3_S6_21rocsparse_index_base_
    .private_segment_fixed_size: 0
    .sgpr_count:     70
    .sgpr_spill_count: 0
    .symbol:         _ZN9rocsparseL18bsric0_9_16_kernelILi64ELi128ELi16EfEEv20rocsparse_direction_iiPKiS3_PT2_S3_PiS3_S6_21rocsparse_index_base_.kd
    .uniform_work_group_size: 1
    .uses_dynamic_stack: false
    .vgpr_count:     72
    .vgpr_spill_count: 0
    .wavefront_size: 64
  - .agpr_count:     0
    .args:
      - .offset:         0
        .size:           4
        .value_kind:     by_value
      - .offset:         4
        .size:           4
        .value_kind:     by_value
      - .offset:         8
        .size:           4
        .value_kind:     by_value
      - .actual_access:  read_only
        .address_space:  global
        .offset:         16
        .size:           8
        .value_kind:     global_buffer
      - .actual_access:  read_only
        .address_space:  global
        .offset:         24
        .size:           8
        .value_kind:     global_buffer
      - .address_space:  global
        .offset:         32
        .size:           8
        .value_kind:     global_buffer
      - .actual_access:  read_only
        .address_space:  global
        .offset:         40
        .size:           8
        .value_kind:     global_buffer
      - .address_space:  global
        .offset:         48
        .size:           8
        .value_kind:     global_buffer
      - .actual_access:  read_only
        .address_space:  global
        .offset:         56
        .size:           8
        .value_kind:     global_buffer
      - .address_space:  global
        .offset:         64
        .size:           8
        .value_kind:     global_buffer
      - .offset:         72
        .size:           4
        .value_kind:     by_value
    .group_segment_fixed_size: 14208
    .kernarg_segment_align: 8
    .kernarg_segment_size: 76
    .language:       OpenCL C
    .language_version:
      - 2
      - 0
    .max_flat_workgroup_size: 64
    .name:           _ZN9rocsparseL19bsric0_17_32_kernelILi64ELi128ELi32EfEEv20rocsparse_direction_iiPKiS3_PT2_S3_PiS3_S6_21rocsparse_index_base_
    .private_segment_fixed_size: 0
    .sgpr_count:     72
    .sgpr_spill_count: 0
    .symbol:         _ZN9rocsparseL19bsric0_17_32_kernelILi64ELi128ELi32EfEEv20rocsparse_direction_iiPKiS3_PT2_S3_PiS3_S6_21rocsparse_index_base_.kd
    .uniform_work_group_size: 1
    .uses_dynamic_stack: false
    .vgpr_count:     70
    .vgpr_spill_count: 0
    .wavefront_size: 64
  - .agpr_count:     0
    .args:
      - .offset:         0
        .size:           4
        .value_kind:     by_value
      - .offset:         4
        .size:           4
        .value_kind:     by_value
      - .offset:         8
        .size:           4
        .value_kind:     by_value
      - .actual_access:  read_only
        .address_space:  global
        .offset:         16
        .size:           8
        .value_kind:     global_buffer
      - .actual_access:  read_only
        .address_space:  global
        .offset:         24
        .size:           8
        .value_kind:     global_buffer
      - .address_space:  global
        .offset:         32
        .size:           8
        .value_kind:     global_buffer
      - .actual_access:  read_only
        .address_space:  global
        .offset:         40
        .size:           8
        .value_kind:     global_buffer
      - .address_space:  global
        .offset:         48
        .size:           8
        .value_kind:     global_buffer
      - .actual_access:  read_only
        .address_space:  global
        .offset:         56
        .size:           8
        .value_kind:     global_buffer
      - .address_space:  global
        .offset:         64
        .size:           8
        .value_kind:     global_buffer
      - .offset:         72
        .size:           4
        .value_kind:     by_value
    .group_segment_fixed_size: 0
    .kernarg_segment_align: 8
    .kernarg_segment_size: 76
    .language:       OpenCL C
    .language_version:
      - 2
      - 0
    .max_flat_workgroup_size: 32
    .name:           _ZN9rocsparseL23bsric0_binsearch_kernelILj32ELj32ELb0EdEEv20rocsparse_direction_iiPKiS3_PT2_S3_PiS3_S6_21rocsparse_index_base_
    .private_segment_fixed_size: 0
    .sgpr_count:     63
    .sgpr_spill_count: 0
    .symbol:         _ZN9rocsparseL23bsric0_binsearch_kernelILj32ELj32ELb0EdEEv20rocsparse_direction_iiPKiS3_PT2_S3_PiS3_S6_21rocsparse_index_base_.kd
    .uniform_work_group_size: 1
    .uses_dynamic_stack: false
    .vgpr_count:     51
    .vgpr_spill_count: 0
    .wavefront_size: 64
  - .agpr_count:     0
    .args:
      - .offset:         0
        .size:           4
        .value_kind:     by_value
      - .offset:         4
        .size:           4
        .value_kind:     by_value
      - .offset:         8
        .size:           4
        .value_kind:     by_value
      - .actual_access:  read_only
        .address_space:  global
        .offset:         16
        .size:           8
        .value_kind:     global_buffer
      - .actual_access:  read_only
        .address_space:  global
        .offset:         24
        .size:           8
        .value_kind:     global_buffer
      - .address_space:  global
        .offset:         32
        .size:           8
        .value_kind:     global_buffer
      - .actual_access:  read_only
        .address_space:  global
        .offset:         40
        .size:           8
        .value_kind:     global_buffer
      - .address_space:  global
        .offset:         48
        .size:           8
        .value_kind:     global_buffer
      - .actual_access:  read_only
        .address_space:  global
        .offset:         56
        .size:           8
        .value_kind:     global_buffer
      - .address_space:  global
        .offset:         64
        .size:           8
        .value_kind:     global_buffer
      - .offset:         72
        .size:           4
        .value_kind:     by_value
    .group_segment_fixed_size: 0
    .kernarg_segment_align: 8
    .kernarg_segment_size: 76
    .language:       OpenCL C
    .language_version:
      - 2
      - 0
    .max_flat_workgroup_size: 64
    .name:           _ZN9rocsparseL23bsric0_binsearch_kernelILj64ELj64ELb1EdEEv20rocsparse_direction_iiPKiS3_PT2_S3_PiS3_S6_21rocsparse_index_base_
    .private_segment_fixed_size: 0
    .sgpr_count:     63
    .sgpr_spill_count: 0
    .symbol:         _ZN9rocsparseL23bsric0_binsearch_kernelILj64ELj64ELb1EdEEv20rocsparse_direction_iiPKiS3_PT2_S3_PiS3_S6_21rocsparse_index_base_.kd
    .uniform_work_group_size: 1
    .uses_dynamic_stack: false
    .vgpr_count:     51
    .vgpr_spill_count: 0
    .wavefront_size: 64
  - .agpr_count:     0
    .args:
      - .offset:         0
        .size:           4
        .value_kind:     by_value
      - .offset:         4
        .size:           4
        .value_kind:     by_value
      - .offset:         8
        .size:           4
        .value_kind:     by_value
      - .actual_access:  read_only
        .address_space:  global
        .offset:         16
        .size:           8
        .value_kind:     global_buffer
      - .actual_access:  read_only
        .address_space:  global
        .offset:         24
        .size:           8
        .value_kind:     global_buffer
      - .address_space:  global
        .offset:         32
        .size:           8
        .value_kind:     global_buffer
      - .actual_access:  read_only
        .address_space:  global
        .offset:         40
        .size:           8
        .value_kind:     global_buffer
      - .address_space:  global
        .offset:         48
        .size:           8
        .value_kind:     global_buffer
      - .actual_access:  read_only
        .address_space:  global
        .offset:         56
        .size:           8
        .value_kind:     global_buffer
      - .address_space:  global
        .offset:         64
        .size:           8
        .value_kind:     global_buffer
      - .offset:         72
        .size:           4
        .value_kind:     by_value
    .group_segment_fixed_size: 448
    .kernarg_segment_align: 8
    .kernarg_segment_size: 76
    .language:       OpenCL C
    .language_version:
      - 2
      - 0
    .max_flat_workgroup_size: 1
    .name:           _ZN9rocsparseL26bsric0_2_8_unrolled_kernelILi1ELi32ELi1EdEEv20rocsparse_direction_iiPKiS3_PT2_S3_PiS3_S6_21rocsparse_index_base_
    .private_segment_fixed_size: 0
    .sgpr_count:     43
    .sgpr_spill_count: 0
    .symbol:         _ZN9rocsparseL26bsric0_2_8_unrolled_kernelILi1ELi32ELi1EdEEv20rocsparse_direction_iiPKiS3_PT2_S3_PiS3_S6_21rocsparse_index_base_.kd
    .uniform_work_group_size: 1
    .uses_dynamic_stack: false
    .vgpr_count:     72
    .vgpr_spill_count: 0
    .wavefront_size: 64
  - .agpr_count:     0
    .args:
      - .offset:         0
        .size:           4
        .value_kind:     by_value
      - .offset:         4
        .size:           4
        .value_kind:     by_value
      - .offset:         8
        .size:           4
        .value_kind:     by_value
      - .actual_access:  read_only
        .address_space:  global
        .offset:         16
        .size:           8
        .value_kind:     global_buffer
      - .actual_access:  read_only
        .address_space:  global
        .offset:         24
        .size:           8
        .value_kind:     global_buffer
      - .address_space:  global
        .offset:         32
        .size:           8
        .value_kind:     global_buffer
      - .actual_access:  read_only
        .address_space:  global
        .offset:         40
        .size:           8
        .value_kind:     global_buffer
      - .address_space:  global
        .offset:         48
        .size:           8
        .value_kind:     global_buffer
      - .actual_access:  read_only
        .address_space:  global
        .offset:         56
        .size:           8
        .value_kind:     global_buffer
      - .address_space:  global
        .offset:         64
        .size:           8
        .value_kind:     global_buffer
      - .offset:         72
        .size:           4
        .value_kind:     by_value
    .group_segment_fixed_size: 576
    .kernarg_segment_align: 8
    .kernarg_segment_size: 76
    .language:       OpenCL C
    .language_version:
      - 2
      - 0
    .max_flat_workgroup_size: 4
    .name:           _ZN9rocsparseL26bsric0_2_8_unrolled_kernelILi4ELi32ELi2EdEEv20rocsparse_direction_iiPKiS3_PT2_S3_PiS3_S6_21rocsparse_index_base_
    .private_segment_fixed_size: 0
    .sgpr_count:     44
    .sgpr_spill_count: 0
    .symbol:         _ZN9rocsparseL26bsric0_2_8_unrolled_kernelILi4ELi32ELi2EdEEv20rocsparse_direction_iiPKiS3_PT2_S3_PiS3_S6_21rocsparse_index_base_.kd
    .uniform_work_group_size: 1
    .uses_dynamic_stack: false
    .vgpr_count:     72
    .vgpr_spill_count: 0
    .wavefront_size: 64
  - .agpr_count:     0
    .args:
      - .offset:         0
        .size:           4
        .value_kind:     by_value
      - .offset:         4
        .size:           4
        .value_kind:     by_value
      - .offset:         8
        .size:           4
        .value_kind:     by_value
      - .actual_access:  read_only
        .address_space:  global
        .offset:         16
        .size:           8
        .value_kind:     global_buffer
      - .actual_access:  read_only
        .address_space:  global
        .offset:         24
        .size:           8
        .value_kind:     global_buffer
      - .address_space:  global
        .offset:         32
        .size:           8
        .value_kind:     global_buffer
      - .actual_access:  read_only
        .address_space:  global
        .offset:         40
        .size:           8
        .value_kind:     global_buffer
      - .address_space:  global
        .offset:         48
        .size:           8
        .value_kind:     global_buffer
      - .actual_access:  read_only
        .address_space:  global
        .offset:         56
        .size:           8
        .value_kind:     global_buffer
      - .address_space:  global
        .offset:         64
        .size:           8
        .value_kind:     global_buffer
      - .offset:         72
        .size:           4
        .value_kind:     by_value
    .group_segment_fixed_size: 768
    .kernarg_segment_align: 8
    .kernarg_segment_size: 76
    .language:       OpenCL C
    .language_version:
      - 2
      - 0
    .max_flat_workgroup_size: 9
    .name:           _ZN9rocsparseL26bsric0_2_8_unrolled_kernelILi9ELi32ELi3EdEEv20rocsparse_direction_iiPKiS3_PT2_S3_PiS3_S6_21rocsparse_index_base_
    .private_segment_fixed_size: 0
    .sgpr_count:     44
    .sgpr_spill_count: 0
    .symbol:         _ZN9rocsparseL26bsric0_2_8_unrolled_kernelILi9ELi32ELi3EdEEv20rocsparse_direction_iiPKiS3_PT2_S3_PiS3_S6_21rocsparse_index_base_.kd
    .uniform_work_group_size: 1
    .uses_dynamic_stack: false
    .vgpr_count:     72
    .vgpr_spill_count: 0
    .wavefront_size: 64
  - .agpr_count:     0
    .args:
      - .offset:         0
        .size:           4
        .value_kind:     by_value
      - .offset:         4
        .size:           4
        .value_kind:     by_value
      - .offset:         8
        .size:           4
        .value_kind:     by_value
      - .actual_access:  read_only
        .address_space:  global
        .offset:         16
        .size:           8
        .value_kind:     global_buffer
      - .actual_access:  read_only
        .address_space:  global
        .offset:         24
        .size:           8
        .value_kind:     global_buffer
      - .address_space:  global
        .offset:         32
        .size:           8
        .value_kind:     global_buffer
      - .actual_access:  read_only
        .address_space:  global
        .offset:         40
        .size:           8
        .value_kind:     global_buffer
      - .address_space:  global
        .offset:         48
        .size:           8
        .value_kind:     global_buffer
      - .actual_access:  read_only
        .address_space:  global
        .offset:         56
        .size:           8
        .value_kind:     global_buffer
      - .address_space:  global
        .offset:         64
        .size:           8
        .value_kind:     global_buffer
      - .offset:         72
        .size:           4
        .value_kind:     by_value
    .group_segment_fixed_size: 1024
    .kernarg_segment_align: 8
    .kernarg_segment_size: 76
    .language:       OpenCL C
    .language_version:
      - 2
      - 0
    .max_flat_workgroup_size: 16
    .name:           _ZN9rocsparseL26bsric0_2_8_unrolled_kernelILi16ELi32ELi4EdEEv20rocsparse_direction_iiPKiS3_PT2_S3_PiS3_S6_21rocsparse_index_base_
    .private_segment_fixed_size: 0
    .sgpr_count:     44
    .sgpr_spill_count: 0
    .symbol:         _ZN9rocsparseL26bsric0_2_8_unrolled_kernelILi16ELi32ELi4EdEEv20rocsparse_direction_iiPKiS3_PT2_S3_PiS3_S6_21rocsparse_index_base_.kd
    .uniform_work_group_size: 1
    .uses_dynamic_stack: false
    .vgpr_count:     72
    .vgpr_spill_count: 0
    .wavefront_size: 64
  - .agpr_count:     0
    .args:
      - .offset:         0
        .size:           4
        .value_kind:     by_value
      - .offset:         4
        .size:           4
        .value_kind:     by_value
      - .offset:         8
        .size:           4
        .value_kind:     by_value
      - .actual_access:  read_only
        .address_space:  global
        .offset:         16
        .size:           8
        .value_kind:     global_buffer
      - .actual_access:  read_only
        .address_space:  global
        .offset:         24
        .size:           8
        .value_kind:     global_buffer
      - .address_space:  global
        .offset:         32
        .size:           8
        .value_kind:     global_buffer
      - .actual_access:  read_only
        .address_space:  global
        .offset:         40
        .size:           8
        .value_kind:     global_buffer
      - .address_space:  global
        .offset:         48
        .size:           8
        .value_kind:     global_buffer
      - .actual_access:  read_only
        .address_space:  global
        .offset:         56
        .size:           8
        .value_kind:     global_buffer
      - .address_space:  global
        .offset:         64
        .size:           8
        .value_kind:     global_buffer
      - .offset:         72
        .size:           4
        .value_kind:     by_value
    .group_segment_fixed_size: 1344
    .kernarg_segment_align: 8
    .kernarg_segment_size: 76
    .language:       OpenCL C
    .language_version:
      - 2
      - 0
    .max_flat_workgroup_size: 25
    .name:           _ZN9rocsparseL26bsric0_2_8_unrolled_kernelILi25ELi32ELi5EdEEv20rocsparse_direction_iiPKiS3_PT2_S3_PiS3_S6_21rocsparse_index_base_
    .private_segment_fixed_size: 0
    .sgpr_count:     44
    .sgpr_spill_count: 0
    .symbol:         _ZN9rocsparseL26bsric0_2_8_unrolled_kernelILi25ELi32ELi5EdEEv20rocsparse_direction_iiPKiS3_PT2_S3_PiS3_S6_21rocsparse_index_base_.kd
    .uniform_work_group_size: 1
    .uses_dynamic_stack: false
    .vgpr_count:     72
    .vgpr_spill_count: 0
    .wavefront_size: 64
  - .agpr_count:     0
    .args:
      - .offset:         0
        .size:           4
        .value_kind:     by_value
      - .offset:         4
        .size:           4
        .value_kind:     by_value
      - .offset:         8
        .size:           4
        .value_kind:     by_value
      - .actual_access:  read_only
        .address_space:  global
        .offset:         16
        .size:           8
        .value_kind:     global_buffer
      - .actual_access:  read_only
        .address_space:  global
        .offset:         24
        .size:           8
        .value_kind:     global_buffer
      - .address_space:  global
        .offset:         32
        .size:           8
        .value_kind:     global_buffer
      - .actual_access:  read_only
        .address_space:  global
        .offset:         40
        .size:           8
        .value_kind:     global_buffer
      - .address_space:  global
        .offset:         48
        .size:           8
        .value_kind:     global_buffer
      - .actual_access:  read_only
        .address_space:  global
        .offset:         56
        .size:           8
        .value_kind:     global_buffer
      - .address_space:  global
        .offset:         64
        .size:           8
        .value_kind:     global_buffer
      - .offset:         72
        .size:           4
        .value_kind:     by_value
    .group_segment_fixed_size: 1728
    .kernarg_segment_align: 8
    .kernarg_segment_size: 76
    .language:       OpenCL C
    .language_version:
      - 2
      - 0
    .max_flat_workgroup_size: 36
    .name:           _ZN9rocsparseL26bsric0_2_8_unrolled_kernelILi36ELi32ELi6EdEEv20rocsparse_direction_iiPKiS3_PT2_S3_PiS3_S6_21rocsparse_index_base_
    .private_segment_fixed_size: 0
    .sgpr_count:     44
    .sgpr_spill_count: 0
    .symbol:         _ZN9rocsparseL26bsric0_2_8_unrolled_kernelILi36ELi32ELi6EdEEv20rocsparse_direction_iiPKiS3_PT2_S3_PiS3_S6_21rocsparse_index_base_.kd
    .uniform_work_group_size: 1
    .uses_dynamic_stack: false
    .vgpr_count:     72
    .vgpr_spill_count: 0
    .wavefront_size: 64
  - .agpr_count:     0
    .args:
      - .offset:         0
        .size:           4
        .value_kind:     by_value
      - .offset:         4
        .size:           4
        .value_kind:     by_value
      - .offset:         8
        .size:           4
        .value_kind:     by_value
      - .actual_access:  read_only
        .address_space:  global
        .offset:         16
        .size:           8
        .value_kind:     global_buffer
      - .actual_access:  read_only
        .address_space:  global
        .offset:         24
        .size:           8
        .value_kind:     global_buffer
      - .address_space:  global
        .offset:         32
        .size:           8
        .value_kind:     global_buffer
      - .actual_access:  read_only
        .address_space:  global
        .offset:         40
        .size:           8
        .value_kind:     global_buffer
      - .address_space:  global
        .offset:         48
        .size:           8
        .value_kind:     global_buffer
      - .actual_access:  read_only
        .address_space:  global
        .offset:         56
        .size:           8
        .value_kind:     global_buffer
      - .address_space:  global
        .offset:         64
        .size:           8
        .value_kind:     global_buffer
      - .offset:         72
        .size:           4
        .value_kind:     by_value
    .group_segment_fixed_size: 2176
    .kernarg_segment_align: 8
    .kernarg_segment_size: 76
    .language:       OpenCL C
    .language_version:
      - 2
      - 0
    .max_flat_workgroup_size: 49
    .name:           _ZN9rocsparseL26bsric0_2_8_unrolled_kernelILi49ELi32ELi7EdEEv20rocsparse_direction_iiPKiS3_PT2_S3_PiS3_S6_21rocsparse_index_base_
    .private_segment_fixed_size: 0
    .sgpr_count:     44
    .sgpr_spill_count: 0
    .symbol:         _ZN9rocsparseL26bsric0_2_8_unrolled_kernelILi49ELi32ELi7EdEEv20rocsparse_direction_iiPKiS3_PT2_S3_PiS3_S6_21rocsparse_index_base_.kd
    .uniform_work_group_size: 1
    .uses_dynamic_stack: false
    .vgpr_count:     72
    .vgpr_spill_count: 0
    .wavefront_size: 64
  - .agpr_count:     0
    .args:
      - .offset:         0
        .size:           4
        .value_kind:     by_value
      - .offset:         4
        .size:           4
        .value_kind:     by_value
      - .offset:         8
        .size:           4
        .value_kind:     by_value
      - .actual_access:  read_only
        .address_space:  global
        .offset:         16
        .size:           8
        .value_kind:     global_buffer
      - .actual_access:  read_only
        .address_space:  global
        .offset:         24
        .size:           8
        .value_kind:     global_buffer
      - .address_space:  global
        .offset:         32
        .size:           8
        .value_kind:     global_buffer
      - .actual_access:  read_only
        .address_space:  global
        .offset:         40
        .size:           8
        .value_kind:     global_buffer
      - .address_space:  global
        .offset:         48
        .size:           8
        .value_kind:     global_buffer
      - .actual_access:  read_only
        .address_space:  global
        .offset:         56
        .size:           8
        .value_kind:     global_buffer
      - .address_space:  global
        .offset:         64
        .size:           8
        .value_kind:     global_buffer
      - .offset:         72
        .size:           4
        .value_kind:     by_value
    .group_segment_fixed_size: 2688
    .kernarg_segment_align: 8
    .kernarg_segment_size: 76
    .language:       OpenCL C
    .language_version:
      - 2
      - 0
    .max_flat_workgroup_size: 64
    .name:           _ZN9rocsparseL26bsric0_2_8_unrolled_kernelILi64ELi32ELi8EdEEv20rocsparse_direction_iiPKiS3_PT2_S3_PiS3_S6_21rocsparse_index_base_
    .private_segment_fixed_size: 0
    .sgpr_count:     44
    .sgpr_spill_count: 0
    .symbol:         _ZN9rocsparseL26bsric0_2_8_unrolled_kernelILi64ELi32ELi8EdEEv20rocsparse_direction_iiPKiS3_PT2_S3_PiS3_S6_21rocsparse_index_base_.kd
    .uniform_work_group_size: 1
    .uses_dynamic_stack: false
    .vgpr_count:     72
    .vgpr_spill_count: 0
    .wavefront_size: 64
  - .agpr_count:     0
    .args:
      - .offset:         0
        .size:           4
        .value_kind:     by_value
      - .offset:         4
        .size:           4
        .value_kind:     by_value
      - .offset:         8
        .size:           4
        .value_kind:     by_value
      - .actual_access:  read_only
        .address_space:  global
        .offset:         16
        .size:           8
        .value_kind:     global_buffer
      - .actual_access:  read_only
        .address_space:  global
        .offset:         24
        .size:           8
        .value_kind:     global_buffer
      - .address_space:  global
        .offset:         32
        .size:           8
        .value_kind:     global_buffer
      - .actual_access:  read_only
        .address_space:  global
        .offset:         40
        .size:           8
        .value_kind:     global_buffer
      - .address_space:  global
        .offset:         48
        .size:           8
        .value_kind:     global_buffer
      - .actual_access:  read_only
        .address_space:  global
        .offset:         56
        .size:           8
        .value_kind:     global_buffer
      - .address_space:  global
        .offset:         64
        .size:           8
        .value_kind:     global_buffer
      - .offset:         72
        .size:           4
        .value_kind:     by_value
    .group_segment_fixed_size: 9088
    .kernarg_segment_align: 8
    .kernarg_segment_size: 76
    .language:       OpenCL C
    .language_version:
      - 2
      - 0
    .max_flat_workgroup_size: 64
    .name:           _ZN9rocsparseL18bsric0_9_16_kernelILi64ELi32ELi16EdEEv20rocsparse_direction_iiPKiS3_PT2_S3_PiS3_S6_21rocsparse_index_base_
    .private_segment_fixed_size: 0
    .sgpr_count:     58
    .sgpr_spill_count: 0
    .symbol:         _ZN9rocsparseL18bsric0_9_16_kernelILi64ELi32ELi16EdEEv20rocsparse_direction_iiPKiS3_PT2_S3_PiS3_S6_21rocsparse_index_base_.kd
    .uniform_work_group_size: 1
    .uses_dynamic_stack: false
    .vgpr_count:     70
    .vgpr_spill_count: 0
    .wavefront_size: 64
  - .agpr_count:     0
    .args:
      - .offset:         0
        .size:           4
        .value_kind:     by_value
      - .offset:         4
        .size:           4
        .value_kind:     by_value
      - .offset:         8
        .size:           4
        .value_kind:     by_value
      - .actual_access:  read_only
        .address_space:  global
        .offset:         16
        .size:           8
        .value_kind:     global_buffer
      - .actual_access:  read_only
        .address_space:  global
        .offset:         24
        .size:           8
        .value_kind:     global_buffer
      - .address_space:  global
        .offset:         32
        .size:           8
        .value_kind:     global_buffer
      - .actual_access:  read_only
        .address_space:  global
        .offset:         40
        .size:           8
        .value_kind:     global_buffer
      - .address_space:  global
        .offset:         48
        .size:           8
        .value_kind:     global_buffer
      - .actual_access:  read_only
        .address_space:  global
        .offset:         56
        .size:           8
        .value_kind:     global_buffer
      - .address_space:  global
        .offset:         64
        .size:           8
        .value_kind:     global_buffer
      - .offset:         72
        .size:           4
        .value_kind:     by_value
    .group_segment_fixed_size: 25728
    .kernarg_segment_align: 8
    .kernarg_segment_size: 76
    .language:       OpenCL C
    .language_version:
      - 2
      - 0
    .max_flat_workgroup_size: 64
    .name:           _ZN9rocsparseL19bsric0_17_32_kernelILi64ELi32ELi32EdEEv20rocsparse_direction_iiPKiS3_PT2_S3_PiS3_S6_21rocsparse_index_base_
    .private_segment_fixed_size: 0
    .sgpr_count:     60
    .sgpr_spill_count: 0
    .symbol:         _ZN9rocsparseL19bsric0_17_32_kernelILi64ELi32ELi32EdEEv20rocsparse_direction_iiPKiS3_PT2_S3_PiS3_S6_21rocsparse_index_base_.kd
    .uniform_work_group_size: 1
    .uses_dynamic_stack: false
    .vgpr_count:     70
    .vgpr_spill_count: 0
    .wavefront_size: 64
  - .agpr_count:     0
    .args:
      - .offset:         0
        .size:           4
        .value_kind:     by_value
      - .offset:         4
        .size:           4
        .value_kind:     by_value
      - .offset:         8
        .size:           4
        .value_kind:     by_value
      - .actual_access:  read_only
        .address_space:  global
        .offset:         16
        .size:           8
        .value_kind:     global_buffer
      - .actual_access:  read_only
        .address_space:  global
        .offset:         24
        .size:           8
        .value_kind:     global_buffer
      - .address_space:  global
        .offset:         32
        .size:           8
        .value_kind:     global_buffer
      - .actual_access:  read_only
        .address_space:  global
        .offset:         40
        .size:           8
        .value_kind:     global_buffer
      - .address_space:  global
        .offset:         48
        .size:           8
        .value_kind:     global_buffer
      - .actual_access:  read_only
        .address_space:  global
        .offset:         56
        .size:           8
        .value_kind:     global_buffer
      - .address_space:  global
        .offset:         64
        .size:           8
        .value_kind:     global_buffer
      - .offset:         72
        .size:           4
        .value_kind:     by_value
    .group_segment_fixed_size: 0
    .kernarg_segment_align: 8
    .kernarg_segment_size: 76
    .language:       OpenCL C
    .language_version:
      - 2
      - 0
    .max_flat_workgroup_size: 64
    .name:           _ZN9rocsparseL23bsric0_binsearch_kernelILj64ELj64ELb0EdEEv20rocsparse_direction_iiPKiS3_PT2_S3_PiS3_S6_21rocsparse_index_base_
    .private_segment_fixed_size: 0
    .sgpr_count:     63
    .sgpr_spill_count: 0
    .symbol:         _ZN9rocsparseL23bsric0_binsearch_kernelILj64ELj64ELb0EdEEv20rocsparse_direction_iiPKiS3_PT2_S3_PiS3_S6_21rocsparse_index_base_.kd
    .uniform_work_group_size: 1
    .uses_dynamic_stack: false
    .vgpr_count:     51
    .vgpr_spill_count: 0
    .wavefront_size: 64
  - .agpr_count:     0
    .args:
      - .offset:         0
        .size:           4
        .value_kind:     by_value
      - .offset:         4
        .size:           4
        .value_kind:     by_value
      - .offset:         8
        .size:           4
        .value_kind:     by_value
      - .actual_access:  read_only
        .address_space:  global
        .offset:         16
        .size:           8
        .value_kind:     global_buffer
      - .actual_access:  read_only
        .address_space:  global
        .offset:         24
        .size:           8
        .value_kind:     global_buffer
      - .address_space:  global
        .offset:         32
        .size:           8
        .value_kind:     global_buffer
      - .actual_access:  read_only
        .address_space:  global
        .offset:         40
        .size:           8
        .value_kind:     global_buffer
      - .address_space:  global
        .offset:         48
        .size:           8
        .value_kind:     global_buffer
      - .actual_access:  read_only
        .address_space:  global
        .offset:         56
        .size:           8
        .value_kind:     global_buffer
      - .address_space:  global
        .offset:         64
        .size:           8
        .value_kind:     global_buffer
      - .offset:         72
        .size:           4
        .value_kind:     by_value
    .group_segment_fixed_size: 3072
    .kernarg_segment_align: 8
    .kernarg_segment_size: 76
    .language:       OpenCL C
    .language_version:
      - 2
      - 0
    .max_flat_workgroup_size: 64
    .name:           _ZN9rocsparseL17bsric0_2_8_kernelILi64ELi64ELi8EdEEv20rocsparse_direction_iiPKiS3_PT2_S3_PiS3_S6_21rocsparse_index_base_
    .private_segment_fixed_size: 0
    .sgpr_count:     60
    .sgpr_spill_count: 0
    .symbol:         _ZN9rocsparseL17bsric0_2_8_kernelILi64ELi64ELi8EdEEv20rocsparse_direction_iiPKiS3_PT2_S3_PiS3_S6_21rocsparse_index_base_.kd
    .uniform_work_group_size: 1
    .uses_dynamic_stack: false
    .vgpr_count:     72
    .vgpr_spill_count: 0
    .wavefront_size: 64
  - .agpr_count:     0
    .args:
      - .offset:         0
        .size:           4
        .value_kind:     by_value
      - .offset:         4
        .size:           4
        .value_kind:     by_value
      - .offset:         8
        .size:           4
        .value_kind:     by_value
      - .actual_access:  read_only
        .address_space:  global
        .offset:         16
        .size:           8
        .value_kind:     global_buffer
      - .actual_access:  read_only
        .address_space:  global
        .offset:         24
        .size:           8
        .value_kind:     global_buffer
      - .address_space:  global
        .offset:         32
        .size:           8
        .value_kind:     global_buffer
      - .actual_access:  read_only
        .address_space:  global
        .offset:         40
        .size:           8
        .value_kind:     global_buffer
      - .address_space:  global
        .offset:         48
        .size:           8
        .value_kind:     global_buffer
      - .actual_access:  read_only
        .address_space:  global
        .offset:         56
        .size:           8
        .value_kind:     global_buffer
      - .address_space:  global
        .offset:         64
        .size:           8
        .value_kind:     global_buffer
      - .offset:         72
        .size:           4
        .value_kind:     by_value
    .group_segment_fixed_size: 9472
    .kernarg_segment_align: 8
    .kernarg_segment_size: 76
    .language:       OpenCL C
    .language_version:
      - 2
      - 0
    .max_flat_workgroup_size: 64
    .name:           _ZN9rocsparseL18bsric0_9_16_kernelILi64ELi64ELi16EdEEv20rocsparse_direction_iiPKiS3_PT2_S3_PiS3_S6_21rocsparse_index_base_
    .private_segment_fixed_size: 0
    .sgpr_count:     58
    .sgpr_spill_count: 0
    .symbol:         _ZN9rocsparseL18bsric0_9_16_kernelILi64ELi64ELi16EdEEv20rocsparse_direction_iiPKiS3_PT2_S3_PiS3_S6_21rocsparse_index_base_.kd
    .uniform_work_group_size: 1
    .uses_dynamic_stack: false
    .vgpr_count:     70
    .vgpr_spill_count: 0
    .wavefront_size: 64
  - .agpr_count:     0
    .args:
      - .offset:         0
        .size:           4
        .value_kind:     by_value
      - .offset:         4
        .size:           4
        .value_kind:     by_value
      - .offset:         8
        .size:           4
        .value_kind:     by_value
      - .actual_access:  read_only
        .address_space:  global
        .offset:         16
        .size:           8
        .value_kind:     global_buffer
      - .actual_access:  read_only
        .address_space:  global
        .offset:         24
        .size:           8
        .value_kind:     global_buffer
      - .address_space:  global
        .offset:         32
        .size:           8
        .value_kind:     global_buffer
      - .actual_access:  read_only
        .address_space:  global
        .offset:         40
        .size:           8
        .value_kind:     global_buffer
      - .address_space:  global
        .offset:         48
        .size:           8
        .value_kind:     global_buffer
      - .actual_access:  read_only
        .address_space:  global
        .offset:         56
        .size:           8
        .value_kind:     global_buffer
      - .address_space:  global
        .offset:         64
        .size:           8
        .value_kind:     global_buffer
      - .offset:         72
        .size:           4
        .value_kind:     by_value
    .group_segment_fixed_size: 26112
    .kernarg_segment_align: 8
    .kernarg_segment_size: 76
    .language:       OpenCL C
    .language_version:
      - 2
      - 0
    .max_flat_workgroup_size: 64
    .name:           _ZN9rocsparseL19bsric0_17_32_kernelILi64ELi64ELi32EdEEv20rocsparse_direction_iiPKiS3_PT2_S3_PiS3_S6_21rocsparse_index_base_
    .private_segment_fixed_size: 0
    .sgpr_count:     60
    .sgpr_spill_count: 0
    .symbol:         _ZN9rocsparseL19bsric0_17_32_kernelILi64ELi64ELi32EdEEv20rocsparse_direction_iiPKiS3_PT2_S3_PiS3_S6_21rocsparse_index_base_.kd
    .uniform_work_group_size: 1
    .uses_dynamic_stack: false
    .vgpr_count:     70
    .vgpr_spill_count: 0
    .wavefront_size: 64
  - .agpr_count:     0
    .args:
      - .offset:         0
        .size:           4
        .value_kind:     by_value
      - .offset:         4
        .size:           4
        .value_kind:     by_value
      - .offset:         8
        .size:           4
        .value_kind:     by_value
      - .actual_access:  read_only
        .address_space:  global
        .offset:         16
        .size:           8
        .value_kind:     global_buffer
      - .actual_access:  read_only
        .address_space:  global
        .offset:         24
        .size:           8
        .value_kind:     global_buffer
      - .address_space:  global
        .offset:         32
        .size:           8
        .value_kind:     global_buffer
      - .actual_access:  read_only
        .address_space:  global
        .offset:         40
        .size:           8
        .value_kind:     global_buffer
      - .address_space:  global
        .offset:         48
        .size:           8
        .value_kind:     global_buffer
      - .actual_access:  read_only
        .address_space:  global
        .offset:         56
        .size:           8
        .value_kind:     global_buffer
      - .address_space:  global
        .offset:         64
        .size:           8
        .value_kind:     global_buffer
      - .offset:         72
        .size:           4
        .value_kind:     by_value
    .group_segment_fixed_size: 3840
    .kernarg_segment_align: 8
    .kernarg_segment_size: 76
    .language:       OpenCL C
    .language_version:
      - 2
      - 0
    .max_flat_workgroup_size: 64
    .name:           _ZN9rocsparseL17bsric0_2_8_kernelILi64ELi128ELi8EdEEv20rocsparse_direction_iiPKiS3_PT2_S3_PiS3_S6_21rocsparse_index_base_
    .private_segment_fixed_size: 0
    .sgpr_count:     60
    .sgpr_spill_count: 0
    .symbol:         _ZN9rocsparseL17bsric0_2_8_kernelILi64ELi128ELi8EdEEv20rocsparse_direction_iiPKiS3_PT2_S3_PiS3_S6_21rocsparse_index_base_.kd
    .uniform_work_group_size: 1
    .uses_dynamic_stack: false
    .vgpr_count:     72
    .vgpr_spill_count: 0
    .wavefront_size: 64
  - .agpr_count:     0
    .args:
      - .offset:         0
        .size:           4
        .value_kind:     by_value
      - .offset:         4
        .size:           4
        .value_kind:     by_value
      - .offset:         8
        .size:           4
        .value_kind:     by_value
      - .actual_access:  read_only
        .address_space:  global
        .offset:         16
        .size:           8
        .value_kind:     global_buffer
      - .actual_access:  read_only
        .address_space:  global
        .offset:         24
        .size:           8
        .value_kind:     global_buffer
      - .address_space:  global
        .offset:         32
        .size:           8
        .value_kind:     global_buffer
      - .actual_access:  read_only
        .address_space:  global
        .offset:         40
        .size:           8
        .value_kind:     global_buffer
      - .address_space:  global
        .offset:         48
        .size:           8
        .value_kind:     global_buffer
      - .actual_access:  read_only
        .address_space:  global
        .offset:         56
        .size:           8
        .value_kind:     global_buffer
      - .address_space:  global
        .offset:         64
        .size:           8
        .value_kind:     global_buffer
      - .offset:         72
        .size:           4
        .value_kind:     by_value
    .group_segment_fixed_size: 10240
    .kernarg_segment_align: 8
    .kernarg_segment_size: 76
    .language:       OpenCL C
    .language_version:
      - 2
      - 0
    .max_flat_workgroup_size: 64
    .name:           _ZN9rocsparseL18bsric0_9_16_kernelILi64ELi128ELi16EdEEv20rocsparse_direction_iiPKiS3_PT2_S3_PiS3_S6_21rocsparse_index_base_
    .private_segment_fixed_size: 0
    .sgpr_count:     58
    .sgpr_spill_count: 0
    .symbol:         _ZN9rocsparseL18bsric0_9_16_kernelILi64ELi128ELi16EdEEv20rocsparse_direction_iiPKiS3_PT2_S3_PiS3_S6_21rocsparse_index_base_.kd
    .uniform_work_group_size: 1
    .uses_dynamic_stack: false
    .vgpr_count:     70
    .vgpr_spill_count: 0
    .wavefront_size: 64
  - .agpr_count:     0
    .args:
      - .offset:         0
        .size:           4
        .value_kind:     by_value
      - .offset:         4
        .size:           4
        .value_kind:     by_value
      - .offset:         8
        .size:           4
        .value_kind:     by_value
      - .actual_access:  read_only
        .address_space:  global
        .offset:         16
        .size:           8
        .value_kind:     global_buffer
      - .actual_access:  read_only
        .address_space:  global
        .offset:         24
        .size:           8
        .value_kind:     global_buffer
      - .address_space:  global
        .offset:         32
        .size:           8
        .value_kind:     global_buffer
      - .actual_access:  read_only
        .address_space:  global
        .offset:         40
        .size:           8
        .value_kind:     global_buffer
      - .address_space:  global
        .offset:         48
        .size:           8
        .value_kind:     global_buffer
      - .actual_access:  read_only
        .address_space:  global
        .offset:         56
        .size:           8
        .value_kind:     global_buffer
      - .address_space:  global
        .offset:         64
        .size:           8
        .value_kind:     global_buffer
      - .offset:         72
        .size:           4
        .value_kind:     by_value
    .group_segment_fixed_size: 26880
    .kernarg_segment_align: 8
    .kernarg_segment_size: 76
    .language:       OpenCL C
    .language_version:
      - 2
      - 0
    .max_flat_workgroup_size: 64
    .name:           _ZN9rocsparseL19bsric0_17_32_kernelILi64ELi128ELi32EdEEv20rocsparse_direction_iiPKiS3_PT2_S3_PiS3_S6_21rocsparse_index_base_
    .private_segment_fixed_size: 0
    .sgpr_count:     60
    .sgpr_spill_count: 0
    .symbol:         _ZN9rocsparseL19bsric0_17_32_kernelILi64ELi128ELi32EdEEv20rocsparse_direction_iiPKiS3_PT2_S3_PiS3_S6_21rocsparse_index_base_.kd
    .uniform_work_group_size: 1
    .uses_dynamic_stack: false
    .vgpr_count:     70
    .vgpr_spill_count: 0
    .wavefront_size: 64
  - .agpr_count:     0
    .args:
      - .offset:         0
        .size:           4
        .value_kind:     by_value
      - .offset:         4
        .size:           4
        .value_kind:     by_value
      - .offset:         8
        .size:           4
        .value_kind:     by_value
      - .actual_access:  read_only
        .address_space:  global
        .offset:         16
        .size:           8
        .value_kind:     global_buffer
      - .actual_access:  read_only
        .address_space:  global
        .offset:         24
        .size:           8
        .value_kind:     global_buffer
      - .address_space:  global
        .offset:         32
        .size:           8
        .value_kind:     global_buffer
      - .actual_access:  read_only
        .address_space:  global
        .offset:         40
        .size:           8
        .value_kind:     global_buffer
      - .address_space:  global
        .offset:         48
        .size:           8
        .value_kind:     global_buffer
      - .actual_access:  read_only
        .address_space:  global
        .offset:         56
        .size:           8
        .value_kind:     global_buffer
      - .address_space:  global
        .offset:         64
        .size:           8
        .value_kind:     global_buffer
      - .offset:         72
        .size:           4
        .value_kind:     by_value
    .group_segment_fixed_size: 0
    .kernarg_segment_align: 8
    .kernarg_segment_size: 76
    .language:       OpenCL C
    .language_version:
      - 2
      - 0
    .max_flat_workgroup_size: 32
    .name:           _ZN9rocsparseL23bsric0_binsearch_kernelILj32ELj32ELb0E21rocsparse_complex_numIfEEEv20rocsparse_direction_iiPKiS5_PT2_S5_PiS5_S8_21rocsparse_index_base_
    .private_segment_fixed_size: 0
    .sgpr_count:     63
    .sgpr_spill_count: 0
    .symbol:         _ZN9rocsparseL23bsric0_binsearch_kernelILj32ELj32ELb0E21rocsparse_complex_numIfEEEv20rocsparse_direction_iiPKiS5_PT2_S5_PiS5_S8_21rocsparse_index_base_.kd
    .uniform_work_group_size: 1
    .uses_dynamic_stack: false
    .vgpr_count:     49
    .vgpr_spill_count: 0
    .wavefront_size: 64
  - .agpr_count:     0
    .args:
      - .offset:         0
        .size:           4
        .value_kind:     by_value
      - .offset:         4
        .size:           4
        .value_kind:     by_value
      - .offset:         8
        .size:           4
        .value_kind:     by_value
      - .actual_access:  read_only
        .address_space:  global
        .offset:         16
        .size:           8
        .value_kind:     global_buffer
      - .actual_access:  read_only
        .address_space:  global
        .offset:         24
        .size:           8
        .value_kind:     global_buffer
      - .address_space:  global
        .offset:         32
        .size:           8
        .value_kind:     global_buffer
      - .actual_access:  read_only
        .address_space:  global
        .offset:         40
        .size:           8
        .value_kind:     global_buffer
      - .address_space:  global
        .offset:         48
        .size:           8
        .value_kind:     global_buffer
      - .actual_access:  read_only
        .address_space:  global
        .offset:         56
        .size:           8
        .value_kind:     global_buffer
      - .address_space:  global
        .offset:         64
        .size:           8
        .value_kind:     global_buffer
      - .offset:         72
        .size:           4
        .value_kind:     by_value
    .group_segment_fixed_size: 0
    .kernarg_segment_align: 8
    .kernarg_segment_size: 76
    .language:       OpenCL C
    .language_version:
      - 2
      - 0
    .max_flat_workgroup_size: 64
    .name:           _ZN9rocsparseL23bsric0_binsearch_kernelILj64ELj64ELb1E21rocsparse_complex_numIfEEEv20rocsparse_direction_iiPKiS5_PT2_S5_PiS5_S8_21rocsparse_index_base_
    .private_segment_fixed_size: 0
    .sgpr_count:     63
    .sgpr_spill_count: 0
    .symbol:         _ZN9rocsparseL23bsric0_binsearch_kernelILj64ELj64ELb1E21rocsparse_complex_numIfEEEv20rocsparse_direction_iiPKiS5_PT2_S5_PiS5_S8_21rocsparse_index_base_.kd
    .uniform_work_group_size: 1
    .uses_dynamic_stack: false
    .vgpr_count:     49
    .vgpr_spill_count: 0
    .wavefront_size: 64
  - .agpr_count:     0
    .args:
      - .offset:         0
        .size:           4
        .value_kind:     by_value
      - .offset:         4
        .size:           4
        .value_kind:     by_value
      - .offset:         8
        .size:           4
        .value_kind:     by_value
      - .actual_access:  read_only
        .address_space:  global
        .offset:         16
        .size:           8
        .value_kind:     global_buffer
      - .actual_access:  read_only
        .address_space:  global
        .offset:         24
        .size:           8
        .value_kind:     global_buffer
      - .address_space:  global
        .offset:         32
        .size:           8
        .value_kind:     global_buffer
      - .actual_access:  read_only
        .address_space:  global
        .offset:         40
        .size:           8
        .value_kind:     global_buffer
      - .address_space:  global
        .offset:         48
        .size:           8
        .value_kind:     global_buffer
      - .actual_access:  read_only
        .address_space:  global
        .offset:         56
        .size:           8
        .value_kind:     global_buffer
      - .address_space:  global
        .offset:         64
        .size:           8
        .value_kind:     global_buffer
      - .offset:         72
        .size:           4
        .value_kind:     by_value
    .group_segment_fixed_size: 448
    .kernarg_segment_align: 8
    .kernarg_segment_size: 76
    .language:       OpenCL C
    .language_version:
      - 2
      - 0
    .max_flat_workgroup_size: 1
    .name:           _ZN9rocsparseL26bsric0_2_8_unrolled_kernelILi1ELi32ELi1E21rocsparse_complex_numIfEEEv20rocsparse_direction_iiPKiS5_PT2_S5_PiS5_S8_21rocsparse_index_base_
    .private_segment_fixed_size: 0
    .sgpr_count:     46
    .sgpr_spill_count: 0
    .symbol:         _ZN9rocsparseL26bsric0_2_8_unrolled_kernelILi1ELi32ELi1E21rocsparse_complex_numIfEEEv20rocsparse_direction_iiPKiS5_PT2_S5_PiS5_S8_21rocsparse_index_base_.kd
    .uniform_work_group_size: 1
    .uses_dynamic_stack: false
    .vgpr_count:     42
    .vgpr_spill_count: 0
    .wavefront_size: 64
  - .agpr_count:     0
    .args:
      - .offset:         0
        .size:           4
        .value_kind:     by_value
      - .offset:         4
        .size:           4
        .value_kind:     by_value
      - .offset:         8
        .size:           4
        .value_kind:     by_value
      - .actual_access:  read_only
        .address_space:  global
        .offset:         16
        .size:           8
        .value_kind:     global_buffer
      - .actual_access:  read_only
        .address_space:  global
        .offset:         24
        .size:           8
        .value_kind:     global_buffer
      - .address_space:  global
        .offset:         32
        .size:           8
        .value_kind:     global_buffer
      - .actual_access:  read_only
        .address_space:  global
        .offset:         40
        .size:           8
        .value_kind:     global_buffer
      - .address_space:  global
        .offset:         48
        .size:           8
        .value_kind:     global_buffer
      - .actual_access:  read_only
        .address_space:  global
        .offset:         56
        .size:           8
        .value_kind:     global_buffer
      - .address_space:  global
        .offset:         64
        .size:           8
        .value_kind:     global_buffer
      - .offset:         72
        .size:           4
        .value_kind:     by_value
    .group_segment_fixed_size: 576
    .kernarg_segment_align: 8
    .kernarg_segment_size: 76
    .language:       OpenCL C
    .language_version:
      - 2
      - 0
    .max_flat_workgroup_size: 4
    .name:           _ZN9rocsparseL26bsric0_2_8_unrolled_kernelILi4ELi32ELi2E21rocsparse_complex_numIfEEEv20rocsparse_direction_iiPKiS5_PT2_S5_PiS5_S8_21rocsparse_index_base_
    .private_segment_fixed_size: 0
    .sgpr_count:     44
    .sgpr_spill_count: 0
    .symbol:         _ZN9rocsparseL26bsric0_2_8_unrolled_kernelILi4ELi32ELi2E21rocsparse_complex_numIfEEEv20rocsparse_direction_iiPKiS5_PT2_S5_PiS5_S8_21rocsparse_index_base_.kd
    .uniform_work_group_size: 1
    .uses_dynamic_stack: false
    .vgpr_count:     72
    .vgpr_spill_count: 0
    .wavefront_size: 64
  - .agpr_count:     0
    .args:
      - .offset:         0
        .size:           4
        .value_kind:     by_value
      - .offset:         4
        .size:           4
        .value_kind:     by_value
      - .offset:         8
        .size:           4
        .value_kind:     by_value
      - .actual_access:  read_only
        .address_space:  global
        .offset:         16
        .size:           8
        .value_kind:     global_buffer
      - .actual_access:  read_only
        .address_space:  global
        .offset:         24
        .size:           8
        .value_kind:     global_buffer
      - .address_space:  global
        .offset:         32
        .size:           8
        .value_kind:     global_buffer
      - .actual_access:  read_only
        .address_space:  global
        .offset:         40
        .size:           8
        .value_kind:     global_buffer
      - .address_space:  global
        .offset:         48
        .size:           8
        .value_kind:     global_buffer
      - .actual_access:  read_only
        .address_space:  global
        .offset:         56
        .size:           8
        .value_kind:     global_buffer
      - .address_space:  global
        .offset:         64
        .size:           8
        .value_kind:     global_buffer
      - .offset:         72
        .size:           4
        .value_kind:     by_value
    .group_segment_fixed_size: 768
    .kernarg_segment_align: 8
    .kernarg_segment_size: 76
    .language:       OpenCL C
    .language_version:
      - 2
      - 0
    .max_flat_workgroup_size: 9
    .name:           _ZN9rocsparseL26bsric0_2_8_unrolled_kernelILi9ELi32ELi3E21rocsparse_complex_numIfEEEv20rocsparse_direction_iiPKiS5_PT2_S5_PiS5_S8_21rocsparse_index_base_
    .private_segment_fixed_size: 0
    .sgpr_count:     44
    .sgpr_spill_count: 0
    .symbol:         _ZN9rocsparseL26bsric0_2_8_unrolled_kernelILi9ELi32ELi3E21rocsparse_complex_numIfEEEv20rocsparse_direction_iiPKiS5_PT2_S5_PiS5_S8_21rocsparse_index_base_.kd
    .uniform_work_group_size: 1
    .uses_dynamic_stack: false
    .vgpr_count:     72
    .vgpr_spill_count: 0
    .wavefront_size: 64
  - .agpr_count:     0
    .args:
      - .offset:         0
        .size:           4
        .value_kind:     by_value
      - .offset:         4
        .size:           4
        .value_kind:     by_value
      - .offset:         8
        .size:           4
        .value_kind:     by_value
      - .actual_access:  read_only
        .address_space:  global
        .offset:         16
        .size:           8
        .value_kind:     global_buffer
      - .actual_access:  read_only
        .address_space:  global
        .offset:         24
        .size:           8
        .value_kind:     global_buffer
      - .address_space:  global
        .offset:         32
        .size:           8
        .value_kind:     global_buffer
      - .actual_access:  read_only
        .address_space:  global
        .offset:         40
        .size:           8
        .value_kind:     global_buffer
      - .address_space:  global
        .offset:         48
        .size:           8
        .value_kind:     global_buffer
      - .actual_access:  read_only
        .address_space:  global
        .offset:         56
        .size:           8
        .value_kind:     global_buffer
      - .address_space:  global
        .offset:         64
        .size:           8
        .value_kind:     global_buffer
      - .offset:         72
        .size:           4
        .value_kind:     by_value
    .group_segment_fixed_size: 1024
    .kernarg_segment_align: 8
    .kernarg_segment_size: 76
    .language:       OpenCL C
    .language_version:
      - 2
      - 0
    .max_flat_workgroup_size: 16
    .name:           _ZN9rocsparseL26bsric0_2_8_unrolled_kernelILi16ELi32ELi4E21rocsparse_complex_numIfEEEv20rocsparse_direction_iiPKiS5_PT2_S5_PiS5_S8_21rocsparse_index_base_
    .private_segment_fixed_size: 0
    .sgpr_count:     44
    .sgpr_spill_count: 0
    .symbol:         _ZN9rocsparseL26bsric0_2_8_unrolled_kernelILi16ELi32ELi4E21rocsparse_complex_numIfEEEv20rocsparse_direction_iiPKiS5_PT2_S5_PiS5_S8_21rocsparse_index_base_.kd
    .uniform_work_group_size: 1
    .uses_dynamic_stack: false
    .vgpr_count:     72
    .vgpr_spill_count: 0
    .wavefront_size: 64
  - .agpr_count:     0
    .args:
      - .offset:         0
        .size:           4
        .value_kind:     by_value
      - .offset:         4
        .size:           4
        .value_kind:     by_value
      - .offset:         8
        .size:           4
        .value_kind:     by_value
      - .actual_access:  read_only
        .address_space:  global
        .offset:         16
        .size:           8
        .value_kind:     global_buffer
      - .actual_access:  read_only
        .address_space:  global
        .offset:         24
        .size:           8
        .value_kind:     global_buffer
      - .address_space:  global
        .offset:         32
        .size:           8
        .value_kind:     global_buffer
      - .actual_access:  read_only
        .address_space:  global
        .offset:         40
        .size:           8
        .value_kind:     global_buffer
      - .address_space:  global
        .offset:         48
        .size:           8
        .value_kind:     global_buffer
      - .actual_access:  read_only
        .address_space:  global
        .offset:         56
        .size:           8
        .value_kind:     global_buffer
      - .address_space:  global
        .offset:         64
        .size:           8
        .value_kind:     global_buffer
      - .offset:         72
        .size:           4
        .value_kind:     by_value
    .group_segment_fixed_size: 1344
    .kernarg_segment_align: 8
    .kernarg_segment_size: 76
    .language:       OpenCL C
    .language_version:
      - 2
      - 0
    .max_flat_workgroup_size: 25
    .name:           _ZN9rocsparseL26bsric0_2_8_unrolled_kernelILi25ELi32ELi5E21rocsparse_complex_numIfEEEv20rocsparse_direction_iiPKiS5_PT2_S5_PiS5_S8_21rocsparse_index_base_
    .private_segment_fixed_size: 0
    .sgpr_count:     44
    .sgpr_spill_count: 0
    .symbol:         _ZN9rocsparseL26bsric0_2_8_unrolled_kernelILi25ELi32ELi5E21rocsparse_complex_numIfEEEv20rocsparse_direction_iiPKiS5_PT2_S5_PiS5_S8_21rocsparse_index_base_.kd
    .uniform_work_group_size: 1
    .uses_dynamic_stack: false
    .vgpr_count:     72
    .vgpr_spill_count: 0
    .wavefront_size: 64
  - .agpr_count:     0
    .args:
      - .offset:         0
        .size:           4
        .value_kind:     by_value
      - .offset:         4
        .size:           4
        .value_kind:     by_value
      - .offset:         8
        .size:           4
        .value_kind:     by_value
      - .actual_access:  read_only
        .address_space:  global
        .offset:         16
        .size:           8
        .value_kind:     global_buffer
      - .actual_access:  read_only
        .address_space:  global
        .offset:         24
        .size:           8
        .value_kind:     global_buffer
      - .address_space:  global
        .offset:         32
        .size:           8
        .value_kind:     global_buffer
      - .actual_access:  read_only
        .address_space:  global
        .offset:         40
        .size:           8
        .value_kind:     global_buffer
      - .address_space:  global
        .offset:         48
        .size:           8
        .value_kind:     global_buffer
      - .actual_access:  read_only
        .address_space:  global
        .offset:         56
        .size:           8
        .value_kind:     global_buffer
      - .address_space:  global
        .offset:         64
        .size:           8
        .value_kind:     global_buffer
      - .offset:         72
        .size:           4
        .value_kind:     by_value
    .group_segment_fixed_size: 1728
    .kernarg_segment_align: 8
    .kernarg_segment_size: 76
    .language:       OpenCL C
    .language_version:
      - 2
      - 0
    .max_flat_workgroup_size: 36
    .name:           _ZN9rocsparseL26bsric0_2_8_unrolled_kernelILi36ELi32ELi6E21rocsparse_complex_numIfEEEv20rocsparse_direction_iiPKiS5_PT2_S5_PiS5_S8_21rocsparse_index_base_
    .private_segment_fixed_size: 0
    .sgpr_count:     44
    .sgpr_spill_count: 0
    .symbol:         _ZN9rocsparseL26bsric0_2_8_unrolled_kernelILi36ELi32ELi6E21rocsparse_complex_numIfEEEv20rocsparse_direction_iiPKiS5_PT2_S5_PiS5_S8_21rocsparse_index_base_.kd
    .uniform_work_group_size: 1
    .uses_dynamic_stack: false
    .vgpr_count:     72
    .vgpr_spill_count: 0
    .wavefront_size: 64
  - .agpr_count:     0
    .args:
      - .offset:         0
        .size:           4
        .value_kind:     by_value
      - .offset:         4
        .size:           4
        .value_kind:     by_value
      - .offset:         8
        .size:           4
        .value_kind:     by_value
      - .actual_access:  read_only
        .address_space:  global
        .offset:         16
        .size:           8
        .value_kind:     global_buffer
      - .actual_access:  read_only
        .address_space:  global
        .offset:         24
        .size:           8
        .value_kind:     global_buffer
      - .address_space:  global
        .offset:         32
        .size:           8
        .value_kind:     global_buffer
      - .actual_access:  read_only
        .address_space:  global
        .offset:         40
        .size:           8
        .value_kind:     global_buffer
      - .address_space:  global
        .offset:         48
        .size:           8
        .value_kind:     global_buffer
      - .actual_access:  read_only
        .address_space:  global
        .offset:         56
        .size:           8
        .value_kind:     global_buffer
      - .address_space:  global
        .offset:         64
        .size:           8
        .value_kind:     global_buffer
      - .offset:         72
        .size:           4
        .value_kind:     by_value
    .group_segment_fixed_size: 2176
    .kernarg_segment_align: 8
    .kernarg_segment_size: 76
    .language:       OpenCL C
    .language_version:
      - 2
      - 0
    .max_flat_workgroup_size: 49
    .name:           _ZN9rocsparseL26bsric0_2_8_unrolled_kernelILi49ELi32ELi7E21rocsparse_complex_numIfEEEv20rocsparse_direction_iiPKiS5_PT2_S5_PiS5_S8_21rocsparse_index_base_
    .private_segment_fixed_size: 0
    .sgpr_count:     44
    .sgpr_spill_count: 0
    .symbol:         _ZN9rocsparseL26bsric0_2_8_unrolled_kernelILi49ELi32ELi7E21rocsparse_complex_numIfEEEv20rocsparse_direction_iiPKiS5_PT2_S5_PiS5_S8_21rocsparse_index_base_.kd
    .uniform_work_group_size: 1
    .uses_dynamic_stack: false
    .vgpr_count:     72
    .vgpr_spill_count: 0
    .wavefront_size: 64
  - .agpr_count:     0
    .args:
      - .offset:         0
        .size:           4
        .value_kind:     by_value
      - .offset:         4
        .size:           4
        .value_kind:     by_value
      - .offset:         8
        .size:           4
        .value_kind:     by_value
      - .actual_access:  read_only
        .address_space:  global
        .offset:         16
        .size:           8
        .value_kind:     global_buffer
      - .actual_access:  read_only
        .address_space:  global
        .offset:         24
        .size:           8
        .value_kind:     global_buffer
      - .address_space:  global
        .offset:         32
        .size:           8
        .value_kind:     global_buffer
      - .actual_access:  read_only
        .address_space:  global
        .offset:         40
        .size:           8
        .value_kind:     global_buffer
      - .address_space:  global
        .offset:         48
        .size:           8
        .value_kind:     global_buffer
      - .actual_access:  read_only
        .address_space:  global
        .offset:         56
        .size:           8
        .value_kind:     global_buffer
      - .address_space:  global
        .offset:         64
        .size:           8
        .value_kind:     global_buffer
      - .offset:         72
        .size:           4
        .value_kind:     by_value
    .group_segment_fixed_size: 2688
    .kernarg_segment_align: 8
    .kernarg_segment_size: 76
    .language:       OpenCL C
    .language_version:
      - 2
      - 0
    .max_flat_workgroup_size: 64
    .name:           _ZN9rocsparseL26bsric0_2_8_unrolled_kernelILi64ELi32ELi8E21rocsparse_complex_numIfEEEv20rocsparse_direction_iiPKiS5_PT2_S5_PiS5_S8_21rocsparse_index_base_
    .private_segment_fixed_size: 0
    .sgpr_count:     44
    .sgpr_spill_count: 0
    .symbol:         _ZN9rocsparseL26bsric0_2_8_unrolled_kernelILi64ELi32ELi8E21rocsparse_complex_numIfEEEv20rocsparse_direction_iiPKiS5_PT2_S5_PiS5_S8_21rocsparse_index_base_.kd
    .uniform_work_group_size: 1
    .uses_dynamic_stack: false
    .vgpr_count:     72
    .vgpr_spill_count: 0
    .wavefront_size: 64
  - .agpr_count:     0
    .args:
      - .offset:         0
        .size:           4
        .value_kind:     by_value
      - .offset:         4
        .size:           4
        .value_kind:     by_value
      - .offset:         8
        .size:           4
        .value_kind:     by_value
      - .actual_access:  read_only
        .address_space:  global
        .offset:         16
        .size:           8
        .value_kind:     global_buffer
      - .actual_access:  read_only
        .address_space:  global
        .offset:         24
        .size:           8
        .value_kind:     global_buffer
      - .address_space:  global
        .offset:         32
        .size:           8
        .value_kind:     global_buffer
      - .actual_access:  read_only
        .address_space:  global
        .offset:         40
        .size:           8
        .value_kind:     global_buffer
      - .address_space:  global
        .offset:         48
        .size:           8
        .value_kind:     global_buffer
      - .actual_access:  read_only
        .address_space:  global
        .offset:         56
        .size:           8
        .value_kind:     global_buffer
      - .address_space:  global
        .offset:         64
        .size:           8
        .value_kind:     global_buffer
      - .offset:         72
        .size:           4
        .value_kind:     by_value
    .group_segment_fixed_size: 9088
    .kernarg_segment_align: 8
    .kernarg_segment_size: 76
    .language:       OpenCL C
    .language_version:
      - 2
      - 0
    .max_flat_workgroup_size: 64
    .name:           _ZN9rocsparseL18bsric0_9_16_kernelILi64ELi32ELi16E21rocsparse_complex_numIfEEEv20rocsparse_direction_iiPKiS5_PT2_S5_PiS5_S8_21rocsparse_index_base_
    .private_segment_fixed_size: 0
    .sgpr_count:     68
    .sgpr_spill_count: 0
    .symbol:         _ZN9rocsparseL18bsric0_9_16_kernelILi64ELi32ELi16E21rocsparse_complex_numIfEEEv20rocsparse_direction_iiPKiS5_PT2_S5_PiS5_S8_21rocsparse_index_base_.kd
    .uniform_work_group_size: 1
    .uses_dynamic_stack: false
    .vgpr_count:     70
    .vgpr_spill_count: 0
    .wavefront_size: 64
  - .agpr_count:     0
    .args:
      - .offset:         0
        .size:           4
        .value_kind:     by_value
      - .offset:         4
        .size:           4
        .value_kind:     by_value
      - .offset:         8
        .size:           4
        .value_kind:     by_value
      - .actual_access:  read_only
        .address_space:  global
        .offset:         16
        .size:           8
        .value_kind:     global_buffer
      - .actual_access:  read_only
        .address_space:  global
        .offset:         24
        .size:           8
        .value_kind:     global_buffer
      - .address_space:  global
        .offset:         32
        .size:           8
        .value_kind:     global_buffer
      - .actual_access:  read_only
        .address_space:  global
        .offset:         40
        .size:           8
        .value_kind:     global_buffer
      - .address_space:  global
        .offset:         48
        .size:           8
        .value_kind:     global_buffer
      - .actual_access:  read_only
        .address_space:  global
        .offset:         56
        .size:           8
        .value_kind:     global_buffer
      - .address_space:  global
        .offset:         64
        .size:           8
        .value_kind:     global_buffer
      - .offset:         72
        .size:           4
        .value_kind:     by_value
    .group_segment_fixed_size: 25728
    .kernarg_segment_align: 8
    .kernarg_segment_size: 76
    .language:       OpenCL C
    .language_version:
      - 2
      - 0
    .max_flat_workgroup_size: 64
    .name:           _ZN9rocsparseL19bsric0_17_32_kernelILi64ELi32ELi32E21rocsparse_complex_numIfEEEv20rocsparse_direction_iiPKiS5_PT2_S5_PiS5_S8_21rocsparse_index_base_
    .private_segment_fixed_size: 0
    .sgpr_count:     70
    .sgpr_spill_count: 0
    .symbol:         _ZN9rocsparseL19bsric0_17_32_kernelILi64ELi32ELi32E21rocsparse_complex_numIfEEEv20rocsparse_direction_iiPKiS5_PT2_S5_PiS5_S8_21rocsparse_index_base_.kd
    .uniform_work_group_size: 1
    .uses_dynamic_stack: false
    .vgpr_count:     70
    .vgpr_spill_count: 0
    .wavefront_size: 64
  - .agpr_count:     0
    .args:
      - .offset:         0
        .size:           4
        .value_kind:     by_value
      - .offset:         4
        .size:           4
        .value_kind:     by_value
      - .offset:         8
        .size:           4
        .value_kind:     by_value
      - .actual_access:  read_only
        .address_space:  global
        .offset:         16
        .size:           8
        .value_kind:     global_buffer
      - .actual_access:  read_only
        .address_space:  global
        .offset:         24
        .size:           8
        .value_kind:     global_buffer
      - .address_space:  global
        .offset:         32
        .size:           8
        .value_kind:     global_buffer
      - .actual_access:  read_only
        .address_space:  global
        .offset:         40
        .size:           8
        .value_kind:     global_buffer
      - .address_space:  global
        .offset:         48
        .size:           8
        .value_kind:     global_buffer
      - .actual_access:  read_only
        .address_space:  global
        .offset:         56
        .size:           8
        .value_kind:     global_buffer
      - .address_space:  global
        .offset:         64
        .size:           8
        .value_kind:     global_buffer
      - .offset:         72
        .size:           4
        .value_kind:     by_value
    .group_segment_fixed_size: 0
    .kernarg_segment_align: 8
    .kernarg_segment_size: 76
    .language:       OpenCL C
    .language_version:
      - 2
      - 0
    .max_flat_workgroup_size: 64
    .name:           _ZN9rocsparseL23bsric0_binsearch_kernelILj64ELj64ELb0E21rocsparse_complex_numIfEEEv20rocsparse_direction_iiPKiS5_PT2_S5_PiS5_S8_21rocsparse_index_base_
    .private_segment_fixed_size: 0
    .sgpr_count:     63
    .sgpr_spill_count: 0
    .symbol:         _ZN9rocsparseL23bsric0_binsearch_kernelILj64ELj64ELb0E21rocsparse_complex_numIfEEEv20rocsparse_direction_iiPKiS5_PT2_S5_PiS5_S8_21rocsparse_index_base_.kd
    .uniform_work_group_size: 1
    .uses_dynamic_stack: false
    .vgpr_count:     49
    .vgpr_spill_count: 0
    .wavefront_size: 64
  - .agpr_count:     0
    .args:
      - .offset:         0
        .size:           4
        .value_kind:     by_value
      - .offset:         4
        .size:           4
        .value_kind:     by_value
      - .offset:         8
        .size:           4
        .value_kind:     by_value
      - .actual_access:  read_only
        .address_space:  global
        .offset:         16
        .size:           8
        .value_kind:     global_buffer
      - .actual_access:  read_only
        .address_space:  global
        .offset:         24
        .size:           8
        .value_kind:     global_buffer
      - .address_space:  global
        .offset:         32
        .size:           8
        .value_kind:     global_buffer
      - .actual_access:  read_only
        .address_space:  global
        .offset:         40
        .size:           8
        .value_kind:     global_buffer
      - .address_space:  global
        .offset:         48
        .size:           8
        .value_kind:     global_buffer
      - .actual_access:  read_only
        .address_space:  global
        .offset:         56
        .size:           8
        .value_kind:     global_buffer
      - .address_space:  global
        .offset:         64
        .size:           8
        .value_kind:     global_buffer
      - .offset:         72
        .size:           4
        .value_kind:     by_value
    .group_segment_fixed_size: 3072
    .kernarg_segment_align: 8
    .kernarg_segment_size: 76
    .language:       OpenCL C
    .language_version:
      - 2
      - 0
    .max_flat_workgroup_size: 64
    .name:           _ZN9rocsparseL17bsric0_2_8_kernelILi64ELi64ELi8E21rocsparse_complex_numIfEEEv20rocsparse_direction_iiPKiS5_PT2_S5_PiS5_S8_21rocsparse_index_base_
    .private_segment_fixed_size: 0
    .sgpr_count:     56
    .sgpr_spill_count: 0
    .symbol:         _ZN9rocsparseL17bsric0_2_8_kernelILi64ELi64ELi8E21rocsparse_complex_numIfEEEv20rocsparse_direction_iiPKiS5_PT2_S5_PiS5_S8_21rocsparse_index_base_.kd
    .uniform_work_group_size: 1
    .uses_dynamic_stack: false
    .vgpr_count:     72
    .vgpr_spill_count: 0
    .wavefront_size: 64
  - .agpr_count:     0
    .args:
      - .offset:         0
        .size:           4
        .value_kind:     by_value
      - .offset:         4
        .size:           4
        .value_kind:     by_value
      - .offset:         8
        .size:           4
        .value_kind:     by_value
      - .actual_access:  read_only
        .address_space:  global
        .offset:         16
        .size:           8
        .value_kind:     global_buffer
      - .actual_access:  read_only
        .address_space:  global
        .offset:         24
        .size:           8
        .value_kind:     global_buffer
      - .address_space:  global
        .offset:         32
        .size:           8
        .value_kind:     global_buffer
      - .actual_access:  read_only
        .address_space:  global
        .offset:         40
        .size:           8
        .value_kind:     global_buffer
      - .address_space:  global
        .offset:         48
        .size:           8
        .value_kind:     global_buffer
      - .actual_access:  read_only
        .address_space:  global
        .offset:         56
        .size:           8
        .value_kind:     global_buffer
      - .address_space:  global
        .offset:         64
        .size:           8
        .value_kind:     global_buffer
      - .offset:         72
        .size:           4
        .value_kind:     by_value
    .group_segment_fixed_size: 9472
    .kernarg_segment_align: 8
    .kernarg_segment_size: 76
    .language:       OpenCL C
    .language_version:
      - 2
      - 0
    .max_flat_workgroup_size: 64
    .name:           _ZN9rocsparseL18bsric0_9_16_kernelILi64ELi64ELi16E21rocsparse_complex_numIfEEEv20rocsparse_direction_iiPKiS5_PT2_S5_PiS5_S8_21rocsparse_index_base_
    .private_segment_fixed_size: 0
    .sgpr_count:     68
    .sgpr_spill_count: 0
    .symbol:         _ZN9rocsparseL18bsric0_9_16_kernelILi64ELi64ELi16E21rocsparse_complex_numIfEEEv20rocsparse_direction_iiPKiS5_PT2_S5_PiS5_S8_21rocsparse_index_base_.kd
    .uniform_work_group_size: 1
    .uses_dynamic_stack: false
    .vgpr_count:     70
    .vgpr_spill_count: 0
    .wavefront_size: 64
  - .agpr_count:     0
    .args:
      - .offset:         0
        .size:           4
        .value_kind:     by_value
      - .offset:         4
        .size:           4
        .value_kind:     by_value
      - .offset:         8
        .size:           4
        .value_kind:     by_value
      - .actual_access:  read_only
        .address_space:  global
        .offset:         16
        .size:           8
        .value_kind:     global_buffer
      - .actual_access:  read_only
        .address_space:  global
        .offset:         24
        .size:           8
        .value_kind:     global_buffer
      - .address_space:  global
        .offset:         32
        .size:           8
        .value_kind:     global_buffer
      - .actual_access:  read_only
        .address_space:  global
        .offset:         40
        .size:           8
        .value_kind:     global_buffer
      - .address_space:  global
        .offset:         48
        .size:           8
        .value_kind:     global_buffer
      - .actual_access:  read_only
        .address_space:  global
        .offset:         56
        .size:           8
        .value_kind:     global_buffer
      - .address_space:  global
        .offset:         64
        .size:           8
        .value_kind:     global_buffer
      - .offset:         72
        .size:           4
        .value_kind:     by_value
    .group_segment_fixed_size: 26112
    .kernarg_segment_align: 8
    .kernarg_segment_size: 76
    .language:       OpenCL C
    .language_version:
      - 2
      - 0
    .max_flat_workgroup_size: 64
    .name:           _ZN9rocsparseL19bsric0_17_32_kernelILi64ELi64ELi32E21rocsparse_complex_numIfEEEv20rocsparse_direction_iiPKiS5_PT2_S5_PiS5_S8_21rocsparse_index_base_
    .private_segment_fixed_size: 0
    .sgpr_count:     70
    .sgpr_spill_count: 0
    .symbol:         _ZN9rocsparseL19bsric0_17_32_kernelILi64ELi64ELi32E21rocsparse_complex_numIfEEEv20rocsparse_direction_iiPKiS5_PT2_S5_PiS5_S8_21rocsparse_index_base_.kd
    .uniform_work_group_size: 1
    .uses_dynamic_stack: false
    .vgpr_count:     70
    .vgpr_spill_count: 0
    .wavefront_size: 64
  - .agpr_count:     0
    .args:
      - .offset:         0
        .size:           4
        .value_kind:     by_value
      - .offset:         4
        .size:           4
        .value_kind:     by_value
      - .offset:         8
        .size:           4
        .value_kind:     by_value
      - .actual_access:  read_only
        .address_space:  global
        .offset:         16
        .size:           8
        .value_kind:     global_buffer
      - .actual_access:  read_only
        .address_space:  global
        .offset:         24
        .size:           8
        .value_kind:     global_buffer
      - .address_space:  global
        .offset:         32
        .size:           8
        .value_kind:     global_buffer
      - .actual_access:  read_only
        .address_space:  global
        .offset:         40
        .size:           8
        .value_kind:     global_buffer
      - .address_space:  global
        .offset:         48
        .size:           8
        .value_kind:     global_buffer
      - .actual_access:  read_only
        .address_space:  global
        .offset:         56
        .size:           8
        .value_kind:     global_buffer
      - .address_space:  global
        .offset:         64
        .size:           8
        .value_kind:     global_buffer
      - .offset:         72
        .size:           4
        .value_kind:     by_value
    .group_segment_fixed_size: 3840
    .kernarg_segment_align: 8
    .kernarg_segment_size: 76
    .language:       OpenCL C
    .language_version:
      - 2
      - 0
    .max_flat_workgroup_size: 64
    .name:           _ZN9rocsparseL17bsric0_2_8_kernelILi64ELi128ELi8E21rocsparse_complex_numIfEEEv20rocsparse_direction_iiPKiS5_PT2_S5_PiS5_S8_21rocsparse_index_base_
    .private_segment_fixed_size: 0
    .sgpr_count:     56
    .sgpr_spill_count: 0
    .symbol:         _ZN9rocsparseL17bsric0_2_8_kernelILi64ELi128ELi8E21rocsparse_complex_numIfEEEv20rocsparse_direction_iiPKiS5_PT2_S5_PiS5_S8_21rocsparse_index_base_.kd
    .uniform_work_group_size: 1
    .uses_dynamic_stack: false
    .vgpr_count:     72
    .vgpr_spill_count: 0
    .wavefront_size: 64
  - .agpr_count:     0
    .args:
      - .offset:         0
        .size:           4
        .value_kind:     by_value
      - .offset:         4
        .size:           4
        .value_kind:     by_value
      - .offset:         8
        .size:           4
        .value_kind:     by_value
      - .actual_access:  read_only
        .address_space:  global
        .offset:         16
        .size:           8
        .value_kind:     global_buffer
      - .actual_access:  read_only
        .address_space:  global
        .offset:         24
        .size:           8
        .value_kind:     global_buffer
      - .address_space:  global
        .offset:         32
        .size:           8
        .value_kind:     global_buffer
      - .actual_access:  read_only
        .address_space:  global
        .offset:         40
        .size:           8
        .value_kind:     global_buffer
      - .address_space:  global
        .offset:         48
        .size:           8
        .value_kind:     global_buffer
      - .actual_access:  read_only
        .address_space:  global
        .offset:         56
        .size:           8
        .value_kind:     global_buffer
      - .address_space:  global
        .offset:         64
        .size:           8
        .value_kind:     global_buffer
      - .offset:         72
        .size:           4
        .value_kind:     by_value
    .group_segment_fixed_size: 10240
    .kernarg_segment_align: 8
    .kernarg_segment_size: 76
    .language:       OpenCL C
    .language_version:
      - 2
      - 0
    .max_flat_workgroup_size: 64
    .name:           _ZN9rocsparseL18bsric0_9_16_kernelILi64ELi128ELi16E21rocsparse_complex_numIfEEEv20rocsparse_direction_iiPKiS5_PT2_S5_PiS5_S8_21rocsparse_index_base_
    .private_segment_fixed_size: 0
    .sgpr_count:     68
    .sgpr_spill_count: 0
    .symbol:         _ZN9rocsparseL18bsric0_9_16_kernelILi64ELi128ELi16E21rocsparse_complex_numIfEEEv20rocsparse_direction_iiPKiS5_PT2_S5_PiS5_S8_21rocsparse_index_base_.kd
    .uniform_work_group_size: 1
    .uses_dynamic_stack: false
    .vgpr_count:     70
    .vgpr_spill_count: 0
    .wavefront_size: 64
  - .agpr_count:     0
    .args:
      - .offset:         0
        .size:           4
        .value_kind:     by_value
      - .offset:         4
        .size:           4
        .value_kind:     by_value
      - .offset:         8
        .size:           4
        .value_kind:     by_value
      - .actual_access:  read_only
        .address_space:  global
        .offset:         16
        .size:           8
        .value_kind:     global_buffer
      - .actual_access:  read_only
        .address_space:  global
        .offset:         24
        .size:           8
        .value_kind:     global_buffer
      - .address_space:  global
        .offset:         32
        .size:           8
        .value_kind:     global_buffer
      - .actual_access:  read_only
        .address_space:  global
        .offset:         40
        .size:           8
        .value_kind:     global_buffer
      - .address_space:  global
        .offset:         48
        .size:           8
        .value_kind:     global_buffer
      - .actual_access:  read_only
        .address_space:  global
        .offset:         56
        .size:           8
        .value_kind:     global_buffer
      - .address_space:  global
        .offset:         64
        .size:           8
        .value_kind:     global_buffer
      - .offset:         72
        .size:           4
        .value_kind:     by_value
    .group_segment_fixed_size: 26880
    .kernarg_segment_align: 8
    .kernarg_segment_size: 76
    .language:       OpenCL C
    .language_version:
      - 2
      - 0
    .max_flat_workgroup_size: 64
    .name:           _ZN9rocsparseL19bsric0_17_32_kernelILi64ELi128ELi32E21rocsparse_complex_numIfEEEv20rocsparse_direction_iiPKiS5_PT2_S5_PiS5_S8_21rocsparse_index_base_
    .private_segment_fixed_size: 0
    .sgpr_count:     70
    .sgpr_spill_count: 0
    .symbol:         _ZN9rocsparseL19bsric0_17_32_kernelILi64ELi128ELi32E21rocsparse_complex_numIfEEEv20rocsparse_direction_iiPKiS5_PT2_S5_PiS5_S8_21rocsparse_index_base_.kd
    .uniform_work_group_size: 1
    .uses_dynamic_stack: false
    .vgpr_count:     70
    .vgpr_spill_count: 0
    .wavefront_size: 64
  - .agpr_count:     0
    .args:
      - .offset:         0
        .size:           4
        .value_kind:     by_value
      - .offset:         4
        .size:           4
        .value_kind:     by_value
      - .offset:         8
        .size:           4
        .value_kind:     by_value
      - .actual_access:  read_only
        .address_space:  global
        .offset:         16
        .size:           8
        .value_kind:     global_buffer
      - .actual_access:  read_only
        .address_space:  global
        .offset:         24
        .size:           8
        .value_kind:     global_buffer
      - .address_space:  global
        .offset:         32
        .size:           8
        .value_kind:     global_buffer
      - .actual_access:  read_only
        .address_space:  global
        .offset:         40
        .size:           8
        .value_kind:     global_buffer
      - .address_space:  global
        .offset:         48
        .size:           8
        .value_kind:     global_buffer
      - .actual_access:  read_only
        .address_space:  global
        .offset:         56
        .size:           8
        .value_kind:     global_buffer
      - .address_space:  global
        .offset:         64
        .size:           8
        .value_kind:     global_buffer
      - .offset:         72
        .size:           4
        .value_kind:     by_value
    .group_segment_fixed_size: 0
    .kernarg_segment_align: 8
    .kernarg_segment_size: 76
    .language:       OpenCL C
    .language_version:
      - 2
      - 0
    .max_flat_workgroup_size: 32
    .name:           _ZN9rocsparseL23bsric0_binsearch_kernelILj32ELj32ELb0E21rocsparse_complex_numIdEEEv20rocsparse_direction_iiPKiS5_PT2_S5_PiS5_S8_21rocsparse_index_base_
    .private_segment_fixed_size: 0
    .sgpr_count:     63
    .sgpr_spill_count: 0
    .symbol:         _ZN9rocsparseL23bsric0_binsearch_kernelILj32ELj32ELb0E21rocsparse_complex_numIdEEEv20rocsparse_direction_iiPKiS5_PT2_S5_PiS5_S8_21rocsparse_index_base_.kd
    .uniform_work_group_size: 1
    .uses_dynamic_stack: false
    .vgpr_count:     62
    .vgpr_spill_count: 0
    .wavefront_size: 64
  - .agpr_count:     0
    .args:
      - .offset:         0
        .size:           4
        .value_kind:     by_value
      - .offset:         4
        .size:           4
        .value_kind:     by_value
      - .offset:         8
        .size:           4
        .value_kind:     by_value
      - .actual_access:  read_only
        .address_space:  global
        .offset:         16
        .size:           8
        .value_kind:     global_buffer
      - .actual_access:  read_only
        .address_space:  global
        .offset:         24
        .size:           8
        .value_kind:     global_buffer
      - .address_space:  global
        .offset:         32
        .size:           8
        .value_kind:     global_buffer
      - .actual_access:  read_only
        .address_space:  global
        .offset:         40
        .size:           8
        .value_kind:     global_buffer
      - .address_space:  global
        .offset:         48
        .size:           8
        .value_kind:     global_buffer
      - .actual_access:  read_only
        .address_space:  global
        .offset:         56
        .size:           8
        .value_kind:     global_buffer
      - .address_space:  global
        .offset:         64
        .size:           8
        .value_kind:     global_buffer
      - .offset:         72
        .size:           4
        .value_kind:     by_value
    .group_segment_fixed_size: 0
    .kernarg_segment_align: 8
    .kernarg_segment_size: 76
    .language:       OpenCL C
    .language_version:
      - 2
      - 0
    .max_flat_workgroup_size: 64
    .name:           _ZN9rocsparseL23bsric0_binsearch_kernelILj64ELj64ELb1E21rocsparse_complex_numIdEEEv20rocsparse_direction_iiPKiS5_PT2_S5_PiS5_S8_21rocsparse_index_base_
    .private_segment_fixed_size: 0
    .sgpr_count:     63
    .sgpr_spill_count: 0
    .symbol:         _ZN9rocsparseL23bsric0_binsearch_kernelILj64ELj64ELb1E21rocsparse_complex_numIdEEEv20rocsparse_direction_iiPKiS5_PT2_S5_PiS5_S8_21rocsparse_index_base_.kd
    .uniform_work_group_size: 1
    .uses_dynamic_stack: false
    .vgpr_count:     62
    .vgpr_spill_count: 0
    .wavefront_size: 64
  - .agpr_count:     0
    .args:
      - .offset:         0
        .size:           4
        .value_kind:     by_value
      - .offset:         4
        .size:           4
        .value_kind:     by_value
      - .offset:         8
        .size:           4
        .value_kind:     by_value
      - .actual_access:  read_only
        .address_space:  global
        .offset:         16
        .size:           8
        .value_kind:     global_buffer
      - .actual_access:  read_only
        .address_space:  global
        .offset:         24
        .size:           8
        .value_kind:     global_buffer
      - .address_space:  global
        .offset:         32
        .size:           8
        .value_kind:     global_buffer
      - .actual_access:  read_only
        .address_space:  global
        .offset:         40
        .size:           8
        .value_kind:     global_buffer
      - .address_space:  global
        .offset:         48
        .size:           8
        .value_kind:     global_buffer
      - .actual_access:  read_only
        .address_space:  global
        .offset:         56
        .size:           8
        .value_kind:     global_buffer
      - .address_space:  global
        .offset:         64
        .size:           8
        .value_kind:     global_buffer
      - .offset:         72
        .size:           4
        .value_kind:     by_value
    .group_segment_fixed_size: 512
    .kernarg_segment_align: 8
    .kernarg_segment_size: 76
    .language:       OpenCL C
    .language_version:
      - 2
      - 0
    .max_flat_workgroup_size: 1
    .name:           _ZN9rocsparseL26bsric0_2_8_unrolled_kernelILi1ELi32ELi1E21rocsparse_complex_numIdEEEv20rocsparse_direction_iiPKiS5_PT2_S5_PiS5_S8_21rocsparse_index_base_
    .private_segment_fixed_size: 0
    .sgpr_count:     43
    .sgpr_spill_count: 0
    .symbol:         _ZN9rocsparseL26bsric0_2_8_unrolled_kernelILi1ELi32ELi1E21rocsparse_complex_numIdEEEv20rocsparse_direction_iiPKiS5_PT2_S5_PiS5_S8_21rocsparse_index_base_.kd
    .uniform_work_group_size: 1
    .uses_dynamic_stack: false
    .vgpr_count:     60
    .vgpr_spill_count: 0
    .wavefront_size: 64
  - .agpr_count:     0
    .args:
      - .offset:         0
        .size:           4
        .value_kind:     by_value
      - .offset:         4
        .size:           4
        .value_kind:     by_value
      - .offset:         8
        .size:           4
        .value_kind:     by_value
      - .actual_access:  read_only
        .address_space:  global
        .offset:         16
        .size:           8
        .value_kind:     global_buffer
      - .actual_access:  read_only
        .address_space:  global
        .offset:         24
        .size:           8
        .value_kind:     global_buffer
      - .address_space:  global
        .offset:         32
        .size:           8
        .value_kind:     global_buffer
      - .actual_access:  read_only
        .address_space:  global
        .offset:         40
        .size:           8
        .value_kind:     global_buffer
      - .address_space:  global
        .offset:         48
        .size:           8
        .value_kind:     global_buffer
      - .actual_access:  read_only
        .address_space:  global
        .offset:         56
        .size:           8
        .value_kind:     global_buffer
      - .address_space:  global
        .offset:         64
        .size:           8
        .value_kind:     global_buffer
      - .offset:         72
        .size:           4
        .value_kind:     by_value
    .group_segment_fixed_size: 768
    .kernarg_segment_align: 8
    .kernarg_segment_size: 76
    .language:       OpenCL C
    .language_version:
      - 2
      - 0
    .max_flat_workgroup_size: 4
    .name:           _ZN9rocsparseL26bsric0_2_8_unrolled_kernelILi4ELi32ELi2E21rocsparse_complex_numIdEEEv20rocsparse_direction_iiPKiS5_PT2_S5_PiS5_S8_21rocsparse_index_base_
    .private_segment_fixed_size: 0
    .sgpr_count:     44
    .sgpr_spill_count: 0
    .symbol:         _ZN9rocsparseL26bsric0_2_8_unrolled_kernelILi4ELi32ELi2E21rocsparse_complex_numIdEEEv20rocsparse_direction_iiPKiS5_PT2_S5_PiS5_S8_21rocsparse_index_base_.kd
    .uniform_work_group_size: 1
    .uses_dynamic_stack: false
    .vgpr_count:     72
    .vgpr_spill_count: 0
    .wavefront_size: 64
  - .agpr_count:     0
    .args:
      - .offset:         0
        .size:           4
        .value_kind:     by_value
      - .offset:         4
        .size:           4
        .value_kind:     by_value
      - .offset:         8
        .size:           4
        .value_kind:     by_value
      - .actual_access:  read_only
        .address_space:  global
        .offset:         16
        .size:           8
        .value_kind:     global_buffer
      - .actual_access:  read_only
        .address_space:  global
        .offset:         24
        .size:           8
        .value_kind:     global_buffer
      - .address_space:  global
        .offset:         32
        .size:           8
        .value_kind:     global_buffer
      - .actual_access:  read_only
        .address_space:  global
        .offset:         40
        .size:           8
        .value_kind:     global_buffer
      - .address_space:  global
        .offset:         48
        .size:           8
        .value_kind:     global_buffer
      - .actual_access:  read_only
        .address_space:  global
        .offset:         56
        .size:           8
        .value_kind:     global_buffer
      - .address_space:  global
        .offset:         64
        .size:           8
        .value_kind:     global_buffer
      - .offset:         72
        .size:           4
        .value_kind:     by_value
    .group_segment_fixed_size: 1152
    .kernarg_segment_align: 8
    .kernarg_segment_size: 76
    .language:       OpenCL C
    .language_version:
      - 2
      - 0
    .max_flat_workgroup_size: 9
    .name:           _ZN9rocsparseL26bsric0_2_8_unrolled_kernelILi9ELi32ELi3E21rocsparse_complex_numIdEEEv20rocsparse_direction_iiPKiS5_PT2_S5_PiS5_S8_21rocsparse_index_base_
    .private_segment_fixed_size: 0
    .sgpr_count:     44
    .sgpr_spill_count: 0
    .symbol:         _ZN9rocsparseL26bsric0_2_8_unrolled_kernelILi9ELi32ELi3E21rocsparse_complex_numIdEEEv20rocsparse_direction_iiPKiS5_PT2_S5_PiS5_S8_21rocsparse_index_base_.kd
    .uniform_work_group_size: 1
    .uses_dynamic_stack: false
    .vgpr_count:     74
    .vgpr_spill_count: 0
    .wavefront_size: 64
  - .agpr_count:     0
    .args:
      - .offset:         0
        .size:           4
        .value_kind:     by_value
      - .offset:         4
        .size:           4
        .value_kind:     by_value
      - .offset:         8
        .size:           4
        .value_kind:     by_value
      - .actual_access:  read_only
        .address_space:  global
        .offset:         16
        .size:           8
        .value_kind:     global_buffer
      - .actual_access:  read_only
        .address_space:  global
        .offset:         24
        .size:           8
        .value_kind:     global_buffer
      - .address_space:  global
        .offset:         32
        .size:           8
        .value_kind:     global_buffer
      - .actual_access:  read_only
        .address_space:  global
        .offset:         40
        .size:           8
        .value_kind:     global_buffer
      - .address_space:  global
        .offset:         48
        .size:           8
        .value_kind:     global_buffer
      - .actual_access:  read_only
        .address_space:  global
        .offset:         56
        .size:           8
        .value_kind:     global_buffer
      - .address_space:  global
        .offset:         64
        .size:           8
        .value_kind:     global_buffer
      - .offset:         72
        .size:           4
        .value_kind:     by_value
    .group_segment_fixed_size: 1664
    .kernarg_segment_align: 8
    .kernarg_segment_size: 76
    .language:       OpenCL C
    .language_version:
      - 2
      - 0
    .max_flat_workgroup_size: 16
    .name:           _ZN9rocsparseL26bsric0_2_8_unrolled_kernelILi16ELi32ELi4E21rocsparse_complex_numIdEEEv20rocsparse_direction_iiPKiS5_PT2_S5_PiS5_S8_21rocsparse_index_base_
    .private_segment_fixed_size: 0
    .sgpr_count:     44
    .sgpr_spill_count: 0
    .symbol:         _ZN9rocsparseL26bsric0_2_8_unrolled_kernelILi16ELi32ELi4E21rocsparse_complex_numIdEEEv20rocsparse_direction_iiPKiS5_PT2_S5_PiS5_S8_21rocsparse_index_base_.kd
    .uniform_work_group_size: 1
    .uses_dynamic_stack: false
    .vgpr_count:     72
    .vgpr_spill_count: 0
    .wavefront_size: 64
  - .agpr_count:     0
    .args:
      - .offset:         0
        .size:           4
        .value_kind:     by_value
      - .offset:         4
        .size:           4
        .value_kind:     by_value
      - .offset:         8
        .size:           4
        .value_kind:     by_value
      - .actual_access:  read_only
        .address_space:  global
        .offset:         16
        .size:           8
        .value_kind:     global_buffer
      - .actual_access:  read_only
        .address_space:  global
        .offset:         24
        .size:           8
        .value_kind:     global_buffer
      - .address_space:  global
        .offset:         32
        .size:           8
        .value_kind:     global_buffer
      - .actual_access:  read_only
        .address_space:  global
        .offset:         40
        .size:           8
        .value_kind:     global_buffer
      - .address_space:  global
        .offset:         48
        .size:           8
        .value_kind:     global_buffer
      - .actual_access:  read_only
        .address_space:  global
        .offset:         56
        .size:           8
        .value_kind:     global_buffer
      - .address_space:  global
        .offset:         64
        .size:           8
        .value_kind:     global_buffer
      - .offset:         72
        .size:           4
        .value_kind:     by_value
    .group_segment_fixed_size: 2304
    .kernarg_segment_align: 8
    .kernarg_segment_size: 76
    .language:       OpenCL C
    .language_version:
      - 2
      - 0
    .max_flat_workgroup_size: 25
    .name:           _ZN9rocsparseL26bsric0_2_8_unrolled_kernelILi25ELi32ELi5E21rocsparse_complex_numIdEEEv20rocsparse_direction_iiPKiS5_PT2_S5_PiS5_S8_21rocsparse_index_base_
    .private_segment_fixed_size: 0
    .sgpr_count:     44
    .sgpr_spill_count: 0
    .symbol:         _ZN9rocsparseL26bsric0_2_8_unrolled_kernelILi25ELi32ELi5E21rocsparse_complex_numIdEEEv20rocsparse_direction_iiPKiS5_PT2_S5_PiS5_S8_21rocsparse_index_base_.kd
    .uniform_work_group_size: 1
    .uses_dynamic_stack: false
    .vgpr_count:     74
    .vgpr_spill_count: 0
    .wavefront_size: 64
  - .agpr_count:     0
    .args:
      - .offset:         0
        .size:           4
        .value_kind:     by_value
      - .offset:         4
        .size:           4
        .value_kind:     by_value
      - .offset:         8
        .size:           4
        .value_kind:     by_value
      - .actual_access:  read_only
        .address_space:  global
        .offset:         16
        .size:           8
        .value_kind:     global_buffer
      - .actual_access:  read_only
        .address_space:  global
        .offset:         24
        .size:           8
        .value_kind:     global_buffer
      - .address_space:  global
        .offset:         32
        .size:           8
        .value_kind:     global_buffer
      - .actual_access:  read_only
        .address_space:  global
        .offset:         40
        .size:           8
        .value_kind:     global_buffer
      - .address_space:  global
        .offset:         48
        .size:           8
        .value_kind:     global_buffer
      - .actual_access:  read_only
        .address_space:  global
        .offset:         56
        .size:           8
        .value_kind:     global_buffer
      - .address_space:  global
        .offset:         64
        .size:           8
        .value_kind:     global_buffer
      - .offset:         72
        .size:           4
        .value_kind:     by_value
    .group_segment_fixed_size: 3072
    .kernarg_segment_align: 8
    .kernarg_segment_size: 76
    .language:       OpenCL C
    .language_version:
      - 2
      - 0
    .max_flat_workgroup_size: 36
    .name:           _ZN9rocsparseL26bsric0_2_8_unrolled_kernelILi36ELi32ELi6E21rocsparse_complex_numIdEEEv20rocsparse_direction_iiPKiS5_PT2_S5_PiS5_S8_21rocsparse_index_base_
    .private_segment_fixed_size: 0
    .sgpr_count:     44
    .sgpr_spill_count: 0
    .symbol:         _ZN9rocsparseL26bsric0_2_8_unrolled_kernelILi36ELi32ELi6E21rocsparse_complex_numIdEEEv20rocsparse_direction_iiPKiS5_PT2_S5_PiS5_S8_21rocsparse_index_base_.kd
    .uniform_work_group_size: 1
    .uses_dynamic_stack: false
    .vgpr_count:     78
    .vgpr_spill_count: 0
    .wavefront_size: 64
  - .agpr_count:     0
    .args:
      - .offset:         0
        .size:           4
        .value_kind:     by_value
      - .offset:         4
        .size:           4
        .value_kind:     by_value
      - .offset:         8
        .size:           4
        .value_kind:     by_value
      - .actual_access:  read_only
        .address_space:  global
        .offset:         16
        .size:           8
        .value_kind:     global_buffer
      - .actual_access:  read_only
        .address_space:  global
        .offset:         24
        .size:           8
        .value_kind:     global_buffer
      - .address_space:  global
        .offset:         32
        .size:           8
        .value_kind:     global_buffer
      - .actual_access:  read_only
        .address_space:  global
        .offset:         40
        .size:           8
        .value_kind:     global_buffer
      - .address_space:  global
        .offset:         48
        .size:           8
        .value_kind:     global_buffer
      - .actual_access:  read_only
        .address_space:  global
        .offset:         56
        .size:           8
        .value_kind:     global_buffer
      - .address_space:  global
        .offset:         64
        .size:           8
        .value_kind:     global_buffer
      - .offset:         72
        .size:           4
        .value_kind:     by_value
    .group_segment_fixed_size: 3968
    .kernarg_segment_align: 8
    .kernarg_segment_size: 76
    .language:       OpenCL C
    .language_version:
      - 2
      - 0
    .max_flat_workgroup_size: 49
    .name:           _ZN9rocsparseL26bsric0_2_8_unrolled_kernelILi49ELi32ELi7E21rocsparse_complex_numIdEEEv20rocsparse_direction_iiPKiS5_PT2_S5_PiS5_S8_21rocsparse_index_base_
    .private_segment_fixed_size: 0
    .sgpr_count:     44
    .sgpr_spill_count: 0
    .symbol:         _ZN9rocsparseL26bsric0_2_8_unrolled_kernelILi49ELi32ELi7E21rocsparse_complex_numIdEEEv20rocsparse_direction_iiPKiS5_PT2_S5_PiS5_S8_21rocsparse_index_base_.kd
    .uniform_work_group_size: 1
    .uses_dynamic_stack: false
    .vgpr_count:     86
    .vgpr_spill_count: 0
    .wavefront_size: 64
  - .agpr_count:     0
    .args:
      - .offset:         0
        .size:           4
        .value_kind:     by_value
      - .offset:         4
        .size:           4
        .value_kind:     by_value
      - .offset:         8
        .size:           4
        .value_kind:     by_value
      - .actual_access:  read_only
        .address_space:  global
        .offset:         16
        .size:           8
        .value_kind:     global_buffer
      - .actual_access:  read_only
        .address_space:  global
        .offset:         24
        .size:           8
        .value_kind:     global_buffer
      - .address_space:  global
        .offset:         32
        .size:           8
        .value_kind:     global_buffer
      - .actual_access:  read_only
        .address_space:  global
        .offset:         40
        .size:           8
        .value_kind:     global_buffer
      - .address_space:  global
        .offset:         48
        .size:           8
        .value_kind:     global_buffer
      - .actual_access:  read_only
        .address_space:  global
        .offset:         56
        .size:           8
        .value_kind:     global_buffer
      - .address_space:  global
        .offset:         64
        .size:           8
        .value_kind:     global_buffer
      - .offset:         72
        .size:           4
        .value_kind:     by_value
    .group_segment_fixed_size: 4992
    .kernarg_segment_align: 8
    .kernarg_segment_size: 76
    .language:       OpenCL C
    .language_version:
      - 2
      - 0
    .max_flat_workgroup_size: 64
    .name:           _ZN9rocsparseL26bsric0_2_8_unrolled_kernelILi64ELi32ELi8E21rocsparse_complex_numIdEEEv20rocsparse_direction_iiPKiS5_PT2_S5_PiS5_S8_21rocsparse_index_base_
    .private_segment_fixed_size: 0
    .sgpr_count:     44
    .sgpr_spill_count: 0
    .symbol:         _ZN9rocsparseL26bsric0_2_8_unrolled_kernelILi64ELi32ELi8E21rocsparse_complex_numIdEEEv20rocsparse_direction_iiPKiS5_PT2_S5_PiS5_S8_21rocsparse_index_base_.kd
    .uniform_work_group_size: 1
    .uses_dynamic_stack: false
    .vgpr_count:     94
    .vgpr_spill_count: 0
    .wavefront_size: 64
  - .agpr_count:     0
    .args:
      - .offset:         0
        .size:           4
        .value_kind:     by_value
      - .offset:         4
        .size:           4
        .value_kind:     by_value
      - .offset:         8
        .size:           4
        .value_kind:     by_value
      - .actual_access:  read_only
        .address_space:  global
        .offset:         16
        .size:           8
        .value_kind:     global_buffer
      - .actual_access:  read_only
        .address_space:  global
        .offset:         24
        .size:           8
        .value_kind:     global_buffer
      - .address_space:  global
        .offset:         32
        .size:           8
        .value_kind:     global_buffer
      - .actual_access:  read_only
        .address_space:  global
        .offset:         40
        .size:           8
        .value_kind:     global_buffer
      - .address_space:  global
        .offset:         48
        .size:           8
        .value_kind:     global_buffer
      - .actual_access:  read_only
        .address_space:  global
        .offset:         56
        .size:           8
        .value_kind:     global_buffer
      - .address_space:  global
        .offset:         64
        .size:           8
        .value_kind:     global_buffer
      - .offset:         72
        .size:           4
        .value_kind:     by_value
    .group_segment_fixed_size: 17792
    .kernarg_segment_align: 8
    .kernarg_segment_size: 76
    .language:       OpenCL C
    .language_version:
      - 2
      - 0
    .max_flat_workgroup_size: 64
    .name:           _ZN9rocsparseL18bsric0_9_16_kernelILi64ELi32ELi16E21rocsparse_complex_numIdEEEv20rocsparse_direction_iiPKiS5_PT2_S5_PiS5_S8_21rocsparse_index_base_
    .private_segment_fixed_size: 0
    .sgpr_count:     58
    .sgpr_spill_count: 0
    .symbol:         _ZN9rocsparseL18bsric0_9_16_kernelILi64ELi32ELi16E21rocsparse_complex_numIdEEEv20rocsparse_direction_iiPKiS5_PT2_S5_PiS5_S8_21rocsparse_index_base_.kd
    .uniform_work_group_size: 1
    .uses_dynamic_stack: false
    .vgpr_count:     70
    .vgpr_spill_count: 0
    .wavefront_size: 64
  - .agpr_count:     0
    .args:
      - .offset:         0
        .size:           4
        .value_kind:     by_value
      - .offset:         4
        .size:           4
        .value_kind:     by_value
      - .offset:         8
        .size:           4
        .value_kind:     by_value
      - .actual_access:  read_only
        .address_space:  global
        .offset:         16
        .size:           8
        .value_kind:     global_buffer
      - .actual_access:  read_only
        .address_space:  global
        .offset:         24
        .size:           8
        .value_kind:     global_buffer
      - .address_space:  global
        .offset:         32
        .size:           8
        .value_kind:     global_buffer
      - .actual_access:  read_only
        .address_space:  global
        .offset:         40
        .size:           8
        .value_kind:     global_buffer
      - .address_space:  global
        .offset:         48
        .size:           8
        .value_kind:     global_buffer
      - .actual_access:  read_only
        .address_space:  global
        .offset:         56
        .size:           8
        .value_kind:     global_buffer
      - .address_space:  global
        .offset:         64
        .size:           8
        .value_kind:     global_buffer
      - .offset:         72
        .size:           4
        .value_kind:     by_value
    .group_segment_fixed_size: 51072
    .kernarg_segment_align: 8
    .kernarg_segment_size: 76
    .language:       OpenCL C
    .language_version:
      - 2
      - 0
    .max_flat_workgroup_size: 64
    .name:           _ZN9rocsparseL19bsric0_17_32_kernelILi64ELi32ELi32E21rocsparse_complex_numIdEEEv20rocsparse_direction_iiPKiS5_PT2_S5_PiS5_S8_21rocsparse_index_base_
    .private_segment_fixed_size: 0
    .sgpr_count:     60
    .sgpr_spill_count: 0
    .symbol:         _ZN9rocsparseL19bsric0_17_32_kernelILi64ELi32ELi32E21rocsparse_complex_numIdEEEv20rocsparse_direction_iiPKiS5_PT2_S5_PiS5_S8_21rocsparse_index_base_.kd
    .uniform_work_group_size: 1
    .uses_dynamic_stack: false
    .vgpr_count:     70
    .vgpr_spill_count: 0
    .wavefront_size: 64
  - .agpr_count:     0
    .args:
      - .offset:         0
        .size:           4
        .value_kind:     by_value
      - .offset:         4
        .size:           4
        .value_kind:     by_value
      - .offset:         8
        .size:           4
        .value_kind:     by_value
      - .actual_access:  read_only
        .address_space:  global
        .offset:         16
        .size:           8
        .value_kind:     global_buffer
      - .actual_access:  read_only
        .address_space:  global
        .offset:         24
        .size:           8
        .value_kind:     global_buffer
      - .address_space:  global
        .offset:         32
        .size:           8
        .value_kind:     global_buffer
      - .actual_access:  read_only
        .address_space:  global
        .offset:         40
        .size:           8
        .value_kind:     global_buffer
      - .address_space:  global
        .offset:         48
        .size:           8
        .value_kind:     global_buffer
      - .actual_access:  read_only
        .address_space:  global
        .offset:         56
        .size:           8
        .value_kind:     global_buffer
      - .address_space:  global
        .offset:         64
        .size:           8
        .value_kind:     global_buffer
      - .offset:         72
        .size:           4
        .value_kind:     by_value
    .group_segment_fixed_size: 0
    .kernarg_segment_align: 8
    .kernarg_segment_size: 76
    .language:       OpenCL C
    .language_version:
      - 2
      - 0
    .max_flat_workgroup_size: 64
    .name:           _ZN9rocsparseL23bsric0_binsearch_kernelILj64ELj64ELb0E21rocsparse_complex_numIdEEEv20rocsparse_direction_iiPKiS5_PT2_S5_PiS5_S8_21rocsparse_index_base_
    .private_segment_fixed_size: 0
    .sgpr_count:     63
    .sgpr_spill_count: 0
    .symbol:         _ZN9rocsparseL23bsric0_binsearch_kernelILj64ELj64ELb0E21rocsparse_complex_numIdEEEv20rocsparse_direction_iiPKiS5_PT2_S5_PiS5_S8_21rocsparse_index_base_.kd
    .uniform_work_group_size: 1
    .uses_dynamic_stack: false
    .vgpr_count:     62
    .vgpr_spill_count: 0
    .wavefront_size: 64
  - .agpr_count:     0
    .args:
      - .offset:         0
        .size:           4
        .value_kind:     by_value
      - .offset:         4
        .size:           4
        .value_kind:     by_value
      - .offset:         8
        .size:           4
        .value_kind:     by_value
      - .actual_access:  read_only
        .address_space:  global
        .offset:         16
        .size:           8
        .value_kind:     global_buffer
      - .actual_access:  read_only
        .address_space:  global
        .offset:         24
        .size:           8
        .value_kind:     global_buffer
      - .address_space:  global
        .offset:         32
        .size:           8
        .value_kind:     global_buffer
      - .actual_access:  read_only
        .address_space:  global
        .offset:         40
        .size:           8
        .value_kind:     global_buffer
      - .address_space:  global
        .offset:         48
        .size:           8
        .value_kind:     global_buffer
      - .actual_access:  read_only
        .address_space:  global
        .offset:         56
        .size:           8
        .value_kind:     global_buffer
      - .address_space:  global
        .offset:         64
        .size:           8
        .value_kind:     global_buffer
      - .offset:         72
        .size:           4
        .value_kind:     by_value
    .group_segment_fixed_size: 5376
    .kernarg_segment_align: 8
    .kernarg_segment_size: 76
    .language:       OpenCL C
    .language_version:
      - 2
      - 0
    .max_flat_workgroup_size: 64
    .name:           _ZN9rocsparseL17bsric0_2_8_kernelILi64ELi64ELi8E21rocsparse_complex_numIdEEEv20rocsparse_direction_iiPKiS5_PT2_S5_PiS5_S8_21rocsparse_index_base_
    .private_segment_fixed_size: 0
    .sgpr_count:     55
    .sgpr_spill_count: 0
    .symbol:         _ZN9rocsparseL17bsric0_2_8_kernelILi64ELi64ELi8E21rocsparse_complex_numIdEEEv20rocsparse_direction_iiPKiS5_PT2_S5_PiS5_S8_21rocsparse_index_base_.kd
    .uniform_work_group_size: 1
    .uses_dynamic_stack: false
    .vgpr_count:     72
    .vgpr_spill_count: 0
    .wavefront_size: 64
  - .agpr_count:     0
    .args:
      - .offset:         0
        .size:           4
        .value_kind:     by_value
      - .offset:         4
        .size:           4
        .value_kind:     by_value
      - .offset:         8
        .size:           4
        .value_kind:     by_value
      - .actual_access:  read_only
        .address_space:  global
        .offset:         16
        .size:           8
        .value_kind:     global_buffer
      - .actual_access:  read_only
        .address_space:  global
        .offset:         24
        .size:           8
        .value_kind:     global_buffer
      - .address_space:  global
        .offset:         32
        .size:           8
        .value_kind:     global_buffer
      - .actual_access:  read_only
        .address_space:  global
        .offset:         40
        .size:           8
        .value_kind:     global_buffer
      - .address_space:  global
        .offset:         48
        .size:           8
        .value_kind:     global_buffer
      - .actual_access:  read_only
        .address_space:  global
        .offset:         56
        .size:           8
        .value_kind:     global_buffer
      - .address_space:  global
        .offset:         64
        .size:           8
        .value_kind:     global_buffer
      - .offset:         72
        .size:           4
        .value_kind:     by_value
    .group_segment_fixed_size: 18176
    .kernarg_segment_align: 8
    .kernarg_segment_size: 76
    .language:       OpenCL C
    .language_version:
      - 2
      - 0
    .max_flat_workgroup_size: 64
    .name:           _ZN9rocsparseL18bsric0_9_16_kernelILi64ELi64ELi16E21rocsparse_complex_numIdEEEv20rocsparse_direction_iiPKiS5_PT2_S5_PiS5_S8_21rocsparse_index_base_
    .private_segment_fixed_size: 0
    .sgpr_count:     58
    .sgpr_spill_count: 0
    .symbol:         _ZN9rocsparseL18bsric0_9_16_kernelILi64ELi64ELi16E21rocsparse_complex_numIdEEEv20rocsparse_direction_iiPKiS5_PT2_S5_PiS5_S8_21rocsparse_index_base_.kd
    .uniform_work_group_size: 1
    .uses_dynamic_stack: false
    .vgpr_count:     70
    .vgpr_spill_count: 0
    .wavefront_size: 64
  - .agpr_count:     0
    .args:
      - .offset:         0
        .size:           4
        .value_kind:     by_value
      - .offset:         4
        .size:           4
        .value_kind:     by_value
      - .offset:         8
        .size:           4
        .value_kind:     by_value
      - .actual_access:  read_only
        .address_space:  global
        .offset:         16
        .size:           8
        .value_kind:     global_buffer
      - .actual_access:  read_only
        .address_space:  global
        .offset:         24
        .size:           8
        .value_kind:     global_buffer
      - .address_space:  global
        .offset:         32
        .size:           8
        .value_kind:     global_buffer
      - .actual_access:  read_only
        .address_space:  global
        .offset:         40
        .size:           8
        .value_kind:     global_buffer
      - .address_space:  global
        .offset:         48
        .size:           8
        .value_kind:     global_buffer
      - .actual_access:  read_only
        .address_space:  global
        .offset:         56
        .size:           8
        .value_kind:     global_buffer
      - .address_space:  global
        .offset:         64
        .size:           8
        .value_kind:     global_buffer
      - .offset:         72
        .size:           4
        .value_kind:     by_value
    .group_segment_fixed_size: 51456
    .kernarg_segment_align: 8
    .kernarg_segment_size: 76
    .language:       OpenCL C
    .language_version:
      - 2
      - 0
    .max_flat_workgroup_size: 64
    .name:           _ZN9rocsparseL19bsric0_17_32_kernelILi64ELi64ELi32E21rocsparse_complex_numIdEEEv20rocsparse_direction_iiPKiS5_PT2_S5_PiS5_S8_21rocsparse_index_base_
    .private_segment_fixed_size: 0
    .sgpr_count:     60
    .sgpr_spill_count: 0
    .symbol:         _ZN9rocsparseL19bsric0_17_32_kernelILi64ELi64ELi32E21rocsparse_complex_numIdEEEv20rocsparse_direction_iiPKiS5_PT2_S5_PiS5_S8_21rocsparse_index_base_.kd
    .uniform_work_group_size: 1
    .uses_dynamic_stack: false
    .vgpr_count:     70
    .vgpr_spill_count: 0
    .wavefront_size: 64
  - .agpr_count:     0
    .args:
      - .offset:         0
        .size:           4
        .value_kind:     by_value
      - .offset:         4
        .size:           4
        .value_kind:     by_value
      - .offset:         8
        .size:           4
        .value_kind:     by_value
      - .actual_access:  read_only
        .address_space:  global
        .offset:         16
        .size:           8
        .value_kind:     global_buffer
      - .actual_access:  read_only
        .address_space:  global
        .offset:         24
        .size:           8
        .value_kind:     global_buffer
      - .address_space:  global
        .offset:         32
        .size:           8
        .value_kind:     global_buffer
      - .actual_access:  read_only
        .address_space:  global
        .offset:         40
        .size:           8
        .value_kind:     global_buffer
      - .address_space:  global
        .offset:         48
        .size:           8
        .value_kind:     global_buffer
      - .actual_access:  read_only
        .address_space:  global
        .offset:         56
        .size:           8
        .value_kind:     global_buffer
      - .address_space:  global
        .offset:         64
        .size:           8
        .value_kind:     global_buffer
      - .offset:         72
        .size:           4
        .value_kind:     by_value
    .group_segment_fixed_size: 6144
    .kernarg_segment_align: 8
    .kernarg_segment_size: 76
    .language:       OpenCL C
    .language_version:
      - 2
      - 0
    .max_flat_workgroup_size: 64
    .name:           _ZN9rocsparseL17bsric0_2_8_kernelILi64ELi128ELi8E21rocsparse_complex_numIdEEEv20rocsparse_direction_iiPKiS5_PT2_S5_PiS5_S8_21rocsparse_index_base_
    .private_segment_fixed_size: 0
    .sgpr_count:     55
    .sgpr_spill_count: 0
    .symbol:         _ZN9rocsparseL17bsric0_2_8_kernelILi64ELi128ELi8E21rocsparse_complex_numIdEEEv20rocsparse_direction_iiPKiS5_PT2_S5_PiS5_S8_21rocsparse_index_base_.kd
    .uniform_work_group_size: 1
    .uses_dynamic_stack: false
    .vgpr_count:     72
    .vgpr_spill_count: 0
    .wavefront_size: 64
  - .agpr_count:     0
    .args:
      - .offset:         0
        .size:           4
        .value_kind:     by_value
      - .offset:         4
        .size:           4
        .value_kind:     by_value
      - .offset:         8
        .size:           4
        .value_kind:     by_value
      - .actual_access:  read_only
        .address_space:  global
        .offset:         16
        .size:           8
        .value_kind:     global_buffer
      - .actual_access:  read_only
        .address_space:  global
        .offset:         24
        .size:           8
        .value_kind:     global_buffer
      - .address_space:  global
        .offset:         32
        .size:           8
        .value_kind:     global_buffer
      - .actual_access:  read_only
        .address_space:  global
        .offset:         40
        .size:           8
        .value_kind:     global_buffer
      - .address_space:  global
        .offset:         48
        .size:           8
        .value_kind:     global_buffer
      - .actual_access:  read_only
        .address_space:  global
        .offset:         56
        .size:           8
        .value_kind:     global_buffer
      - .address_space:  global
        .offset:         64
        .size:           8
        .value_kind:     global_buffer
      - .offset:         72
        .size:           4
        .value_kind:     by_value
    .group_segment_fixed_size: 18944
    .kernarg_segment_align: 8
    .kernarg_segment_size: 76
    .language:       OpenCL C
    .language_version:
      - 2
      - 0
    .max_flat_workgroup_size: 64
    .name:           _ZN9rocsparseL18bsric0_9_16_kernelILi64ELi128ELi16E21rocsparse_complex_numIdEEEv20rocsparse_direction_iiPKiS5_PT2_S5_PiS5_S8_21rocsparse_index_base_
    .private_segment_fixed_size: 0
    .sgpr_count:     58
    .sgpr_spill_count: 0
    .symbol:         _ZN9rocsparseL18bsric0_9_16_kernelILi64ELi128ELi16E21rocsparse_complex_numIdEEEv20rocsparse_direction_iiPKiS5_PT2_S5_PiS5_S8_21rocsparse_index_base_.kd
    .uniform_work_group_size: 1
    .uses_dynamic_stack: false
    .vgpr_count:     70
    .vgpr_spill_count: 0
    .wavefront_size: 64
  - .agpr_count:     0
    .args:
      - .offset:         0
        .size:           4
        .value_kind:     by_value
      - .offset:         4
        .size:           4
        .value_kind:     by_value
      - .offset:         8
        .size:           4
        .value_kind:     by_value
      - .actual_access:  read_only
        .address_space:  global
        .offset:         16
        .size:           8
        .value_kind:     global_buffer
      - .actual_access:  read_only
        .address_space:  global
        .offset:         24
        .size:           8
        .value_kind:     global_buffer
      - .address_space:  global
        .offset:         32
        .size:           8
        .value_kind:     global_buffer
      - .actual_access:  read_only
        .address_space:  global
        .offset:         40
        .size:           8
        .value_kind:     global_buffer
      - .address_space:  global
        .offset:         48
        .size:           8
        .value_kind:     global_buffer
      - .actual_access:  read_only
        .address_space:  global
        .offset:         56
        .size:           8
        .value_kind:     global_buffer
      - .address_space:  global
        .offset:         64
        .size:           8
        .value_kind:     global_buffer
      - .offset:         72
        .size:           4
        .value_kind:     by_value
    .group_segment_fixed_size: 52224
    .kernarg_segment_align: 8
    .kernarg_segment_size: 76
    .language:       OpenCL C
    .language_version:
      - 2
      - 0
    .max_flat_workgroup_size: 64
    .name:           _ZN9rocsparseL19bsric0_17_32_kernelILi64ELi128ELi32E21rocsparse_complex_numIdEEEv20rocsparse_direction_iiPKiS5_PT2_S5_PiS5_S8_21rocsparse_index_base_
    .private_segment_fixed_size: 0
    .sgpr_count:     60
    .sgpr_spill_count: 0
    .symbol:         _ZN9rocsparseL19bsric0_17_32_kernelILi64ELi128ELi32E21rocsparse_complex_numIdEEEv20rocsparse_direction_iiPKiS5_PT2_S5_PiS5_S8_21rocsparse_index_base_.kd
    .uniform_work_group_size: 1
    .uses_dynamic_stack: false
    .vgpr_count:     70
    .vgpr_spill_count: 0
    .wavefront_size: 64
amdhsa.target:   amdgcn-amd-amdhsa--gfx90a
amdhsa.version:
  - 1
  - 2
...

	.end_amdgpu_metadata
